;; amdgpu-corpus repo=ROCm/aiter kind=compiled arch=gfx942 opt=O3
	.text
	.amdgcn_target "amdgcn-amd-amdhsa--gfx942"
	.amdhsa_code_object_version 6
	.section	.text._ZN7ck_tileL11flush_cacheEv,"axG",@progbits,_ZN7ck_tileL11flush_cacheEv,comdat
	.globl	_ZN7ck_tileL11flush_cacheEv     ; -- Begin function _ZN7ck_tileL11flush_cacheEv
	.p2align	8
	.type	_ZN7ck_tileL11flush_cacheEv,@function
_ZN7ck_tileL11flush_cacheEv:            ; @_ZN7ck_tileL11flush_cacheEv
; %bb.0:
	;;#ASMSTART
	s_icache_inv 
	s_nop 0 
	s_nop 0 
	;; [unrolled: 1-line block ×16, first 2 shown]
	
	;;#ASMEND
	s_endpgm
	.section	.rodata,"a",@progbits
	.p2align	6, 0x0
	.amdhsa_kernel _ZN7ck_tileL11flush_cacheEv
		.amdhsa_group_segment_fixed_size 0
		.amdhsa_private_segment_fixed_size 0
		.amdhsa_kernarg_size 0
		.amdhsa_user_sgpr_count 0
		.amdhsa_user_sgpr_dispatch_ptr 0
		.amdhsa_user_sgpr_queue_ptr 0
		.amdhsa_user_sgpr_kernarg_segment_ptr 0
		.amdhsa_user_sgpr_dispatch_id 0
		.amdhsa_user_sgpr_kernarg_preload_length 0
		.amdhsa_user_sgpr_kernarg_preload_offset 0
		.amdhsa_user_sgpr_private_segment_size 0
		.amdhsa_uses_dynamic_stack 0
		.amdhsa_enable_private_segment 0
		.amdhsa_system_sgpr_workgroup_id_x 1
		.amdhsa_system_sgpr_workgroup_id_y 0
		.amdhsa_system_sgpr_workgroup_id_z 0
		.amdhsa_system_sgpr_workgroup_info 0
		.amdhsa_system_vgpr_workitem_id 0
		.amdhsa_next_free_vgpr 1
		.amdhsa_next_free_sgpr 0
		.amdhsa_accum_offset 4
		.amdhsa_reserve_vcc 0
		.amdhsa_float_round_mode_32 0
		.amdhsa_float_round_mode_16_64 0
		.amdhsa_float_denorm_mode_32 3
		.amdhsa_float_denorm_mode_16_64 3
		.amdhsa_dx10_clamp 1
		.amdhsa_ieee_mode 1
		.amdhsa_fp16_overflow 0
		.amdhsa_tg_split 0
		.amdhsa_exception_fp_ieee_invalid_op 0
		.amdhsa_exception_fp_denorm_src 0
		.amdhsa_exception_fp_ieee_div_zero 0
		.amdhsa_exception_fp_ieee_overflow 0
		.amdhsa_exception_fp_ieee_underflow 0
		.amdhsa_exception_fp_ieee_inexact 0
		.amdhsa_exception_int_div_zero 0
	.end_amdhsa_kernel
	.section	.text._ZN7ck_tileL11flush_cacheEv,"axG",@progbits,_ZN7ck_tileL11flush_cacheEv,comdat
.Lfunc_end0:
	.size	_ZN7ck_tileL11flush_cacheEv, .Lfunc_end0-_ZN7ck_tileL11flush_cacheEv
                                        ; -- End function
	.section	.AMDGPU.csdata,"",@progbits
; Kernel info:
; codeLenInByte = 140
; NumSgprs: 6
; NumVgprs: 0
; NumAgprs: 0
; TotalNumVgprs: 0
; ScratchSize: 0
; MemoryBound: 0
; FloatMode: 240
; IeeeMode: 1
; LDSByteSize: 0 bytes/workgroup (compile time only)
; SGPRBlocks: 0
; VGPRBlocks: 0
; NumSGPRsForWavesPerEU: 6
; NumVGPRsForWavesPerEU: 1
; AccumOffset: 4
; Occupancy: 8
; WaveLimiterHint : 0
; COMPUTE_PGM_RSRC2:SCRATCH_EN: 0
; COMPUTE_PGM_RSRC2:USER_SGPR: 0
; COMPUTE_PGM_RSRC2:TRAP_HANDLER: 0
; COMPUTE_PGM_RSRC2:TGID_X_EN: 1
; COMPUTE_PGM_RSRC2:TGID_Y_EN: 0
; COMPUTE_PGM_RSRC2:TGID_Z_EN: 0
; COMPUTE_PGM_RSRC2:TIDIG_COMP_CNT: 0
; COMPUTE_PGM_RSRC3_GFX90A:ACCUM_OFFSET: 0
; COMPUTE_PGM_RSRC3_GFX90A:TG_SPLIT: 0
	.section	.text._ZN5aiter18act_and_mul_kernelIftTnPFfRKT_EXadL_ZNS_11silu_kernelIfEEfS3_EELi16ELb1ELi0EEEvPT0_PS2_if,"axG",@progbits,_ZN5aiter18act_and_mul_kernelIftTnPFfRKT_EXadL_ZNS_11silu_kernelIfEEfS3_EELi16ELb1ELi0EEEvPT0_PS2_if,comdat
	.protected	_ZN5aiter18act_and_mul_kernelIftTnPFfRKT_EXadL_ZNS_11silu_kernelIfEEfS3_EELi16ELb1ELi0EEEvPT0_PS2_if ; -- Begin function _ZN5aiter18act_and_mul_kernelIftTnPFfRKT_EXadL_ZNS_11silu_kernelIfEEfS3_EELi16ELb1ELi0EEEvPT0_PS2_if
	.globl	_ZN5aiter18act_and_mul_kernelIftTnPFfRKT_EXadL_ZNS_11silu_kernelIfEEfS3_EELi16ELb1ELi0EEEvPT0_PS2_if
	.p2align	8
	.type	_ZN5aiter18act_and_mul_kernelIftTnPFfRKT_EXadL_ZNS_11silu_kernelIfEEfS3_EELi16ELb1ELi0EEEvPT0_PS2_if,@function
_ZN5aiter18act_and_mul_kernelIftTnPFfRKT_EXadL_ZNS_11silu_kernelIfEEfS3_EELi16ELb1ELi0EEEvPT0_PS2_if: ; @_ZN5aiter18act_and_mul_kernelIftTnPFfRKT_EXadL_ZNS_11silu_kernelIfEEfS3_EELi16ELb1ELi0EEEvPT0_PS2_if
; %bb.0:
	s_load_dwordx2 s[16:17], s[0:1], 0x10
	v_lshlrev_b32_e32 v24, 4, v0
	s_waitcnt lgkmcnt(0)
	v_cmp_gt_i32_e32 vcc, s16, v24
	s_and_saveexec_b64 s[4:5], vcc
	s_cbranch_execz .LBB1_3
; %bb.1:
	s_load_dwordx4 s[12:15], s[0:1], 0x0
	s_ashr_i32 s19, s16, 31
	s_mul_hi_u32 s3, s16, s2
	s_mul_i32 s4, s19, s2
	s_add_i32 s3, s3, s4
	s_mul_i32 s2, s16, s2
	s_lshl_b64 s[10:11], s[2:3], 1
	s_lshl_b64 s[2:3], s[2:3], 3
	s_mov_b32 s18, s16
	s_waitcnt lgkmcnt(0)
	s_add_u32 s4, s14, s2
	s_addc_u32 s5, s15, s3
	s_lshl_b64 s[2:3], s[18:19], 2
	s_add_u32 s8, s4, s2
	s_addc_u32 s2, s5, s3
	s_lshl_b32 s6, s16, 2
	s_and_b32 s5, s5, 0xffff
	s_and_b32 s9, s2, 0xffff
	s_add_u32 s12, s12, s10
	s_addc_u32 s2, s13, s11
	s_add_i32 s3, s16, 1
	s_lshr_b32 s10, s3, 31
	s_add_i32 s3, s3, s10
	s_lshl_b32 s3, s3, 1
	s_and_b32 s14, s3, -4
	s_and_b32 s13, s2, 0xffff
	s_mov_b32 s7, 0x20000
	s_add_u32 s0, s0, 24
	s_mov_b32 s10, s17
	s_mov_b32 s15, s7
	v_mov_b32_e32 v25, 0
	s_addc_u32 s1, s1, 0
	s_mov_b64 s[2:3], 0
	s_mov_b32 s21, 0
	v_max_f32_e64 v30, s17, s17
	v_max_f32_e64 v31, s10, s10
	s_mov_b32 s16, 0xbfb8aa3b
	s_mov_b32 s22, 0x42ce8ed0
	;; [unrolled: 1-line block ×3, first 2 shown]
	v_mov_b32_e32 v32, 0x7f800000
	s_mov_b32 s24, 0x7060302
	s_mov_b32 s10, s6
	;; [unrolled: 1-line block ×3, first 2 shown]
.LBB1_2:                                ; =>This Inner Loop Header: Depth=1
	v_lshlrev_b32_e32 v33, 2, v24
	buffer_load_dwordx4 v[26:29], v33, s[4:7], 0 offen
	buffer_load_dwordx4 v[16:19], v33, s[4:7], 16 offen
	;; [unrolled: 1-line block ×8, first 2 shown]
	s_waitcnt vmcnt(7)
	v_max_f32_e32 v26, v26, v26
	v_min_f32_e32 v26, v26, v31
	v_mul_f32_e32 v33, 0xbfb8aa3b, v26
	v_fma_f32 v38, v26, s16, -v33
	v_rndne_f32_e32 v39, v33
	v_fmac_f32_e32 v38, 0xb2a5705f, v26
	v_sub_f32_e32 v33, v33, v39
	v_add_f32_e32 v33, v33, v38
	v_exp_f32_e32 v33, v33
	v_cvt_i32_f32_e32 v38, v39
	v_cmp_nlt_f32_e32 vcc, s22, v26
	v_max_f32_e32 v27, v27, v27
	v_min_f32_e32 v27, v27, v30
	v_ldexp_f32 v33, v33, v38
	v_cndmask_b32_e32 v33, 0, v33, vcc
	v_cmp_ngt_f32_e32 vcc, s23, v26
	v_max_f32_e32 v28, v28, v28
	v_min_f32_e32 v28, v28, v31
	v_cndmask_b32_e32 v33, v32, v33, vcc
	v_add_f32_e32 v33, 1.0, v33
	v_rcp_f32_e32 v38, v33
	v_mul_f32_e32 v33, 0xbfb8aa3b, v27
	v_fma_f32 v39, v27, s16, -v33
	v_rndne_f32_e32 v40, v33
	v_fmac_f32_e32 v39, 0xb2a5705f, v27
	v_sub_f32_e32 v33, v33, v40
	v_add_f32_e32 v33, v33, v39
	v_exp_f32_e32 v33, v33
	v_cvt_i32_f32_e32 v39, v40
	v_cmp_nlt_f32_e32 vcc, s22, v27
	s_waitcnt vmcnt(3)
	v_med3_f32 v34, -s17, v34, s17
	v_med3_f32 v35, -s17, v35, s17
	v_ldexp_f32 v33, v33, v39
	v_cndmask_b32_e32 v33, 0, v33, vcc
	v_cmp_ngt_f32_e32 vcc, s23, v27
	v_max_f32_e32 v29, v29, v29
	v_min_f32_e32 v29, v29, v30
	v_cndmask_b32_e32 v33, v32, v33, vcc
	v_add_f32_e32 v33, 1.0, v33
	v_rcp_f32_e32 v39, v33
	v_mul_f32_e32 v33, 0xbfb8aa3b, v28
	v_cmp_nlt_f32_e32 vcc, s22, v28
	v_max_f32_e32 v16, v16, v16
	v_pk_mul_f32 v[26:27], v[26:27], v[38:39]
	v_min_f32_e32 v16, v16, v31
	;;#ASMSTART
	v_pk_mul_f32 v[26:27], v[26:27], v[34:35]
	;;#ASMEND
	v_med3_f32 v34, -s17, v36, s17
	v_med3_f32 v35, -s17, v37, s17
	v_fma_f32 v36, v28, s16, -v33
	v_rndne_f32_e32 v37, v33
	v_fmac_f32_e32 v36, 0xb2a5705f, v28
	v_sub_f32_e32 v33, v33, v37
	v_add_f32_e32 v33, v33, v36
	v_exp_f32_e32 v33, v33
	v_cvt_i32_f32_e32 v36, v37
	v_max_f32_e32 v17, v17, v17
	v_min_f32_e32 v17, v17, v30
	v_max_f32_e32 v18, v18, v18
	v_ldexp_f32 v33, v33, v36
	v_cndmask_b32_e32 v33, 0, v33, vcc
	v_cmp_ngt_f32_e32 vcc, s23, v28
	s_waitcnt vmcnt(2)
	v_med3_f32 v20, -s17, v20, s17
	v_min_f32_e32 v18, v18, v31
	v_cndmask_b32_e32 v33, v32, v33, vcc
	v_add_f32_e32 v33, 1.0, v33
	v_rcp_f32_e32 v36, v33
	v_mul_f32_e32 v33, 0xbfb8aa3b, v29
	v_fma_f32 v37, v29, s16, -v33
	v_rndne_f32_e32 v38, v33
	v_fmac_f32_e32 v37, 0xb2a5705f, v29
	v_sub_f32_e32 v33, v33, v38
	v_add_f32_e32 v33, v33, v37
	v_exp_f32_e32 v33, v33
	v_cvt_i32_f32_e32 v37, v38
	v_cmp_nlt_f32_e32 vcc, s22, v29
	v_med3_f32 v21, -s17, v21, s17
	v_max_f32_e32 v19, v19, v19
	v_ldexp_f32 v33, v33, v37
	v_cndmask_b32_e32 v33, 0, v33, vcc
	v_cmp_ngt_f32_e32 vcc, s23, v29
	v_min_f32_e32 v19, v19, v30
	v_max_f32_e32 v8, v8, v8
	v_cndmask_b32_e32 v33, v32, v33, vcc
	v_add_f32_e32 v33, 1.0, v33
	v_rcp_f32_e32 v37, v33
	v_mul_f32_e32 v33, 0xbfb8aa3b, v16
	v_cmp_nlt_f32_e32 vcc, s22, v16
	v_min_f32_e32 v8, v8, v31
	v_pk_mul_f32 v[28:29], v[28:29], v[36:37]
	v_max_f32_e32 v9, v9, v9
	;;#ASMSTART
	v_pk_mul_f32 v[28:29], v[28:29], v[34:35]
	;;#ASMEND
	v_fma_f32 v34, v16, s16, -v33
	v_rndne_f32_e32 v35, v33
	v_fmac_f32_e32 v34, 0xb2a5705f, v16
	v_sub_f32_e32 v33, v33, v35
	v_add_f32_e32 v33, v33, v34
	v_exp_f32_e32 v33, v33
	v_cvt_i32_f32_e32 v34, v35
	v_min_f32_e32 v9, v9, v30
	v_max_f32_e32 v10, v10, v10
	s_waitcnt vmcnt(1)
	v_med3_f32 v12, -s17, v12, s17
	v_ldexp_f32 v33, v33, v34
	v_cndmask_b32_e32 v33, 0, v33, vcc
	v_cmp_ngt_f32_e32 vcc, s23, v16
	v_min_f32_e32 v10, v10, v31
	v_med3_f32 v13, -s17, v13, s17
	v_cndmask_b32_e32 v33, v32, v33, vcc
	v_add_f32_e32 v33, 1.0, v33
	v_rcp_f32_e32 v34, v33
	v_mul_f32_e32 v33, 0xbfb8aa3b, v17
	v_fma_f32 v35, v17, s16, -v33
	v_rndne_f32_e32 v36, v33
	v_fmac_f32_e32 v35, 0xb2a5705f, v17
	v_sub_f32_e32 v33, v33, v36
	v_add_f32_e32 v33, v33, v35
	v_exp_f32_e32 v33, v33
	v_cvt_i32_f32_e32 v35, v36
	v_cmp_nlt_f32_e32 vcc, s22, v17
	v_max_f32_e32 v11, v11, v11
	v_min_f32_e32 v11, v11, v30
	v_ldexp_f32 v33, v33, v35
	v_cndmask_b32_e32 v33, 0, v33, vcc
	v_cmp_ngt_f32_e32 vcc, s23, v17
	v_max_f32_e32 v0, v0, v0
	v_min_f32_e32 v0, v0, v31
	v_cndmask_b32_e32 v33, v32, v33, vcc
	v_add_f32_e32 v33, 1.0, v33
	v_rcp_f32_e32 v35, v33
	v_cmp_nlt_f32_e32 vcc, s22, v18
	v_max_f32_e32 v1, v1, v1
	v_min_f32_e32 v1, v1, v30
	v_pk_mul_f32 v[16:17], v[16:17], v[34:35]
	v_max_f32_e32 v2, v2, v2
	;;#ASMSTART
	v_pk_mul_f32 v[16:17], v[16:17], v[20:21]
	;;#ASMEND
	v_med3_f32 v20, -s17, v22, s17
	v_mul_f32_e32 v22, 0xbfb8aa3b, v18
	v_med3_f32 v21, -s17, v23, s17
	v_fma_f32 v23, v18, s16, -v22
	v_rndne_f32_e32 v33, v22
	v_fmac_f32_e32 v23, 0xb2a5705f, v18
	v_sub_f32_e32 v22, v22, v33
	v_add_f32_e32 v22, v22, v23
	v_exp_f32_e32 v22, v22
	v_cvt_i32_f32_e32 v23, v33
	s_waitcnt vmcnt(0)
	v_med3_f32 v4, -s17, v4, s17
	v_min_f32_e32 v2, v2, v31
	v_med3_f32 v5, -s17, v5, s17
	v_ldexp_f32 v22, v22, v23
	v_mul_f32_e32 v23, 0xbfb8aa3b, v19
	v_fma_f32 v33, v19, s16, -v23
	v_rndne_f32_e32 v34, v23
	v_fmac_f32_e32 v33, 0xb2a5705f, v19
	v_sub_f32_e32 v23, v23, v34
	v_add_f32_e32 v23, v23, v33
	v_exp_f32_e32 v23, v23
	v_cvt_i32_f32_e32 v33, v34
	v_cndmask_b32_e32 v22, 0, v22, vcc
	v_cmp_ngt_f32_e32 vcc, s23, v18
	v_max_f32_e32 v3, v3, v3
	v_ldexp_f32 v23, v23, v33
	v_cndmask_b32_e32 v22, v32, v22, vcc
	v_cmp_nlt_f32_e32 vcc, s22, v19
	v_add_f32_e32 v22, 1.0, v22
	v_rcp_f32_e32 v22, v22
	v_cndmask_b32_e32 v23, 0, v23, vcc
	v_cmp_ngt_f32_e32 vcc, s23, v19
	v_min_f32_e32 v3, v3, v30
	s_nop 0
	v_cndmask_b32_e32 v23, v32, v23, vcc
	v_add_f32_e32 v23, 1.0, v23
	v_rcp_f32_e32 v23, v23
	v_cmp_nlt_f32_e32 vcc, s22, v8
	v_pk_mul_f32 v[18:19], v[18:19], v[22:23]
	s_nop 0
	;;#ASMSTART
	v_pk_mul_f32 v[18:19], v[18:19], v[20:21]
	;;#ASMEND
	v_mul_f32_e32 v20, 0xbfb8aa3b, v8
	v_fma_f32 v21, v8, s16, -v20
	v_rndne_f32_e32 v22, v20
	v_fmac_f32_e32 v21, 0xb2a5705f, v8
	v_sub_f32_e32 v20, v20, v22
	v_add_f32_e32 v20, v20, v21
	v_exp_f32_e32 v20, v20
	v_cvt_i32_f32_e32 v21, v22
	v_ldexp_f32 v20, v20, v21
	v_mul_f32_e32 v21, 0xbfb8aa3b, v9
	v_fma_f32 v22, v9, s16, -v21
	v_rndne_f32_e32 v23, v21
	v_fmac_f32_e32 v22, 0xb2a5705f, v9
	v_sub_f32_e32 v21, v21, v23
	v_add_f32_e32 v21, v21, v22
	v_exp_f32_e32 v21, v21
	v_cvt_i32_f32_e32 v22, v23
	v_cndmask_b32_e32 v20, 0, v20, vcc
	v_cmp_ngt_f32_e32 vcc, s23, v8
	v_ldexp_f32 v21, v21, v22
	s_nop 0
	v_cndmask_b32_e32 v20, v32, v20, vcc
	v_cmp_nlt_f32_e32 vcc, s22, v9
	v_add_f32_e32 v20, 1.0, v20
	v_rcp_f32_e32 v20, v20
	v_cndmask_b32_e32 v21, 0, v21, vcc
	v_cmp_ngt_f32_e32 vcc, s23, v9
	s_nop 1
	v_cndmask_b32_e32 v21, v32, v21, vcc
	v_add_f32_e32 v21, 1.0, v21
	v_rcp_f32_e32 v21, v21
	v_cmp_nlt_f32_e32 vcc, s22, v10
	v_pk_mul_f32 v[8:9], v[8:9], v[20:21]
	s_nop 0
	;;#ASMSTART
	v_pk_mul_f32 v[8:9], v[8:9], v[12:13]
	;;#ASMEND
	v_med3_f32 v12, -s17, v14, s17
	v_mul_f32_e32 v14, 0xbfb8aa3b, v10
	v_med3_f32 v13, -s17, v15, s17
	v_fma_f32 v15, v10, s16, -v14
	v_rndne_f32_e32 v20, v14
	v_fmac_f32_e32 v15, 0xb2a5705f, v10
	v_sub_f32_e32 v14, v14, v20
	v_add_f32_e32 v14, v14, v15
	v_exp_f32_e32 v14, v14
	v_cvt_i32_f32_e32 v15, v20
	v_ldexp_f32 v14, v14, v15
	v_mul_f32_e32 v15, 0xbfb8aa3b, v11
	v_fma_f32 v20, v11, s16, -v15
	v_rndne_f32_e32 v21, v15
	v_fmac_f32_e32 v20, 0xb2a5705f, v11
	v_sub_f32_e32 v15, v15, v21
	v_add_f32_e32 v15, v15, v20
	v_exp_f32_e32 v15, v15
	v_cvt_i32_f32_e32 v20, v21
	v_cndmask_b32_e32 v14, 0, v14, vcc
	v_cmp_ngt_f32_e32 vcc, s23, v10
	v_ldexp_f32 v15, v15, v20
	s_nop 0
	v_cndmask_b32_e32 v14, v32, v14, vcc
	v_cmp_nlt_f32_e32 vcc, s22, v11
	v_add_f32_e32 v14, 1.0, v14
	v_rcp_f32_e32 v14, v14
	v_cndmask_b32_e32 v15, 0, v15, vcc
	v_cmp_ngt_f32_e32 vcc, s23, v11
	s_nop 1
	v_cndmask_b32_e32 v15, v32, v15, vcc
	v_add_f32_e32 v15, 1.0, v15
	v_rcp_f32_e32 v15, v15
	v_cmp_nlt_f32_e32 vcc, s22, v0
	v_pk_mul_f32 v[10:11], v[10:11], v[14:15]
	s_nop 0
	;;#ASMSTART
	v_pk_mul_f32 v[10:11], v[10:11], v[12:13]
	;;#ASMEND
	v_mul_f32_e32 v12, 0xbfb8aa3b, v0
	v_fma_f32 v13, v0, s16, -v12
	v_rndne_f32_e32 v14, v12
	v_fmac_f32_e32 v13, 0xb2a5705f, v0
	v_sub_f32_e32 v12, v12, v14
	v_add_f32_e32 v12, v12, v13
	v_exp_f32_e32 v12, v12
	v_cvt_i32_f32_e32 v13, v14
	v_ldexp_f32 v12, v12, v13
	v_mul_f32_e32 v13, 0xbfb8aa3b, v1
	v_fma_f32 v14, v1, s16, -v13
	v_rndne_f32_e32 v15, v13
	v_fmac_f32_e32 v14, 0xb2a5705f, v1
	v_sub_f32_e32 v13, v13, v15
	v_add_f32_e32 v13, v13, v14
	v_exp_f32_e32 v13, v13
	v_cvt_i32_f32_e32 v14, v15
	v_cndmask_b32_e32 v12, 0, v12, vcc
	v_cmp_ngt_f32_e32 vcc, s23, v0
	v_ldexp_f32 v13, v13, v14
	s_nop 0
	v_cndmask_b32_e32 v12, v32, v12, vcc
	v_cmp_nlt_f32_e32 vcc, s22, v1
	v_add_f32_e32 v12, 1.0, v12
	v_rcp_f32_e32 v12, v12
	v_cndmask_b32_e32 v13, 0, v13, vcc
	v_cmp_ngt_f32_e32 vcc, s23, v1
	s_nop 1
	v_cndmask_b32_e32 v13, v32, v13, vcc
	v_add_f32_e32 v13, 1.0, v13
	v_rcp_f32_e32 v13, v13
	v_cmp_nlt_f32_e32 vcc, s22, v2
	v_pk_mul_f32 v[0:1], v[0:1], v[12:13]
	s_nop 0
	;;#ASMSTART
	v_pk_mul_f32 v[0:1], v[0:1], v[4:5]
	;;#ASMEND
	v_med3_f32 v4, -s17, v6, s17
	v_mul_f32_e32 v6, 0xbfb8aa3b, v2
	v_med3_f32 v5, -s17, v7, s17
	v_fma_f32 v7, v2, s16, -v6
	v_rndne_f32_e32 v12, v6
	v_fmac_f32_e32 v7, 0xb2a5705f, v2
	v_sub_f32_e32 v6, v6, v12
	v_add_f32_e32 v6, v6, v7
	v_exp_f32_e32 v6, v6
	v_cvt_i32_f32_e32 v7, v12
	v_ldexp_f32 v6, v6, v7
	v_mul_f32_e32 v7, 0xbfb8aa3b, v3
	v_fma_f32 v12, v3, s16, -v7
	v_rndne_f32_e32 v13, v7
	v_fmac_f32_e32 v12, 0xb2a5705f, v3
	v_sub_f32_e32 v7, v7, v13
	v_add_f32_e32 v7, v7, v12
	v_exp_f32_e32 v7, v7
	v_cvt_i32_f32_e32 v12, v13
	v_cndmask_b32_e32 v6, 0, v6, vcc
	v_cmp_ngt_f32_e32 vcc, s23, v2
	v_ldexp_f32 v7, v7, v12
	s_nop 0
	v_cndmask_b32_e32 v6, v32, v6, vcc
	v_cmp_nlt_f32_e32 vcc, s22, v3
	v_add_f32_e32 v6, 1.0, v6
	v_rcp_f32_e32 v6, v6
	v_cndmask_b32_e32 v7, 0, v7, vcc
	v_cmp_ngt_f32_e32 vcc, s23, v3
	v_lshlrev_b32_e32 v12, 1, v24
	s_nop 0
	v_cndmask_b32_e32 v7, v32, v7, vcc
	v_add_f32_e32 v7, 1.0, v7
	v_rcp_f32_e32 v7, v7
	s_nop 0
	v_pk_mul_f32 v[2:3], v[2:3], v[6:7]
	s_nop 0
	;;#ASMSTART
	v_pk_mul_f32 v[6:7], v[2:3], v[4:5]
	;;#ASMEND
	s_load_dword s20, s[0:1], 0xc
	v_perm_b32 v2, v27, v26, s24
	v_perm_b32 v3, v29, v28, s24
	;; [unrolled: 1-line block ×4, first 2 shown]
	s_waitcnt lgkmcnt(0)
	s_and_b32 s20, s20, 0xffff
	s_lshl_b32 s20, s20, 4
	v_lshl_add_u64 v[24:25], s[20:21], 0, v[24:25]
	v_cmp_le_i64_e32 vcc, s[18:19], v[24:25]
	buffer_store_dwordx4 v[2:5], v12, s[12:15], 0 offen
	s_or_b64 s[2:3], vcc, s[2:3]
	s_nop 0
	v_perm_b32 v2, v9, v8, s24
	v_perm_b32 v3, v11, v10, s24
	;; [unrolled: 1-line block ×4, first 2 shown]
	buffer_store_dwordx4 v[2:5], v12, s[12:15], 16 offen
	s_andn2_b64 exec, exec, s[2:3]
	s_cbranch_execnz .LBB1_2
.LBB1_3:
	s_endpgm
	.section	.rodata,"a",@progbits
	.p2align	6, 0x0
	.amdhsa_kernel _ZN5aiter18act_and_mul_kernelIftTnPFfRKT_EXadL_ZNS_11silu_kernelIfEEfS3_EELi16ELb1ELi0EEEvPT0_PS2_if
		.amdhsa_group_segment_fixed_size 0
		.amdhsa_private_segment_fixed_size 0
		.amdhsa_kernarg_size 280
		.amdhsa_user_sgpr_count 2
		.amdhsa_user_sgpr_dispatch_ptr 0
		.amdhsa_user_sgpr_queue_ptr 0
		.amdhsa_user_sgpr_kernarg_segment_ptr 1
		.amdhsa_user_sgpr_dispatch_id 0
		.amdhsa_user_sgpr_kernarg_preload_length 0
		.amdhsa_user_sgpr_kernarg_preload_offset 0
		.amdhsa_user_sgpr_private_segment_size 0
		.amdhsa_uses_dynamic_stack 0
		.amdhsa_enable_private_segment 0
		.amdhsa_system_sgpr_workgroup_id_x 1
		.amdhsa_system_sgpr_workgroup_id_y 0
		.amdhsa_system_sgpr_workgroup_id_z 0
		.amdhsa_system_sgpr_workgroup_info 0
		.amdhsa_system_vgpr_workitem_id 0
		.amdhsa_next_free_vgpr 41
		.amdhsa_next_free_sgpr 25
		.amdhsa_accum_offset 44
		.amdhsa_reserve_vcc 1
		.amdhsa_float_round_mode_32 0
		.amdhsa_float_round_mode_16_64 0
		.amdhsa_float_denorm_mode_32 3
		.amdhsa_float_denorm_mode_16_64 3
		.amdhsa_dx10_clamp 1
		.amdhsa_ieee_mode 1
		.amdhsa_fp16_overflow 0
		.amdhsa_tg_split 0
		.amdhsa_exception_fp_ieee_invalid_op 0
		.amdhsa_exception_fp_denorm_src 0
		.amdhsa_exception_fp_ieee_div_zero 0
		.amdhsa_exception_fp_ieee_overflow 0
		.amdhsa_exception_fp_ieee_underflow 0
		.amdhsa_exception_fp_ieee_inexact 0
		.amdhsa_exception_int_div_zero 0
	.end_amdhsa_kernel
	.section	.text._ZN5aiter18act_and_mul_kernelIftTnPFfRKT_EXadL_ZNS_11silu_kernelIfEEfS3_EELi16ELb1ELi0EEEvPT0_PS2_if,"axG",@progbits,_ZN5aiter18act_and_mul_kernelIftTnPFfRKT_EXadL_ZNS_11silu_kernelIfEEfS3_EELi16ELb1ELi0EEEvPT0_PS2_if,comdat
.Lfunc_end1:
	.size	_ZN5aiter18act_and_mul_kernelIftTnPFfRKT_EXadL_ZNS_11silu_kernelIfEEfS3_EELi16ELb1ELi0EEEvPT0_PS2_if, .Lfunc_end1-_ZN5aiter18act_and_mul_kernelIftTnPFfRKT_EXadL_ZNS_11silu_kernelIfEEfS3_EELi16ELb1ELi0EEEvPT0_PS2_if
                                        ; -- End function
	.section	.AMDGPU.csdata,"",@progbits
; Kernel info:
; codeLenInByte = 2136
; NumSgprs: 31
; NumVgprs: 41
; NumAgprs: 0
; TotalNumVgprs: 41
; ScratchSize: 0
; MemoryBound: 0
; FloatMode: 240
; IeeeMode: 1
; LDSByteSize: 0 bytes/workgroup (compile time only)
; SGPRBlocks: 3
; VGPRBlocks: 5
; NumSGPRsForWavesPerEU: 31
; NumVGPRsForWavesPerEU: 41
; AccumOffset: 44
; Occupancy: 8
; WaveLimiterHint : 0
; COMPUTE_PGM_RSRC2:SCRATCH_EN: 0
; COMPUTE_PGM_RSRC2:USER_SGPR: 2
; COMPUTE_PGM_RSRC2:TRAP_HANDLER: 0
; COMPUTE_PGM_RSRC2:TGID_X_EN: 1
; COMPUTE_PGM_RSRC2:TGID_Y_EN: 0
; COMPUTE_PGM_RSRC2:TGID_Z_EN: 0
; COMPUTE_PGM_RSRC2:TIDIG_COMP_CNT: 0
; COMPUTE_PGM_RSRC3_GFX90A:ACCUM_OFFSET: 10
; COMPUTE_PGM_RSRC3_GFX90A:TG_SPLIT: 0
	.section	.text._ZN5aiter18act_and_mul_kernelIftTnPFfRKT_EXadL_ZNS_11silu_kernelIfEEfS3_EELi8ELb1ELi0EEEvPT0_PS2_if,"axG",@progbits,_ZN5aiter18act_and_mul_kernelIftTnPFfRKT_EXadL_ZNS_11silu_kernelIfEEfS3_EELi8ELb1ELi0EEEvPT0_PS2_if,comdat
	.protected	_ZN5aiter18act_and_mul_kernelIftTnPFfRKT_EXadL_ZNS_11silu_kernelIfEEfS3_EELi8ELb1ELi0EEEvPT0_PS2_if ; -- Begin function _ZN5aiter18act_and_mul_kernelIftTnPFfRKT_EXadL_ZNS_11silu_kernelIfEEfS3_EELi8ELb1ELi0EEEvPT0_PS2_if
	.globl	_ZN5aiter18act_and_mul_kernelIftTnPFfRKT_EXadL_ZNS_11silu_kernelIfEEfS3_EELi8ELb1ELi0EEEvPT0_PS2_if
	.p2align	8
	.type	_ZN5aiter18act_and_mul_kernelIftTnPFfRKT_EXadL_ZNS_11silu_kernelIfEEfS3_EELi8ELb1ELi0EEEvPT0_PS2_if,@function
_ZN5aiter18act_and_mul_kernelIftTnPFfRKT_EXadL_ZNS_11silu_kernelIfEEfS3_EELi8ELb1ELi0EEEvPT0_PS2_if: ; @_ZN5aiter18act_and_mul_kernelIftTnPFfRKT_EXadL_ZNS_11silu_kernelIfEEfS3_EELi8ELb1ELi0EEEvPT0_PS2_if
; %bb.0:
	s_load_dwordx2 s[14:15], s[0:1], 0x10
	v_lshlrev_b32_e32 v0, 3, v0
	s_waitcnt lgkmcnt(0)
	v_cmp_gt_i32_e32 vcc, s14, v0
	s_and_saveexec_b64 s[4:5], vcc
	s_cbranch_execz .LBB2_3
; %bb.1:
	s_load_dwordx4 s[4:7], s[0:1], 0x0
	s_ashr_i32 s29, s14, 31
	s_mul_hi_u32 s3, s14, s2
	s_mul_i32 s8, s29, s2
	s_add_i32 s3, s3, s8
	s_mul_i32 s2, s14, s2
	s_lshl_b64 s[8:9], s[2:3], 1
	s_lshl_b64 s[2:3], s[2:3], 3
	s_mov_b32 s28, s14
	s_waitcnt lgkmcnt(0)
	s_add_u32 s16, s6, s2
	s_addc_u32 s6, s7, s3
	s_lshl_b64 s[2:3], s[28:29], 2
	s_add_u32 s20, s16, s2
	s_addc_u32 s2, s6, s3
	s_lshl_b32 s18, s14, 2
	s_and_b32 s17, s6, 0xffff
	s_and_b32 s21, s2, 0xffff
	s_add_u32 s24, s4, s8
	s_addc_u32 s2, s5, s9
	s_add_i32 s3, s14, 1
	s_lshr_b32 s4, s3, 31
	s_add_i32 s3, s3, s4
	s_lshl_b32 s3, s3, 1
	s_and_b32 s26, s3, -4
	s_and_b32 s25, s2, 0xffff
	s_mov_b32 s19, 0x20000
	s_add_u32 s30, s0, 24
	s_mov_b32 s0, s15
	s_mov_b32 s27, s19
	v_mov_b32_e32 v1, 0
	s_addc_u32 s31, s1, 0
	s_mov_b64 s[34:35], 0
	s_mov_b32 s37, 0
	v_max_f32_e64 v10, s15, s15
	v_max_f32_e64 v11, s0, s0
	s_mov_b32 s14, 0xbfb8aa3b
	s_mov_b32 s33, 0x42ce8ed0
	;; [unrolled: 1-line block ×3, first 2 shown]
	v_mov_b32_e32 v12, 0x7f800000
	s_mov_b32 s39, 0x7060302
	s_mov_b32 s22, s18
	s_mov_b32 s23, s19
.LBB2_2:                                ; =>This Inner Loop Header: Depth=1
	v_lshlrev_b32_e32 v13, 2, v0
	buffer_load_dwordx4 v[2:5], v13, s[20:23], 0 offen
	buffer_load_dwordx4 v[6:9], v13, s[16:19], 0 offen
	;; [unrolled: 1-line block ×4, first 2 shown]
	v_lshlrev_b32_e32 v30, 1, v0
	s_waitcnt vmcnt(3)
	v_med3_f32 v2, -s15, v2, s15
	s_waitcnt vmcnt(2)
	v_max_f32_e32 v13, v7, v7
	v_max_f32_e32 v22, v6, v6
	;; [unrolled: 1-line block ×4, first 2 shown]
	s_waitcnt vmcnt(0)
	v_max_f32_e32 v19, v19, v19
	v_max_f32_e32 v18, v18, v18
	v_max_f32_e32 v21, v21, v21
	v_max_f32_e32 v20, v20, v20
	v_med3_f32 v6, -s15, v14, s15
	v_med3_f32 v7, -s15, v15, s15
	;; [unrolled: 1-line block ×4, first 2 shown]
	v_min_f32_e32 v15, v13, v10
	v_min_f32_e32 v14, v22, v11
	;; [unrolled: 1-line block ×8, first 2 shown]
	v_mul_f32_e32 v13, 0xbfb8aa3b, v14
	v_mul_f32_e32 v22, 0xbfb8aa3b, v15
	;; [unrolled: 1-line block ×8, first 2 shown]
	v_fma_f32 v29, v14, s14, -v13
	v_rndne_f32_e32 v31, v13
	v_fma_f32 v32, v15, s14, -v22
	v_rndne_f32_e32 v33, v22
	;; [unrolled: 2-line block ×8, first 2 shown]
	v_fmac_f32_e32 v29, 0xb2a5705f, v14
	v_sub_f32_e32 v13, v13, v31
	v_fmac_f32_e32 v32, 0xb2a5705f, v15
	v_sub_f32_e32 v22, v22, v33
	;; [unrolled: 2-line block ×8, first 2 shown]
	v_add_f32_e32 v13, v13, v29
	v_add_f32_e32 v22, v22, v32
	;; [unrolled: 1-line block ×8, first 2 shown]
	v_cvt_i32_f32_e32 v31, v31
	v_cvt_i32_f32_e32 v33, v33
	;; [unrolled: 1-line block ×8, first 2 shown]
	v_exp_f32_e32 v13, v13
	v_exp_f32_e32 v22, v22
	;; [unrolled: 1-line block ×8, first 2 shown]
	v_ldexp_f32 v13, v13, v31
	v_ldexp_f32 v22, v22, v33
	v_cmp_nlt_f32_e32 vcc, s33, v15
	v_ldexp_f32 v23, v23, v35
	v_cmp_nlt_f32_e64 s[0:1], s33, v16
	v_ldexp_f32 v24, v24, v37
	v_cmp_nlt_f32_e64 s[2:3], s33, v17
	;; [unrolled: 2-line block ×6, first 2 shown]
	v_cmp_nlt_f32_e64 s[12:13], s33, v14
	v_cndmask_b32_e32 v22, 0, v22, vcc
	v_cmp_ngt_f32_e32 vcc, s38, v15
	v_cndmask_b32_e64 v13, 0, v13, s[12:13]
	v_cndmask_b32_e64 v23, 0, v23, s[0:1]
	v_cmp_ngt_f32_e64 s[0:1], s38, v16
	v_cndmask_b32_e64 v24, 0, v24, s[2:3]
	v_cmp_ngt_f32_e64 s[2:3], s38, v17
	;; [unrolled: 2-line block ×6, first 2 shown]
	v_cmp_ngt_f32_e64 s[12:13], s38, v14
	v_cndmask_b32_e32 v22, v12, v22, vcc
	v_cndmask_b32_e64 v23, v12, v23, s[0:1]
	v_cndmask_b32_e64 v13, v12, v13, s[12:13]
	v_cndmask_b32_e64 v24, v12, v24, s[2:3]
	v_cndmask_b32_e64 v25, v12, v25, s[4:5]
	v_cndmask_b32_e64 v26, v12, v26, s[6:7]
	v_cndmask_b32_e64 v27, v12, v27, s[8:9]
	v_cndmask_b32_e64 v28, v12, v28, s[10:11]
	v_add_f32_e32 v13, 1.0, v13
	v_add_f32_e32 v29, 1.0, v22
	;; [unrolled: 1-line block ×8, first 2 shown]
	v_rcp_f32_e32 v22, v13
	v_rcp_f32_e32 v23, v29
	;; [unrolled: 1-line block ×8, first 2 shown]
	v_med3_f32 v3, -s15, v3, s15
	v_med3_f32 v4, -s15, v4, s15
	;; [unrolled: 1-line block ×3, first 2 shown]
	v_pk_mul_f32 v[14:15], v[14:15], v[22:23]
	v_pk_mul_f32 v[16:17], v[16:17], v[24:25]
	;; [unrolled: 1-line block ×4, first 2 shown]
	;;#ASMSTART
	v_pk_mul_f32 v[2:3], v[14:15], v[2:3]
	;;#ASMEND
	;;#ASMSTART
	v_pk_mul_f32 v[4:5], v[16:17], v[4:5]
	;;#ASMEND
	;; [unrolled: 3-line block ×3, first 2 shown]
	s_nop 0
	;;#ASMSTART
	v_pk_mul_f32 v[8:9], v[20:21], v[8:9]
	;;#ASMEND
	s_load_dword s0, s[30:31], 0xc
	v_perm_b32 v2, v3, v2, s39
	v_perm_b32 v3, v5, v4, s39
	;; [unrolled: 1-line block ×4, first 2 shown]
	s_waitcnt lgkmcnt(0)
	s_and_b32 s0, s0, 0xffff
	s_lshl_b32 s36, s0, 3
	v_lshl_add_u64 v[0:1], s[36:37], 0, v[0:1]
	v_cmp_le_i64_e32 vcc, s[28:29], v[0:1]
	s_or_b64 s[34:35], vcc, s[34:35]
	buffer_store_dwordx4 v[2:5], v30, s[24:27], 0 offen
	s_andn2_b64 exec, exec, s[34:35]
	s_cbranch_execnz .LBB2_2
.LBB2_3:
	s_endpgm
	.section	.rodata,"a",@progbits
	.p2align	6, 0x0
	.amdhsa_kernel _ZN5aiter18act_and_mul_kernelIftTnPFfRKT_EXadL_ZNS_11silu_kernelIfEEfS3_EELi8ELb1ELi0EEEvPT0_PS2_if
		.amdhsa_group_segment_fixed_size 0
		.amdhsa_private_segment_fixed_size 0
		.amdhsa_kernarg_size 280
		.amdhsa_user_sgpr_count 2
		.amdhsa_user_sgpr_dispatch_ptr 0
		.amdhsa_user_sgpr_queue_ptr 0
		.amdhsa_user_sgpr_kernarg_segment_ptr 1
		.amdhsa_user_sgpr_dispatch_id 0
		.amdhsa_user_sgpr_kernarg_preload_length 0
		.amdhsa_user_sgpr_kernarg_preload_offset 0
		.amdhsa_user_sgpr_private_segment_size 0
		.amdhsa_uses_dynamic_stack 0
		.amdhsa_enable_private_segment 0
		.amdhsa_system_sgpr_workgroup_id_x 1
		.amdhsa_system_sgpr_workgroup_id_y 0
		.amdhsa_system_sgpr_workgroup_id_z 0
		.amdhsa_system_sgpr_workgroup_info 0
		.amdhsa_system_vgpr_workitem_id 0
		.amdhsa_next_free_vgpr 46
		.amdhsa_next_free_sgpr 40
		.amdhsa_accum_offset 48
		.amdhsa_reserve_vcc 1
		.amdhsa_float_round_mode_32 0
		.amdhsa_float_round_mode_16_64 0
		.amdhsa_float_denorm_mode_32 3
		.amdhsa_float_denorm_mode_16_64 3
		.amdhsa_dx10_clamp 1
		.amdhsa_ieee_mode 1
		.amdhsa_fp16_overflow 0
		.amdhsa_tg_split 0
		.amdhsa_exception_fp_ieee_invalid_op 0
		.amdhsa_exception_fp_denorm_src 0
		.amdhsa_exception_fp_ieee_div_zero 0
		.amdhsa_exception_fp_ieee_overflow 0
		.amdhsa_exception_fp_ieee_underflow 0
		.amdhsa_exception_fp_ieee_inexact 0
		.amdhsa_exception_int_div_zero 0
	.end_amdhsa_kernel
	.section	.text._ZN5aiter18act_and_mul_kernelIftTnPFfRKT_EXadL_ZNS_11silu_kernelIfEEfS3_EELi8ELb1ELi0EEEvPT0_PS2_if,"axG",@progbits,_ZN5aiter18act_and_mul_kernelIftTnPFfRKT_EXadL_ZNS_11silu_kernelIfEEfS3_EELi8ELb1ELi0EEEvPT0_PS2_if,comdat
.Lfunc_end2:
	.size	_ZN5aiter18act_and_mul_kernelIftTnPFfRKT_EXadL_ZNS_11silu_kernelIfEEfS3_EELi8ELb1ELi0EEEvPT0_PS2_if, .Lfunc_end2-_ZN5aiter18act_and_mul_kernelIftTnPFfRKT_EXadL_ZNS_11silu_kernelIfEEfS3_EELi8ELb1ELi0EEEvPT0_PS2_if
                                        ; -- End function
	.section	.AMDGPU.csdata,"",@progbits
; Kernel info:
; codeLenInByte = 1308
; NumSgprs: 46
; NumVgprs: 46
; NumAgprs: 0
; TotalNumVgprs: 46
; ScratchSize: 0
; MemoryBound: 0
; FloatMode: 240
; IeeeMode: 1
; LDSByteSize: 0 bytes/workgroup (compile time only)
; SGPRBlocks: 5
; VGPRBlocks: 5
; NumSGPRsForWavesPerEU: 46
; NumVGPRsForWavesPerEU: 46
; AccumOffset: 48
; Occupancy: 8
; WaveLimiterHint : 0
; COMPUTE_PGM_RSRC2:SCRATCH_EN: 0
; COMPUTE_PGM_RSRC2:USER_SGPR: 2
; COMPUTE_PGM_RSRC2:TRAP_HANDLER: 0
; COMPUTE_PGM_RSRC2:TGID_X_EN: 1
; COMPUTE_PGM_RSRC2:TGID_Y_EN: 0
; COMPUTE_PGM_RSRC2:TGID_Z_EN: 0
; COMPUTE_PGM_RSRC2:TIDIG_COMP_CNT: 0
; COMPUTE_PGM_RSRC3_GFX90A:ACCUM_OFFSET: 11
; COMPUTE_PGM_RSRC3_GFX90A:TG_SPLIT: 0
	.section	.text._ZN5aiter18act_and_mul_kernelIftTnPFfRKT_EXadL_ZNS_11silu_kernelIfEEfS3_EELi4ELb1ELi0EEEvPT0_PS2_if,"axG",@progbits,_ZN5aiter18act_and_mul_kernelIftTnPFfRKT_EXadL_ZNS_11silu_kernelIfEEfS3_EELi4ELb1ELi0EEEvPT0_PS2_if,comdat
	.protected	_ZN5aiter18act_and_mul_kernelIftTnPFfRKT_EXadL_ZNS_11silu_kernelIfEEfS3_EELi4ELb1ELi0EEEvPT0_PS2_if ; -- Begin function _ZN5aiter18act_and_mul_kernelIftTnPFfRKT_EXadL_ZNS_11silu_kernelIfEEfS3_EELi4ELb1ELi0EEEvPT0_PS2_if
	.globl	_ZN5aiter18act_and_mul_kernelIftTnPFfRKT_EXadL_ZNS_11silu_kernelIfEEfS3_EELi4ELb1ELi0EEEvPT0_PS2_if
	.p2align	8
	.type	_ZN5aiter18act_and_mul_kernelIftTnPFfRKT_EXadL_ZNS_11silu_kernelIfEEfS3_EELi4ELb1ELi0EEEvPT0_PS2_if,@function
_ZN5aiter18act_and_mul_kernelIftTnPFfRKT_EXadL_ZNS_11silu_kernelIfEEfS3_EELi4ELb1ELi0EEEvPT0_PS2_if: ; @_ZN5aiter18act_and_mul_kernelIftTnPFfRKT_EXadL_ZNS_11silu_kernelIfEEfS3_EELi4ELb1ELi0EEEvPT0_PS2_if
; %bb.0:
	s_load_dwordx2 s[6:7], s[0:1], 0x10
	v_lshlrev_b32_e32 v0, 2, v0
	s_waitcnt lgkmcnt(0)
	v_cmp_gt_i32_e32 vcc, s6, v0
	s_and_saveexec_b64 s[4:5], vcc
	s_cbranch_execz .LBB3_3
; %bb.1:
	s_load_dwordx4 s[16:19], s[0:1], 0x0
	s_ashr_i32 s21, s6, 31
	s_mul_hi_u32 s3, s6, s2
	s_mul_i32 s4, s21, s2
	s_add_i32 s3, s3, s4
	s_mul_i32 s2, s6, s2
	s_lshl_b64 s[4:5], s[2:3], 1
	s_lshl_b64 s[2:3], s[2:3], 3
	s_mov_b32 s20, s6
	s_waitcnt lgkmcnt(0)
	s_add_u32 s8, s18, s2
	s_addc_u32 s9, s19, s3
	s_lshl_b64 s[2:3], s[20:21], 2
	s_add_u32 s12, s8, s2
	s_addc_u32 s2, s9, s3
	s_lshl_b32 s10, s6, 2
	s_and_b32 s9, s9, 0xffff
	s_and_b32 s13, s2, 0xffff
	s_add_u32 s16, s16, s4
	s_addc_u32 s2, s17, s5
	s_add_i32 s3, s6, 1
	s_lshr_b32 s4, s3, 31
	s_add_i32 s3, s3, s4
	s_lshl_b32 s3, s3, 1
	s_and_b32 s18, s3, -4
	s_and_b32 s17, s2, 0xffff
	s_mov_b32 s11, 0x20000
	s_add_u32 s22, s0, 24
	s_mov_b32 s0, s7
	s_mov_b32 s19, s11
	v_mov_b32_e32 v1, 0
	s_addc_u32 s23, s1, 0
	s_mov_b64 s[24:25], 0
	s_mov_b32 s27, 0
	v_max_f32_e64 v4, s7, s7
	v_max_f32_e64 v5, s0, s0
	s_mov_b32 s6, 0xbfb8aa3b
	s_mov_b32 s28, 0x42ce8ed0
	;; [unrolled: 1-line block ×3, first 2 shown]
	v_mov_b32_e32 v6, 0x7f800000
	s_mov_b32 s30, 0x7060302
	s_mov_b32 s14, s10
	;; [unrolled: 1-line block ×3, first 2 shown]
.LBB3_2:                                ; =>This Inner Loop Header: Depth=1
	v_lshlrev_b32_e32 v2, 2, v0
	buffer_load_dwordx4 v[8:11], v2, s[8:11], 0 offen
	buffer_load_dwordx4 v[12:15], v2, s[12:15], 0 offen
	s_waitcnt vmcnt(1)
	v_max_f32_e32 v7, v9, v9
	s_waitcnt vmcnt(0)
	v_med3_f32 v2, -s7, v12, s7
	v_med3_f32 v3, -s7, v13, s7
	v_max_f32_e32 v12, v8, v8
	v_med3_f32 v8, -s7, v14, s7
	v_max_f32_e32 v13, v11, v11
	v_max_f32_e32 v14, v10, v10
	v_min_f32_e32 v11, v7, v4
	v_min_f32_e32 v10, v12, v5
	;; [unrolled: 1-line block ×4, first 2 shown]
	v_med3_f32 v9, -s7, v15, s7
	v_mul_f32_e32 v7, 0xbfb8aa3b, v10
	v_mul_f32_e32 v14, 0xbfb8aa3b, v11
	;; [unrolled: 1-line block ×4, first 2 shown]
	v_fma_f32 v17, v10, s6, -v7
	v_rndne_f32_e32 v18, v7
	v_fma_f32 v19, v11, s6, -v14
	v_rndne_f32_e32 v20, v14
	v_fma_f32 v21, v12, s6, -v15
	v_rndne_f32_e32 v22, v15
	v_fma_f32 v23, v13, s6, -v16
	v_rndne_f32_e32 v24, v16
	v_fmac_f32_e32 v17, 0xb2a5705f, v10
	v_sub_f32_e32 v7, v7, v18
	v_fmac_f32_e32 v19, 0xb2a5705f, v11
	v_sub_f32_e32 v14, v14, v20
	;; [unrolled: 2-line block ×4, first 2 shown]
	v_add_f32_e32 v7, v7, v17
	v_add_f32_e32 v14, v14, v19
	;; [unrolled: 1-line block ×4, first 2 shown]
	v_cvt_i32_f32_e32 v18, v18
	v_cvt_i32_f32_e32 v20, v20
	;; [unrolled: 1-line block ×4, first 2 shown]
	v_exp_f32_e32 v7, v7
	v_exp_f32_e32 v14, v14
	;; [unrolled: 1-line block ×4, first 2 shown]
	v_ldexp_f32 v7, v7, v18
	v_ldexp_f32 v14, v14, v20
	v_cmp_nlt_f32_e32 vcc, s28, v11
	v_ldexp_f32 v15, v15, v22
	v_cmp_nlt_f32_e64 s[0:1], s28, v12
	v_ldexp_f32 v16, v16, v24
	v_cmp_nlt_f32_e64 s[2:3], s28, v13
	v_cmp_nlt_f32_e64 s[4:5], s28, v10
	v_cndmask_b32_e32 v14, 0, v14, vcc
	v_cmp_ngt_f32_e32 vcc, s29, v11
	v_cndmask_b32_e64 v7, 0, v7, s[4:5]
	v_cndmask_b32_e64 v15, 0, v15, s[0:1]
	v_cmp_ngt_f32_e64 s[0:1], s29, v12
	v_cndmask_b32_e64 v16, 0, v16, s[2:3]
	v_cmp_ngt_f32_e64 s[2:3], s29, v13
	v_cmp_ngt_f32_e64 s[4:5], s29, v10
	v_cndmask_b32_e32 v14, v6, v14, vcc
	v_cndmask_b32_e64 v15, v6, v15, s[0:1]
	v_cndmask_b32_e64 v7, v6, v7, s[4:5]
	;; [unrolled: 1-line block ×3, first 2 shown]
	v_add_f32_e32 v7, 1.0, v7
	v_add_f32_e32 v17, 1.0, v14
	;; [unrolled: 1-line block ×4, first 2 shown]
	v_rcp_f32_e32 v14, v7
	v_rcp_f32_e32 v15, v17
	;; [unrolled: 1-line block ×4, first 2 shown]
	v_lshlrev_b32_e32 v7, 1, v0
	v_pk_mul_f32 v[10:11], v[10:11], v[14:15]
	v_pk_mul_f32 v[12:13], v[12:13], v[16:17]
	;;#ASMSTART
	v_pk_mul_f32 v[2:3], v[10:11], v[2:3]
	;;#ASMEND
	s_nop 0
	;;#ASMSTART
	v_pk_mul_f32 v[8:9], v[12:13], v[8:9]
	;;#ASMEND
	s_load_dword s0, s[22:23], 0xc
	v_perm_b32 v2, v3, v2, s30
	v_perm_b32 v3, v9, v8, s30
	buffer_store_dwordx2 v[2:3], v7, s[16:19], 0 offen
	s_waitcnt lgkmcnt(0)
	s_and_b32 s0, s0, 0xffff
	s_lshl_b32 s26, s0, 2
	v_lshl_add_u64 v[0:1], s[26:27], 0, v[0:1]
	v_cmp_le_i64_e32 vcc, s[20:21], v[0:1]
	s_or_b64 s[24:25], vcc, s[24:25]
	s_andn2_b64 exec, exec, s[24:25]
	s_cbranch_execnz .LBB3_2
.LBB3_3:
	s_endpgm
	.section	.rodata,"a",@progbits
	.p2align	6, 0x0
	.amdhsa_kernel _ZN5aiter18act_and_mul_kernelIftTnPFfRKT_EXadL_ZNS_11silu_kernelIfEEfS3_EELi4ELb1ELi0EEEvPT0_PS2_if
		.amdhsa_group_segment_fixed_size 0
		.amdhsa_private_segment_fixed_size 0
		.amdhsa_kernarg_size 280
		.amdhsa_user_sgpr_count 2
		.amdhsa_user_sgpr_dispatch_ptr 0
		.amdhsa_user_sgpr_queue_ptr 0
		.amdhsa_user_sgpr_kernarg_segment_ptr 1
		.amdhsa_user_sgpr_dispatch_id 0
		.amdhsa_user_sgpr_kernarg_preload_length 0
		.amdhsa_user_sgpr_kernarg_preload_offset 0
		.amdhsa_user_sgpr_private_segment_size 0
		.amdhsa_uses_dynamic_stack 0
		.amdhsa_enable_private_segment 0
		.amdhsa_system_sgpr_workgroup_id_x 1
		.amdhsa_system_sgpr_workgroup_id_y 0
		.amdhsa_system_sgpr_workgroup_id_z 0
		.amdhsa_system_sgpr_workgroup_info 0
		.amdhsa_system_vgpr_workitem_id 0
		.amdhsa_next_free_vgpr 25
		.amdhsa_next_free_sgpr 31
		.amdhsa_accum_offset 28
		.amdhsa_reserve_vcc 1
		.amdhsa_float_round_mode_32 0
		.amdhsa_float_round_mode_16_64 0
		.amdhsa_float_denorm_mode_32 3
		.amdhsa_float_denorm_mode_16_64 3
		.amdhsa_dx10_clamp 1
		.amdhsa_ieee_mode 1
		.amdhsa_fp16_overflow 0
		.amdhsa_tg_split 0
		.amdhsa_exception_fp_ieee_invalid_op 0
		.amdhsa_exception_fp_denorm_src 0
		.amdhsa_exception_fp_ieee_div_zero 0
		.amdhsa_exception_fp_ieee_overflow 0
		.amdhsa_exception_fp_ieee_underflow 0
		.amdhsa_exception_fp_ieee_inexact 0
		.amdhsa_exception_int_div_zero 0
	.end_amdhsa_kernel
	.section	.text._ZN5aiter18act_and_mul_kernelIftTnPFfRKT_EXadL_ZNS_11silu_kernelIfEEfS3_EELi4ELb1ELi0EEEvPT0_PS2_if,"axG",@progbits,_ZN5aiter18act_and_mul_kernelIftTnPFfRKT_EXadL_ZNS_11silu_kernelIfEEfS3_EELi4ELb1ELi0EEEvPT0_PS2_if,comdat
.Lfunc_end3:
	.size	_ZN5aiter18act_and_mul_kernelIftTnPFfRKT_EXadL_ZNS_11silu_kernelIfEEfS3_EELi4ELb1ELi0EEEvPT0_PS2_if, .Lfunc_end3-_ZN5aiter18act_and_mul_kernelIftTnPFfRKT_EXadL_ZNS_11silu_kernelIfEEfS3_EELi4ELb1ELi0EEEvPT0_PS2_if
                                        ; -- End function
	.section	.AMDGPU.csdata,"",@progbits
; Kernel info:
; codeLenInByte = 808
; NumSgprs: 37
; NumVgprs: 25
; NumAgprs: 0
; TotalNumVgprs: 25
; ScratchSize: 0
; MemoryBound: 0
; FloatMode: 240
; IeeeMode: 1
; LDSByteSize: 0 bytes/workgroup (compile time only)
; SGPRBlocks: 4
; VGPRBlocks: 3
; NumSGPRsForWavesPerEU: 37
; NumVGPRsForWavesPerEU: 25
; AccumOffset: 28
; Occupancy: 8
; WaveLimiterHint : 0
; COMPUTE_PGM_RSRC2:SCRATCH_EN: 0
; COMPUTE_PGM_RSRC2:USER_SGPR: 2
; COMPUTE_PGM_RSRC2:TRAP_HANDLER: 0
; COMPUTE_PGM_RSRC2:TGID_X_EN: 1
; COMPUTE_PGM_RSRC2:TGID_Y_EN: 0
; COMPUTE_PGM_RSRC2:TGID_Z_EN: 0
; COMPUTE_PGM_RSRC2:TIDIG_COMP_CNT: 0
; COMPUTE_PGM_RSRC3_GFX90A:ACCUM_OFFSET: 6
; COMPUTE_PGM_RSRC3_GFX90A:TG_SPLIT: 0
	.section	.text._ZN5aiter18act_and_mul_kernelIftTnPFfRKT_EXadL_ZNS_11silu_kernelIfEEfS3_EELi2ELb1ELi0EEEvPT0_PS2_if,"axG",@progbits,_ZN5aiter18act_and_mul_kernelIftTnPFfRKT_EXadL_ZNS_11silu_kernelIfEEfS3_EELi2ELb1ELi0EEEvPT0_PS2_if,comdat
	.protected	_ZN5aiter18act_and_mul_kernelIftTnPFfRKT_EXadL_ZNS_11silu_kernelIfEEfS3_EELi2ELb1ELi0EEEvPT0_PS2_if ; -- Begin function _ZN5aiter18act_and_mul_kernelIftTnPFfRKT_EXadL_ZNS_11silu_kernelIfEEfS3_EELi2ELb1ELi0EEEvPT0_PS2_if
	.globl	_ZN5aiter18act_and_mul_kernelIftTnPFfRKT_EXadL_ZNS_11silu_kernelIfEEfS3_EELi2ELb1ELi0EEEvPT0_PS2_if
	.p2align	8
	.type	_ZN5aiter18act_and_mul_kernelIftTnPFfRKT_EXadL_ZNS_11silu_kernelIfEEfS3_EELi2ELb1ELi0EEEvPT0_PS2_if,@function
_ZN5aiter18act_and_mul_kernelIftTnPFfRKT_EXadL_ZNS_11silu_kernelIfEEfS3_EELi2ELb1ELi0EEEvPT0_PS2_if: ; @_ZN5aiter18act_and_mul_kernelIftTnPFfRKT_EXadL_ZNS_11silu_kernelIfEEfS3_EELi2ELb1ELi0EEEvPT0_PS2_if
; %bb.0:
	s_load_dwordx2 s[16:17], s[0:1], 0x10
	v_lshlrev_b32_e32 v0, 1, v0
	s_waitcnt lgkmcnt(0)
	v_cmp_gt_i32_e32 vcc, s16, v0
	s_and_saveexec_b64 s[4:5], vcc
	s_cbranch_execz .LBB4_3
; %bb.1:
	s_load_dwordx4 s[12:15], s[0:1], 0x0
	s_ashr_i32 s19, s16, 31
	s_mul_hi_u32 s3, s16, s2
	s_mul_i32 s4, s19, s2
	s_add_i32 s3, s3, s4
	s_mul_i32 s2, s16, s2
	s_lshl_b64 s[10:11], s[2:3], 1
	s_lshl_b64 s[2:3], s[2:3], 3
	s_mov_b32 s18, s16
	s_waitcnt lgkmcnt(0)
	s_add_u32 s4, s14, s2
	s_addc_u32 s5, s15, s3
	s_lshl_b64 s[2:3], s[18:19], 2
	s_add_u32 s8, s4, s2
	s_addc_u32 s2, s5, s3
	s_lshl_b32 s6, s16, 2
	s_and_b32 s5, s5, 0xffff
	s_and_b32 s9, s2, 0xffff
	s_add_u32 s12, s12, s10
	s_addc_u32 s2, s13, s11
	s_add_i32 s3, s16, 1
	s_lshr_b32 s10, s3, 31
	s_add_i32 s3, s3, s10
	s_lshl_b32 s3, s3, 1
	s_and_b32 s14, s3, -4
	s_and_b32 s13, s2, 0xffff
	s_mov_b32 s7, 0x20000
	s_add_u32 s2, s0, 24
	s_mov_b32 s0, s17
	s_mov_b32 s15, s7
	v_mov_b32_e32 v1, 0
	s_addc_u32 s3, s1, 0
	s_mov_b64 s[20:21], 0
	s_mov_b32 s23, 0
	v_max_f32_e64 v2, s17, s17
	v_max_f32_e64 v3, s0, s0
	s_mov_b32 s16, 0xbfb8aa3b
	s_mov_b32 s24, 0x42ce8ed0
	s_mov_b32 s25, 0xc2b17218
	v_mov_b32_e32 v4, 0x7f800000
	s_mov_b32 s26, 0x7060302
	s_mov_b32 s10, s6
	;; [unrolled: 1-line block ×3, first 2 shown]
.LBB4_2:                                ; =>This Inner Loop Header: Depth=1
	v_lshlrev_b32_e32 v5, 2, v0
	buffer_load_dwordx2 v[6:7], v5, s[4:7], 0 offen
	buffer_load_dwordx2 v[8:9], v5, s[8:11], 0 offen
	s_waitcnt vmcnt(1)
	v_max_f32_e32 v5, v7, v7
	v_max_f32_e32 v6, v6, v6
	v_min_f32_e32 v7, v5, v2
	v_min_f32_e32 v6, v6, v3
	v_mul_f32_e32 v5, 0xbfb8aa3b, v7
	v_mul_f32_e32 v10, 0xbfb8aa3b, v6
	v_fma_f32 v11, v7, s16, -v5
	v_rndne_f32_e32 v12, v5
	v_fma_f32 v13, v6, s16, -v10
	v_rndne_f32_e32 v14, v10
	v_fmac_f32_e32 v11, 0xb2a5705f, v7
	v_sub_f32_e32 v5, v5, v12
	v_fmac_f32_e32 v13, 0xb2a5705f, v6
	v_sub_f32_e32 v10, v10, v14
	v_add_f32_e32 v5, v5, v11
	v_add_f32_e32 v10, v10, v13
	v_cvt_i32_f32_e32 v12, v12
	v_cvt_i32_f32_e32 v14, v14
	v_exp_f32_e32 v5, v5
	v_exp_f32_e32 v10, v10
	v_cmp_nlt_f32_e32 vcc, s24, v6
	v_cmp_nlt_f32_e64 s[0:1], s24, v7
	v_ldexp_f32 v5, v5, v12
	v_ldexp_f32 v10, v10, v14
	v_cndmask_b32_e64 v5, 0, v5, s[0:1]
	v_cndmask_b32_e32 v10, 0, v10, vcc
	v_cmp_ngt_f32_e32 vcc, s25, v6
	v_cmp_ngt_f32_e64 s[0:1], s25, v7
	s_waitcnt vmcnt(0)
	v_med3_f32 v9, -s17, v9, s17
	v_cndmask_b32_e32 v10, v4, v10, vcc
	v_cndmask_b32_e64 v5, v4, v5, s[0:1]
	v_add_f32_e32 v5, 1.0, v5
	v_add_f32_e32 v10, 1.0, v10
	v_rcp_f32_e32 v11, v5
	v_rcp_f32_e32 v10, v10
	v_med3_f32 v8, -s17, v8, s17
	v_lshlrev_b32_e32 v5, 1, v0
	v_pk_mul_f32 v[6:7], v[6:7], v[10:11]
	s_nop 0
	;;#ASMSTART
	v_pk_mul_f32 v[6:7], v[6:7], v[8:9]
	;;#ASMEND
	s_load_dword s0, s[2:3], 0xc
	v_perm_b32 v6, v7, v6, s26
	buffer_store_dword v6, v5, s[12:15], 0 offen
	s_waitcnt lgkmcnt(0)
	s_and_b32 s0, s0, 0xffff
	s_lshl_b32 s22, s0, 1
	v_lshl_add_u64 v[0:1], s[22:23], 0, v[0:1]
	v_cmp_le_i64_e32 vcc, s[18:19], v[0:1]
	s_or_b64 s[20:21], vcc, s[20:21]
	s_andn2_b64 exec, exec, s[20:21]
	s_cbranch_execnz .LBB4_2
.LBB4_3:
	s_endpgm
	.section	.rodata,"a",@progbits
	.p2align	6, 0x0
	.amdhsa_kernel _ZN5aiter18act_and_mul_kernelIftTnPFfRKT_EXadL_ZNS_11silu_kernelIfEEfS3_EELi2ELb1ELi0EEEvPT0_PS2_if
		.amdhsa_group_segment_fixed_size 0
		.amdhsa_private_segment_fixed_size 0
		.amdhsa_kernarg_size 280
		.amdhsa_user_sgpr_count 2
		.amdhsa_user_sgpr_dispatch_ptr 0
		.amdhsa_user_sgpr_queue_ptr 0
		.amdhsa_user_sgpr_kernarg_segment_ptr 1
		.amdhsa_user_sgpr_dispatch_id 0
		.amdhsa_user_sgpr_kernarg_preload_length 0
		.amdhsa_user_sgpr_kernarg_preload_offset 0
		.amdhsa_user_sgpr_private_segment_size 0
		.amdhsa_uses_dynamic_stack 0
		.amdhsa_enable_private_segment 0
		.amdhsa_system_sgpr_workgroup_id_x 1
		.amdhsa_system_sgpr_workgroup_id_y 0
		.amdhsa_system_sgpr_workgroup_id_z 0
		.amdhsa_system_sgpr_workgroup_info 0
		.amdhsa_system_vgpr_workitem_id 0
		.amdhsa_next_free_vgpr 15
		.amdhsa_next_free_sgpr 27
		.amdhsa_accum_offset 16
		.amdhsa_reserve_vcc 1
		.amdhsa_float_round_mode_32 0
		.amdhsa_float_round_mode_16_64 0
		.amdhsa_float_denorm_mode_32 3
		.amdhsa_float_denorm_mode_16_64 3
		.amdhsa_dx10_clamp 1
		.amdhsa_ieee_mode 1
		.amdhsa_fp16_overflow 0
		.amdhsa_tg_split 0
		.amdhsa_exception_fp_ieee_invalid_op 0
		.amdhsa_exception_fp_denorm_src 0
		.amdhsa_exception_fp_ieee_div_zero 0
		.amdhsa_exception_fp_ieee_overflow 0
		.amdhsa_exception_fp_ieee_underflow 0
		.amdhsa_exception_fp_ieee_inexact 0
		.amdhsa_exception_int_div_zero 0
	.end_amdhsa_kernel
	.section	.text._ZN5aiter18act_and_mul_kernelIftTnPFfRKT_EXadL_ZNS_11silu_kernelIfEEfS3_EELi2ELb1ELi0EEEvPT0_PS2_if,"axG",@progbits,_ZN5aiter18act_and_mul_kernelIftTnPFfRKT_EXadL_ZNS_11silu_kernelIfEEfS3_EELi2ELb1ELi0EEEvPT0_PS2_if,comdat
.Lfunc_end4:
	.size	_ZN5aiter18act_and_mul_kernelIftTnPFfRKT_EXadL_ZNS_11silu_kernelIfEEfS3_EELi2ELb1ELi0EEEvPT0_PS2_if, .Lfunc_end4-_ZN5aiter18act_and_mul_kernelIftTnPFfRKT_EXadL_ZNS_11silu_kernelIfEEfS3_EELi2ELb1ELi0EEEvPT0_PS2_if
                                        ; -- End function
	.section	.AMDGPU.csdata,"",@progbits
; Kernel info:
; codeLenInByte = 568
; NumSgprs: 33
; NumVgprs: 15
; NumAgprs: 0
; TotalNumVgprs: 15
; ScratchSize: 0
; MemoryBound: 0
; FloatMode: 240
; IeeeMode: 1
; LDSByteSize: 0 bytes/workgroup (compile time only)
; SGPRBlocks: 4
; VGPRBlocks: 1
; NumSGPRsForWavesPerEU: 33
; NumVGPRsForWavesPerEU: 15
; AccumOffset: 16
; Occupancy: 8
; WaveLimiterHint : 0
; COMPUTE_PGM_RSRC2:SCRATCH_EN: 0
; COMPUTE_PGM_RSRC2:USER_SGPR: 2
; COMPUTE_PGM_RSRC2:TRAP_HANDLER: 0
; COMPUTE_PGM_RSRC2:TGID_X_EN: 1
; COMPUTE_PGM_RSRC2:TGID_Y_EN: 0
; COMPUTE_PGM_RSRC2:TGID_Z_EN: 0
; COMPUTE_PGM_RSRC2:TIDIG_COMP_CNT: 0
; COMPUTE_PGM_RSRC3_GFX90A:ACCUM_OFFSET: 3
; COMPUTE_PGM_RSRC3_GFX90A:TG_SPLIT: 0
	.section	.text._ZN5aiter18act_and_mul_kernelIftTnPFfRKT_EXadL_ZNS_11silu_kernelIfEEfS3_EELi1ELb1ELi0EEEvPT0_PS2_if,"axG",@progbits,_ZN5aiter18act_and_mul_kernelIftTnPFfRKT_EXadL_ZNS_11silu_kernelIfEEfS3_EELi1ELb1ELi0EEEvPT0_PS2_if,comdat
	.protected	_ZN5aiter18act_and_mul_kernelIftTnPFfRKT_EXadL_ZNS_11silu_kernelIfEEfS3_EELi1ELb1ELi0EEEvPT0_PS2_if ; -- Begin function _ZN5aiter18act_and_mul_kernelIftTnPFfRKT_EXadL_ZNS_11silu_kernelIfEEfS3_EELi1ELb1ELi0EEEvPT0_PS2_if
	.globl	_ZN5aiter18act_and_mul_kernelIftTnPFfRKT_EXadL_ZNS_11silu_kernelIfEEfS3_EELi1ELb1ELi0EEEvPT0_PS2_if
	.p2align	8
	.type	_ZN5aiter18act_and_mul_kernelIftTnPFfRKT_EXadL_ZNS_11silu_kernelIfEEfS3_EELi1ELb1ELi0EEEvPT0_PS2_if,@function
_ZN5aiter18act_and_mul_kernelIftTnPFfRKT_EXadL_ZNS_11silu_kernelIfEEfS3_EELi1ELb1ELi0EEEvPT0_PS2_if: ; @_ZN5aiter18act_and_mul_kernelIftTnPFfRKT_EXadL_ZNS_11silu_kernelIfEEfS3_EELi1ELb1ELi0EEEvPT0_PS2_if
; %bb.0:
	s_load_dwordx2 s[16:17], s[0:1], 0x10
	s_waitcnt lgkmcnt(0)
	v_cmp_gt_i32_e32 vcc, s16, v0
	s_and_saveexec_b64 s[4:5], vcc
	s_cbranch_execz .LBB5_3
; %bb.1:
	s_load_dwordx4 s[12:15], s[0:1], 0x0
	s_load_dword s18, s[0:1], 0x24
	s_mov_b32 s20, s17
	s_ashr_i32 s17, s16, 31
	s_mul_hi_u32 s3, s16, s2
	s_mul_i32 s4, s17, s2
	s_add_i32 s3, s3, s4
	s_mul_i32 s2, s16, s2
	s_lshl_b64 s[10:11], s[2:3], 1
	s_lshl_b64 s[2:3], s[2:3], 3
	s_waitcnt lgkmcnt(0)
	s_add_u32 s4, s14, s2
	s_addc_u32 s2, s15, s3
	s_lshl_b64 s[0:1], s[16:17], 2
	s_add_u32 s8, s4, s0
	s_addc_u32 s0, s2, s1
	s_lshl_b32 s6, s16, 2
	s_and_b32 s5, s2, 0xffff
	s_and_b32 s9, s0, 0xffff
	s_add_u32 s12, s12, s10
	s_addc_u32 s0, s13, s11
	s_add_i32 s1, s16, 1
	s_lshr_b32 s2, s1, 31
	s_add_i32 s1, s1, s2
	s_mov_b32 s7, 0x20000
	s_lshl_b32 s1, s1, 1
	s_and_b32 s2, s18, 0xffff
	s_and_b32 s14, s1, -4
	s_and_b32 s13, s0, 0xffff
	s_mov_b32 s15, s7
	s_mov_b32 s3, 0
	v_mov_b32_e32 v1, 0
	v_lshlrev_b32_e32 v2, 1, v0
	s_lshl_b32 s21, s2, 1
	v_lshlrev_b32_e32 v3, 2, v0
	s_lshl_b32 s22, s2, 2
	s_mov_b64 s[18:19], 0
	v_max_f32_e64 v4, s20, s20
	s_mov_b32 s23, 0xbfb8aa3b
	s_mov_b32 s24, 0x42ce8ed0
	;; [unrolled: 1-line block ×3, first 2 shown]
	v_mov_b32_e32 v5, 0x7f800000
	s_mov_b32 s10, s6
	s_mov_b32 s11, s7
.LBB5_2:                                ; =>This Inner Loop Header: Depth=1
	buffer_load_dword v6, v3, s[4:7], 0 offen
	buffer_load_dword v7, v3, s[8:11], 0 offen
	v_lshl_add_u64 v[0:1], v[0:1], 0, s[2:3]
	v_cmp_le_i64_e32 vcc, s[16:17], v[0:1]
	v_add_u32_e32 v3, s22, v3
	s_or_b64 s[18:19], vcc, s[18:19]
	s_waitcnt vmcnt(1)
	v_max_f32_e32 v6, v6, v6
	v_min_f32_e32 v6, v6, v4
	v_mul_f32_e32 v8, 0xbfb8aa3b, v6
	v_fma_f32 v9, v6, s23, -v8
	v_rndne_f32_e32 v10, v8
	v_fmac_f32_e32 v9, 0xb2a5705f, v6
	v_sub_f32_e32 v8, v8, v10
	v_add_f32_e32 v8, v8, v9
	v_cvt_i32_f32_e32 v10, v10
	v_exp_f32_e32 v8, v8
	v_cmp_nlt_f32_e64 s[0:1], s24, v6
	s_waitcnt vmcnt(0)
	v_med3_f32 v7, -s20, v7, s20
	v_ldexp_f32 v8, v8, v10
	v_cndmask_b32_e64 v8, 0, v8, s[0:1]
	v_cmp_ngt_f32_e64 s[0:1], s25, v6
	s_nop 1
	v_cndmask_b32_e64 v8, v5, v8, s[0:1]
	v_add_f32_e32 v8, 1.0, v8
	v_rcp_f32_e32 v8, v8
	s_nop 0
	v_mul_f32_e32 v6, v6, v8
	v_mul_f32_e32 v6, v7, v6
	v_lshrrev_b32_e32 v6, 16, v6
	buffer_store_short v6, v2, s[12:15], 0 offen
	v_add_u32_e32 v2, s21, v2
	s_andn2_b64 exec, exec, s[18:19]
	s_cbranch_execnz .LBB5_2
.LBB5_3:
	s_endpgm
	.section	.rodata,"a",@progbits
	.p2align	6, 0x0
	.amdhsa_kernel _ZN5aiter18act_and_mul_kernelIftTnPFfRKT_EXadL_ZNS_11silu_kernelIfEEfS3_EELi1ELb1ELi0EEEvPT0_PS2_if
		.amdhsa_group_segment_fixed_size 0
		.amdhsa_private_segment_fixed_size 0
		.amdhsa_kernarg_size 280
		.amdhsa_user_sgpr_count 2
		.amdhsa_user_sgpr_dispatch_ptr 0
		.amdhsa_user_sgpr_queue_ptr 0
		.amdhsa_user_sgpr_kernarg_segment_ptr 1
		.amdhsa_user_sgpr_dispatch_id 0
		.amdhsa_user_sgpr_kernarg_preload_length 0
		.amdhsa_user_sgpr_kernarg_preload_offset 0
		.amdhsa_user_sgpr_private_segment_size 0
		.amdhsa_uses_dynamic_stack 0
		.amdhsa_enable_private_segment 0
		.amdhsa_system_sgpr_workgroup_id_x 1
		.amdhsa_system_sgpr_workgroup_id_y 0
		.amdhsa_system_sgpr_workgroup_id_z 0
		.amdhsa_system_sgpr_workgroup_info 0
		.amdhsa_system_vgpr_workitem_id 0
		.amdhsa_next_free_vgpr 11
		.amdhsa_next_free_sgpr 26
		.amdhsa_accum_offset 12
		.amdhsa_reserve_vcc 1
		.amdhsa_float_round_mode_32 0
		.amdhsa_float_round_mode_16_64 0
		.amdhsa_float_denorm_mode_32 3
		.amdhsa_float_denorm_mode_16_64 3
		.amdhsa_dx10_clamp 1
		.amdhsa_ieee_mode 1
		.amdhsa_fp16_overflow 0
		.amdhsa_tg_split 0
		.amdhsa_exception_fp_ieee_invalid_op 0
		.amdhsa_exception_fp_denorm_src 0
		.amdhsa_exception_fp_ieee_div_zero 0
		.amdhsa_exception_fp_ieee_overflow 0
		.amdhsa_exception_fp_ieee_underflow 0
		.amdhsa_exception_fp_ieee_inexact 0
		.amdhsa_exception_int_div_zero 0
	.end_amdhsa_kernel
	.section	.text._ZN5aiter18act_and_mul_kernelIftTnPFfRKT_EXadL_ZNS_11silu_kernelIfEEfS3_EELi1ELb1ELi0EEEvPT0_PS2_if,"axG",@progbits,_ZN5aiter18act_and_mul_kernelIftTnPFfRKT_EXadL_ZNS_11silu_kernelIfEEfS3_EELi1ELb1ELi0EEEvPT0_PS2_if,comdat
.Lfunc_end5:
	.size	_ZN5aiter18act_and_mul_kernelIftTnPFfRKT_EXadL_ZNS_11silu_kernelIfEEfS3_EELi1ELb1ELi0EEEvPT0_PS2_if, .Lfunc_end5-_ZN5aiter18act_and_mul_kernelIftTnPFfRKT_EXadL_ZNS_11silu_kernelIfEEfS3_EELi1ELb1ELi0EEEvPT0_PS2_if
                                        ; -- End function
	.section	.AMDGPU.csdata,"",@progbits
; Kernel info:
; codeLenInByte = 444
; NumSgprs: 32
; NumVgprs: 11
; NumAgprs: 0
; TotalNumVgprs: 11
; ScratchSize: 0
; MemoryBound: 0
; FloatMode: 240
; IeeeMode: 1
; LDSByteSize: 0 bytes/workgroup (compile time only)
; SGPRBlocks: 3
; VGPRBlocks: 1
; NumSGPRsForWavesPerEU: 32
; NumVGPRsForWavesPerEU: 11
; AccumOffset: 12
; Occupancy: 8
; WaveLimiterHint : 0
; COMPUTE_PGM_RSRC2:SCRATCH_EN: 0
; COMPUTE_PGM_RSRC2:USER_SGPR: 2
; COMPUTE_PGM_RSRC2:TRAP_HANDLER: 0
; COMPUTE_PGM_RSRC2:TGID_X_EN: 1
; COMPUTE_PGM_RSRC2:TGID_Y_EN: 0
; COMPUTE_PGM_RSRC2:TGID_Z_EN: 0
; COMPUTE_PGM_RSRC2:TIDIG_COMP_CNT: 0
; COMPUTE_PGM_RSRC3_GFX90A:ACCUM_OFFSET: 2
; COMPUTE_PGM_RSRC3_GFX90A:TG_SPLIT: 0
	.section	.text._ZN5aiter18act_and_mul_kernelIfDF16_TnPFfRKT_EXadL_ZNS_11silu_kernelIfEEfS3_EELi16ELb1ELi0EEEvPT0_PS2_if,"axG",@progbits,_ZN5aiter18act_and_mul_kernelIfDF16_TnPFfRKT_EXadL_ZNS_11silu_kernelIfEEfS3_EELi16ELb1ELi0EEEvPT0_PS2_if,comdat
	.protected	_ZN5aiter18act_and_mul_kernelIfDF16_TnPFfRKT_EXadL_ZNS_11silu_kernelIfEEfS3_EELi16ELb1ELi0EEEvPT0_PS2_if ; -- Begin function _ZN5aiter18act_and_mul_kernelIfDF16_TnPFfRKT_EXadL_ZNS_11silu_kernelIfEEfS3_EELi16ELb1ELi0EEEvPT0_PS2_if
	.globl	_ZN5aiter18act_and_mul_kernelIfDF16_TnPFfRKT_EXadL_ZNS_11silu_kernelIfEEfS3_EELi16ELb1ELi0EEEvPT0_PS2_if
	.p2align	8
	.type	_ZN5aiter18act_and_mul_kernelIfDF16_TnPFfRKT_EXadL_ZNS_11silu_kernelIfEEfS3_EELi16ELb1ELi0EEEvPT0_PS2_if,@function
_ZN5aiter18act_and_mul_kernelIfDF16_TnPFfRKT_EXadL_ZNS_11silu_kernelIfEEfS3_EELi16ELb1ELi0EEEvPT0_PS2_if: ; @_ZN5aiter18act_and_mul_kernelIfDF16_TnPFfRKT_EXadL_ZNS_11silu_kernelIfEEfS3_EELi16ELb1ELi0EEEvPT0_PS2_if
; %bb.0:
	s_load_dwordx2 s[16:17], s[0:1], 0x10
	v_lshlrev_b32_e32 v24, 4, v0
	s_waitcnt lgkmcnt(0)
	v_cmp_gt_i32_e32 vcc, s16, v24
	s_and_saveexec_b64 s[4:5], vcc
	s_cbranch_execz .LBB6_3
; %bb.1:
	s_load_dwordx4 s[12:15], s[0:1], 0x0
	s_ashr_i32 s19, s16, 31
	s_mul_hi_u32 s3, s16, s2
	s_mul_i32 s4, s19, s2
	s_add_i32 s3, s3, s4
	s_mul_i32 s2, s16, s2
	s_lshl_b64 s[10:11], s[2:3], 1
	s_lshl_b64 s[2:3], s[2:3], 3
	s_mov_b32 s18, s16
	s_waitcnt lgkmcnt(0)
	s_add_u32 s4, s14, s2
	s_addc_u32 s5, s15, s3
	s_lshl_b64 s[2:3], s[18:19], 2
	s_add_u32 s8, s4, s2
	s_addc_u32 s2, s5, s3
	s_lshl_b32 s6, s16, 2
	s_and_b32 s5, s5, 0xffff
	s_and_b32 s9, s2, 0xffff
	s_add_u32 s12, s12, s10
	s_addc_u32 s2, s13, s11
	s_add_i32 s3, s16, 1
	s_lshr_b32 s10, s3, 31
	s_add_i32 s3, s3, s10
	s_lshl_b32 s3, s3, 1
	s_and_b32 s14, s3, -4
	s_and_b32 s13, s2, 0xffff
	s_mov_b32 s7, 0x20000
	s_add_u32 s0, s0, 24
	s_mov_b32 s10, s17
	s_mov_b32 s15, s7
	v_mov_b32_e32 v25, 0
	s_addc_u32 s1, s1, 0
	s_mov_b64 s[2:3], 0
	s_mov_b32 s21, 0
	v_max_f32_e64 v26, s17, s17
	v_max_f32_e64 v27, s10, s10
	s_mov_b32 s16, 0xbfb8aa3b
	s_mov_b32 s22, 0x42ce8ed0
	s_mov_b32 s23, 0xc2b17218
	v_mov_b32_e32 v28, 0x7f800000
	s_mov_b32 s10, s6
	s_mov_b32 s11, s7
.LBB6_2:                                ; =>This Inner Loop Header: Depth=1
	v_lshlrev_b32_e32 v29, 2, v24
	buffer_load_dwordx4 v[30:33], v29, s[4:7], 0 offen
	buffer_load_dwordx4 v[16:19], v29, s[4:7], 16 offen
	;; [unrolled: 1-line block ×8, first 2 shown]
	s_waitcnt vmcnt(7)
	v_max_f32_e32 v29, v31, v31
	v_min_f32_e32 v31, v29, v26
	v_max_f32_e32 v29, v30, v30
	v_min_f32_e32 v30, v29, v27
	v_mul_f32_e32 v29, 0xbfb8aa3b, v30
	v_fma_f32 v38, v30, s16, -v29
	v_rndne_f32_e32 v39, v29
	v_fmac_f32_e32 v38, 0xb2a5705f, v30
	v_sub_f32_e32 v29, v29, v39
	v_add_f32_e32 v29, v29, v38
	v_exp_f32_e32 v29, v29
	v_cvt_i32_f32_e32 v38, v39
	v_cmp_nlt_f32_e32 vcc, s22, v30
	s_waitcnt vmcnt(3)
	v_med3_f32 v34, -s17, v34, s17
	v_med3_f32 v35, -s17, v35, s17
	v_ldexp_f32 v29, v29, v38
	v_cndmask_b32_e32 v29, 0, v29, vcc
	v_cmp_ngt_f32_e32 vcc, s23, v30
	v_max_f32_e32 v16, v16, v16
	v_min_f32_e32 v16, v16, v27
	v_cndmask_b32_e32 v29, v28, v29, vcc
	v_add_f32_e32 v29, 1.0, v29
	v_rcp_f32_e32 v38, v29
	v_mul_f32_e32 v29, 0xbfb8aa3b, v31
	v_fma_f32 v39, v31, s16, -v29
	v_rndne_f32_e32 v40, v29
	v_fmac_f32_e32 v39, 0xb2a5705f, v31
	v_sub_f32_e32 v29, v29, v40
	v_add_f32_e32 v29, v29, v39
	v_exp_f32_e32 v29, v29
	v_cvt_i32_f32_e32 v39, v40
	v_cmp_nlt_f32_e32 vcc, s22, v31
	v_max_f32_e32 v17, v17, v17
	v_min_f32_e32 v17, v17, v26
	v_ldexp_f32 v29, v29, v39
	v_cndmask_b32_e32 v29, 0, v29, vcc
	v_cmp_ngt_f32_e32 vcc, s23, v31
	v_max_f32_e32 v18, v18, v18
	s_waitcnt vmcnt(2)
	v_med3_f32 v20, -s17, v20, s17
	v_cndmask_b32_e32 v29, v28, v29, vcc
	v_add_f32_e32 v29, 1.0, v29
	v_rcp_f32_e32 v39, v29
	v_min_f32_e32 v18, v18, v27
	v_med3_f32 v21, -s17, v21, s17
	v_max_f32_e32 v19, v19, v19
	v_pk_mul_f32 v[30:31], v[30:31], v[38:39]
	v_min_f32_e32 v19, v19, v26
	;;#ASMSTART
	v_pk_mul_f32 v[30:31], v[30:31], v[34:35]
	;;#ASMEND
	v_med3_f32 v34, -s17, v36, s17
	v_cvt_f16_f32_e32 v29, v30
	v_cvt_f16_f32_e32 v30, v31
	v_max_f32_e32 v31, v33, v33
	v_min_f32_e32 v33, v31, v26
	v_max_f32_e32 v31, v32, v32
	v_min_f32_e32 v32, v31, v27
	v_mul_f32_e32 v31, 0xbfb8aa3b, v32
	v_med3_f32 v35, -s17, v37, s17
	v_fma_f32 v36, v32, s16, -v31
	v_rndne_f32_e32 v37, v31
	v_fmac_f32_e32 v36, 0xb2a5705f, v32
	v_sub_f32_e32 v31, v31, v37
	v_add_f32_e32 v31, v31, v36
	v_exp_f32_e32 v31, v31
	v_cvt_i32_f32_e32 v36, v37
	v_cmp_nlt_f32_e32 vcc, s22, v32
	v_max_f32_e32 v8, v8, v8
	v_min_f32_e32 v8, v8, v27
	v_ldexp_f32 v31, v31, v36
	v_cndmask_b32_e32 v31, 0, v31, vcc
	v_cmp_ngt_f32_e32 vcc, s23, v32
	v_max_f32_e32 v9, v9, v9
	v_min_f32_e32 v9, v9, v26
	v_cndmask_b32_e32 v31, v28, v31, vcc
	v_add_f32_e32 v31, 1.0, v31
	v_rcp_f32_e32 v36, v31
	v_mul_f32_e32 v31, 0xbfb8aa3b, v33
	v_fma_f32 v37, v33, s16, -v31
	v_rndne_f32_e32 v38, v31
	v_fmac_f32_e32 v37, 0xb2a5705f, v33
	v_sub_f32_e32 v31, v31, v38
	v_add_f32_e32 v31, v31, v37
	v_exp_f32_e32 v31, v31
	v_cvt_i32_f32_e32 v37, v38
	v_cmp_nlt_f32_e32 vcc, s22, v33
	v_max_f32_e32 v10, v10, v10
	s_waitcnt vmcnt(1)
	v_med3_f32 v12, -s17, v12, s17
	v_ldexp_f32 v31, v31, v37
	v_cndmask_b32_e32 v31, 0, v31, vcc
	v_cmp_ngt_f32_e32 vcc, s23, v33
	v_min_f32_e32 v10, v10, v27
	v_med3_f32 v13, -s17, v13, s17
	v_cndmask_b32_e32 v31, v28, v31, vcc
	v_add_f32_e32 v31, 1.0, v31
	v_rcp_f32_e32 v37, v31
	v_cmp_nlt_f32_e32 vcc, s22, v16
	v_max_f32_e32 v11, v11, v11
	v_min_f32_e32 v11, v11, v26
	v_pk_mul_f32 v[32:33], v[32:33], v[36:37]
	v_max_f32_e32 v0, v0, v0
	;;#ASMSTART
	v_pk_mul_f32 v[32:33], v[32:33], v[34:35]
	;;#ASMEND
	v_min_f32_e32 v0, v0, v27
	v_cvt_f16_f32_e32 v31, v32
	v_cvt_f16_f32_e32 v32, v33
	v_mul_f32_e32 v33, 0xbfb8aa3b, v16
	v_fma_f32 v34, v16, s16, -v33
	v_rndne_f32_e32 v35, v33
	v_fmac_f32_e32 v34, 0xb2a5705f, v16
	v_sub_f32_e32 v33, v33, v35
	v_add_f32_e32 v33, v33, v34
	v_exp_f32_e32 v33, v33
	v_cvt_i32_f32_e32 v34, v35
	v_max_f32_e32 v1, v1, v1
	v_min_f32_e32 v1, v1, v26
	v_max_f32_e32 v2, v2, v2
	v_ldexp_f32 v33, v33, v34
	v_cndmask_b32_e32 v33, 0, v33, vcc
	v_cmp_ngt_f32_e32 vcc, s23, v16
	s_waitcnt vmcnt(0)
	v_med3_f32 v4, -s17, v4, s17
	v_med3_f32 v5, -s17, v5, s17
	v_cndmask_b32_e32 v33, v28, v33, vcc
	v_add_f32_e32 v33, 1.0, v33
	v_rcp_f32_e32 v34, v33
	v_mul_f32_e32 v33, 0xbfb8aa3b, v17
	v_fma_f32 v35, v17, s16, -v33
	v_rndne_f32_e32 v36, v33
	v_fmac_f32_e32 v35, 0xb2a5705f, v17
	v_sub_f32_e32 v33, v33, v36
	v_add_f32_e32 v33, v33, v35
	v_exp_f32_e32 v33, v33
	v_cvt_i32_f32_e32 v35, v36
	v_cmp_nlt_f32_e32 vcc, s22, v17
	v_min_f32_e32 v2, v2, v27
	v_max_f32_e32 v3, v3, v3
	v_ldexp_f32 v33, v33, v35
	v_cndmask_b32_e32 v33, 0, v33, vcc
	v_cmp_ngt_f32_e32 vcc, s23, v17
	v_min_f32_e32 v3, v3, v26
	s_nop 0
	v_cndmask_b32_e32 v33, v28, v33, vcc
	v_add_f32_e32 v33, 1.0, v33
	v_rcp_f32_e32 v35, v33
	v_cmp_nlt_f32_e32 vcc, s22, v18
	v_pk_mul_f32 v[16:17], v[16:17], v[34:35]
	s_nop 0
	;;#ASMSTART
	v_pk_mul_f32 v[16:17], v[16:17], v[20:21]
	;;#ASMEND
	v_med3_f32 v20, -s17, v22, s17
	v_mul_f32_e32 v22, 0xbfb8aa3b, v18
	v_med3_f32 v21, -s17, v23, s17
	v_fma_f32 v23, v18, s16, -v22
	v_rndne_f32_e32 v33, v22
	v_fmac_f32_e32 v23, 0xb2a5705f, v18
	v_sub_f32_e32 v22, v22, v33
	v_add_f32_e32 v22, v22, v23
	v_exp_f32_e32 v22, v22
	v_cvt_i32_f32_e32 v23, v33
	v_cvt_f16_f32_e32 v16, v16
	v_cvt_f16_f32_e32 v17, v17
	v_ldexp_f32 v22, v22, v23
	v_mul_f32_e32 v23, 0xbfb8aa3b, v19
	v_fma_f32 v33, v19, s16, -v23
	v_rndne_f32_e32 v34, v23
	v_fmac_f32_e32 v33, 0xb2a5705f, v19
	v_sub_f32_e32 v23, v23, v34
	v_add_f32_e32 v23, v23, v33
	v_exp_f32_e32 v23, v23
	v_cvt_i32_f32_e32 v33, v34
	v_cndmask_b32_e32 v22, 0, v22, vcc
	v_cmp_ngt_f32_e32 vcc, s23, v18
	v_ldexp_f32 v23, v23, v33
	s_nop 0
	v_cndmask_b32_e32 v22, v28, v22, vcc
	v_cmp_nlt_f32_e32 vcc, s22, v19
	v_add_f32_e32 v22, 1.0, v22
	v_rcp_f32_e32 v22, v22
	v_cndmask_b32_e32 v23, 0, v23, vcc
	v_cmp_ngt_f32_e32 vcc, s23, v19
	s_nop 1
	v_cndmask_b32_e32 v23, v28, v23, vcc
	v_add_f32_e32 v23, 1.0, v23
	v_rcp_f32_e32 v23, v23
	v_cmp_nlt_f32_e32 vcc, s22, v8
	v_pk_mul_f32 v[18:19], v[18:19], v[22:23]
	s_nop 0
	;;#ASMSTART
	v_pk_mul_f32 v[18:19], v[18:19], v[20:21]
	;;#ASMEND
	v_mul_f32_e32 v20, 0xbfb8aa3b, v8
	v_fma_f32 v21, v8, s16, -v20
	v_rndne_f32_e32 v22, v20
	v_fmac_f32_e32 v21, 0xb2a5705f, v8
	v_sub_f32_e32 v20, v20, v22
	v_add_f32_e32 v20, v20, v21
	v_exp_f32_e32 v20, v20
	v_cvt_i32_f32_e32 v21, v22
	v_cvt_f16_f32_e32 v18, v18
	v_cvt_f16_f32_e32 v19, v19
	v_ldexp_f32 v20, v20, v21
	v_mul_f32_e32 v21, 0xbfb8aa3b, v9
	v_fma_f32 v22, v9, s16, -v21
	v_rndne_f32_e32 v23, v21
	v_fmac_f32_e32 v22, 0xb2a5705f, v9
	v_sub_f32_e32 v21, v21, v23
	v_add_f32_e32 v21, v21, v22
	v_exp_f32_e32 v21, v21
	v_cvt_i32_f32_e32 v22, v23
	v_cndmask_b32_e32 v20, 0, v20, vcc
	v_cmp_ngt_f32_e32 vcc, s23, v8
	v_ldexp_f32 v21, v21, v22
	s_nop 0
	v_cndmask_b32_e32 v20, v28, v20, vcc
	v_cmp_nlt_f32_e32 vcc, s22, v9
	v_add_f32_e32 v20, 1.0, v20
	v_rcp_f32_e32 v20, v20
	v_cndmask_b32_e32 v21, 0, v21, vcc
	v_cmp_ngt_f32_e32 vcc, s23, v9
	s_nop 1
	v_cndmask_b32_e32 v21, v28, v21, vcc
	v_add_f32_e32 v21, 1.0, v21
	v_rcp_f32_e32 v21, v21
	v_cmp_nlt_f32_e32 vcc, s22, v10
	v_pk_mul_f32 v[8:9], v[8:9], v[20:21]
	s_nop 0
	;;#ASMSTART
	v_pk_mul_f32 v[8:9], v[8:9], v[12:13]
	;;#ASMEND
	v_med3_f32 v12, -s17, v14, s17
	v_mul_f32_e32 v14, 0xbfb8aa3b, v10
	v_med3_f32 v13, -s17, v15, s17
	v_fma_f32 v15, v10, s16, -v14
	v_rndne_f32_e32 v20, v14
	v_fmac_f32_e32 v15, 0xb2a5705f, v10
	v_sub_f32_e32 v14, v14, v20
	v_add_f32_e32 v14, v14, v15
	v_exp_f32_e32 v14, v14
	v_cvt_i32_f32_e32 v15, v20
	v_cvt_f16_f32_e32 v8, v8
	v_cvt_f16_f32_e32 v9, v9
	v_ldexp_f32 v14, v14, v15
	v_mul_f32_e32 v15, 0xbfb8aa3b, v11
	v_fma_f32 v20, v11, s16, -v15
	v_rndne_f32_e32 v21, v15
	v_fmac_f32_e32 v20, 0xb2a5705f, v11
	v_sub_f32_e32 v15, v15, v21
	v_add_f32_e32 v15, v15, v20
	v_exp_f32_e32 v15, v15
	v_cvt_i32_f32_e32 v20, v21
	v_cndmask_b32_e32 v14, 0, v14, vcc
	v_cmp_ngt_f32_e32 vcc, s23, v10
	v_ldexp_f32 v15, v15, v20
	s_nop 0
	v_cndmask_b32_e32 v14, v28, v14, vcc
	v_cmp_nlt_f32_e32 vcc, s22, v11
	v_add_f32_e32 v14, 1.0, v14
	v_rcp_f32_e32 v14, v14
	v_cndmask_b32_e32 v15, 0, v15, vcc
	v_cmp_ngt_f32_e32 vcc, s23, v11
	s_nop 1
	v_cndmask_b32_e32 v15, v28, v15, vcc
	v_add_f32_e32 v15, 1.0, v15
	v_rcp_f32_e32 v15, v15
	v_cmp_nlt_f32_e32 vcc, s22, v0
	v_pk_mul_f32 v[10:11], v[10:11], v[14:15]
	s_nop 0
	;;#ASMSTART
	v_pk_mul_f32 v[10:11], v[10:11], v[12:13]
	;;#ASMEND
	v_mul_f32_e32 v12, 0xbfb8aa3b, v0
	v_fma_f32 v13, v0, s16, -v12
	v_rndne_f32_e32 v14, v12
	v_fmac_f32_e32 v13, 0xb2a5705f, v0
	v_sub_f32_e32 v12, v12, v14
	v_add_f32_e32 v12, v12, v13
	v_exp_f32_e32 v12, v12
	v_cvt_i32_f32_e32 v13, v14
	v_cvt_f16_f32_e32 v10, v10
	v_cvt_f16_f32_e32 v11, v11
	v_ldexp_f32 v12, v12, v13
	v_mul_f32_e32 v13, 0xbfb8aa3b, v1
	v_fma_f32 v14, v1, s16, -v13
	v_rndne_f32_e32 v15, v13
	v_fmac_f32_e32 v14, 0xb2a5705f, v1
	v_sub_f32_e32 v13, v13, v15
	v_add_f32_e32 v13, v13, v14
	v_exp_f32_e32 v13, v13
	v_cvt_i32_f32_e32 v14, v15
	v_cndmask_b32_e32 v12, 0, v12, vcc
	v_cmp_ngt_f32_e32 vcc, s23, v0
	v_ldexp_f32 v13, v13, v14
	s_nop 0
	v_cndmask_b32_e32 v12, v28, v12, vcc
	v_cmp_nlt_f32_e32 vcc, s22, v1
	v_add_f32_e32 v12, 1.0, v12
	v_rcp_f32_e32 v12, v12
	v_cndmask_b32_e32 v13, 0, v13, vcc
	v_cmp_ngt_f32_e32 vcc, s23, v1
	s_nop 1
	v_cndmask_b32_e32 v13, v28, v13, vcc
	v_add_f32_e32 v13, 1.0, v13
	v_rcp_f32_e32 v13, v13
	v_cmp_nlt_f32_e32 vcc, s22, v2
	v_pk_mul_f32 v[0:1], v[0:1], v[12:13]
	s_nop 0
	;;#ASMSTART
	v_pk_mul_f32 v[0:1], v[0:1], v[4:5]
	;;#ASMEND
	s_nop 0
	v_cvt_f16_f32_e32 v4, v0
	v_med3_f32 v0, -s17, v6, s17
	v_mul_f32_e32 v6, 0xbfb8aa3b, v2
	v_cvt_f16_f32_e32 v5, v1
	v_med3_f32 v1, -s17, v7, s17
	v_fma_f32 v7, v2, s16, -v6
	v_rndne_f32_e32 v12, v6
	v_fmac_f32_e32 v7, 0xb2a5705f, v2
	v_sub_f32_e32 v6, v6, v12
	v_add_f32_e32 v6, v6, v7
	v_exp_f32_e32 v6, v6
	v_cvt_i32_f32_e32 v7, v12
	v_ldexp_f32 v6, v6, v7
	v_mul_f32_e32 v7, 0xbfb8aa3b, v3
	v_fma_f32 v12, v3, s16, -v7
	v_rndne_f32_e32 v13, v7
	v_fmac_f32_e32 v12, 0xb2a5705f, v3
	v_sub_f32_e32 v7, v7, v13
	v_add_f32_e32 v7, v7, v12
	v_exp_f32_e32 v7, v7
	v_cvt_i32_f32_e32 v12, v13
	v_cndmask_b32_e32 v6, 0, v6, vcc
	v_cmp_ngt_f32_e32 vcc, s23, v2
	v_ldexp_f32 v7, v7, v12
	s_nop 0
	v_cndmask_b32_e32 v6, v28, v6, vcc
	v_cmp_nlt_f32_e32 vcc, s22, v3
	v_add_f32_e32 v6, 1.0, v6
	v_rcp_f32_e32 v6, v6
	v_cndmask_b32_e32 v7, 0, v7, vcc
	v_cmp_ngt_f32_e32 vcc, s23, v3
	v_lshlrev_b32_e32 v12, 1, v24
	s_nop 0
	v_cndmask_b32_e32 v7, v28, v7, vcc
	v_add_f32_e32 v7, 1.0, v7
	v_rcp_f32_e32 v7, v7
	s_nop 0
	v_pk_mul_f32 v[2:3], v[2:3], v[6:7]
	s_nop 0
	;;#ASMSTART
	v_pk_mul_f32 v[0:1], v[2:3], v[0:1]
	;;#ASMEND
	s_load_dword s20, s[0:1], 0xc
	v_cvt_f16_f32_e32 v6, v0
	v_cvt_f16_f32_e32 v7, v1
	v_pack_b32_f16 v0, v29, v30
	v_pack_b32_f16 v1, v31, v32
	s_waitcnt lgkmcnt(0)
	s_and_b32 s20, s20, 0xffff
	s_lshl_b32 s20, s20, 4
	v_lshl_add_u64 v[24:25], s[20:21], 0, v[24:25]
	v_pack_b32_f16 v2, v16, v17
	v_pack_b32_f16 v3, v18, v19
	v_cmp_le_i64_e32 vcc, s[18:19], v[24:25]
	buffer_store_dwordx4 v[0:3], v12, s[12:15], 0 offen
	s_or_b64 s[2:3], vcc, s[2:3]
	s_nop 0
	v_pack_b32_f16 v0, v8, v9
	v_pack_b32_f16 v1, v10, v11
	;; [unrolled: 1-line block ×4, first 2 shown]
	buffer_store_dwordx4 v[0:3], v12, s[12:15], 16 offen
	s_andn2_b64 exec, exec, s[2:3]
	s_cbranch_execnz .LBB6_2
.LBB6_3:
	s_endpgm
	.section	.rodata,"a",@progbits
	.p2align	6, 0x0
	.amdhsa_kernel _ZN5aiter18act_and_mul_kernelIfDF16_TnPFfRKT_EXadL_ZNS_11silu_kernelIfEEfS3_EELi16ELb1ELi0EEEvPT0_PS2_if
		.amdhsa_group_segment_fixed_size 0
		.amdhsa_private_segment_fixed_size 0
		.amdhsa_kernarg_size 280
		.amdhsa_user_sgpr_count 2
		.amdhsa_user_sgpr_dispatch_ptr 0
		.amdhsa_user_sgpr_queue_ptr 0
		.amdhsa_user_sgpr_kernarg_segment_ptr 1
		.amdhsa_user_sgpr_dispatch_id 0
		.amdhsa_user_sgpr_kernarg_preload_length 0
		.amdhsa_user_sgpr_kernarg_preload_offset 0
		.amdhsa_user_sgpr_private_segment_size 0
		.amdhsa_uses_dynamic_stack 0
		.amdhsa_enable_private_segment 0
		.amdhsa_system_sgpr_workgroup_id_x 1
		.amdhsa_system_sgpr_workgroup_id_y 0
		.amdhsa_system_sgpr_workgroup_id_z 0
		.amdhsa_system_sgpr_workgroup_info 0
		.amdhsa_system_vgpr_workitem_id 0
		.amdhsa_next_free_vgpr 41
		.amdhsa_next_free_sgpr 24
		.amdhsa_accum_offset 44
		.amdhsa_reserve_vcc 1
		.amdhsa_float_round_mode_32 0
		.amdhsa_float_round_mode_16_64 0
		.amdhsa_float_denorm_mode_32 3
		.amdhsa_float_denorm_mode_16_64 3
		.amdhsa_dx10_clamp 1
		.amdhsa_ieee_mode 1
		.amdhsa_fp16_overflow 0
		.amdhsa_tg_split 0
		.amdhsa_exception_fp_ieee_invalid_op 0
		.amdhsa_exception_fp_denorm_src 0
		.amdhsa_exception_fp_ieee_div_zero 0
		.amdhsa_exception_fp_ieee_overflow 0
		.amdhsa_exception_fp_ieee_underflow 0
		.amdhsa_exception_fp_ieee_inexact 0
		.amdhsa_exception_int_div_zero 0
	.end_amdhsa_kernel
	.section	.text._ZN5aiter18act_and_mul_kernelIfDF16_TnPFfRKT_EXadL_ZNS_11silu_kernelIfEEfS3_EELi16ELb1ELi0EEEvPT0_PS2_if,"axG",@progbits,_ZN5aiter18act_and_mul_kernelIfDF16_TnPFfRKT_EXadL_ZNS_11silu_kernelIfEEfS3_EELi16ELb1ELi0EEEvPT0_PS2_if,comdat
.Lfunc_end6:
	.size	_ZN5aiter18act_and_mul_kernelIfDF16_TnPFfRKT_EXadL_ZNS_11silu_kernelIfEEfS3_EELi16ELb1ELi0EEEvPT0_PS2_if, .Lfunc_end6-_ZN5aiter18act_and_mul_kernelIfDF16_TnPFfRKT_EXadL_ZNS_11silu_kernelIfEEfS3_EELi16ELb1ELi0EEEvPT0_PS2_if
                                        ; -- End function
	.section	.AMDGPU.csdata,"",@progbits
; Kernel info:
; codeLenInByte = 2208
; NumSgprs: 30
; NumVgprs: 41
; NumAgprs: 0
; TotalNumVgprs: 41
; ScratchSize: 0
; MemoryBound: 0
; FloatMode: 240
; IeeeMode: 1
; LDSByteSize: 0 bytes/workgroup (compile time only)
; SGPRBlocks: 3
; VGPRBlocks: 5
; NumSGPRsForWavesPerEU: 30
; NumVGPRsForWavesPerEU: 41
; AccumOffset: 44
; Occupancy: 8
; WaveLimiterHint : 0
; COMPUTE_PGM_RSRC2:SCRATCH_EN: 0
; COMPUTE_PGM_RSRC2:USER_SGPR: 2
; COMPUTE_PGM_RSRC2:TRAP_HANDLER: 0
; COMPUTE_PGM_RSRC2:TGID_X_EN: 1
; COMPUTE_PGM_RSRC2:TGID_Y_EN: 0
; COMPUTE_PGM_RSRC2:TGID_Z_EN: 0
; COMPUTE_PGM_RSRC2:TIDIG_COMP_CNT: 0
; COMPUTE_PGM_RSRC3_GFX90A:ACCUM_OFFSET: 10
; COMPUTE_PGM_RSRC3_GFX90A:TG_SPLIT: 0
	.section	.text._ZN5aiter18act_and_mul_kernelIfDF16_TnPFfRKT_EXadL_ZNS_11silu_kernelIfEEfS3_EELi8ELb1ELi0EEEvPT0_PS2_if,"axG",@progbits,_ZN5aiter18act_and_mul_kernelIfDF16_TnPFfRKT_EXadL_ZNS_11silu_kernelIfEEfS3_EELi8ELb1ELi0EEEvPT0_PS2_if,comdat
	.protected	_ZN5aiter18act_and_mul_kernelIfDF16_TnPFfRKT_EXadL_ZNS_11silu_kernelIfEEfS3_EELi8ELb1ELi0EEEvPT0_PS2_if ; -- Begin function _ZN5aiter18act_and_mul_kernelIfDF16_TnPFfRKT_EXadL_ZNS_11silu_kernelIfEEfS3_EELi8ELb1ELi0EEEvPT0_PS2_if
	.globl	_ZN5aiter18act_and_mul_kernelIfDF16_TnPFfRKT_EXadL_ZNS_11silu_kernelIfEEfS3_EELi8ELb1ELi0EEEvPT0_PS2_if
	.p2align	8
	.type	_ZN5aiter18act_and_mul_kernelIfDF16_TnPFfRKT_EXadL_ZNS_11silu_kernelIfEEfS3_EELi8ELb1ELi0EEEvPT0_PS2_if,@function
_ZN5aiter18act_and_mul_kernelIfDF16_TnPFfRKT_EXadL_ZNS_11silu_kernelIfEEfS3_EELi8ELb1ELi0EEEvPT0_PS2_if: ; @_ZN5aiter18act_and_mul_kernelIfDF16_TnPFfRKT_EXadL_ZNS_11silu_kernelIfEEfS3_EELi8ELb1ELi0EEEvPT0_PS2_if
; %bb.0:
	s_load_dwordx2 s[14:15], s[0:1], 0x10
	v_lshlrev_b32_e32 v0, 3, v0
	s_waitcnt lgkmcnt(0)
	v_cmp_gt_i32_e32 vcc, s14, v0
	s_and_saveexec_b64 s[4:5], vcc
	s_cbranch_execz .LBB7_3
; %bb.1:
	s_load_dwordx4 s[4:7], s[0:1], 0x0
	s_ashr_i32 s29, s14, 31
	s_mul_hi_u32 s3, s14, s2
	s_mul_i32 s8, s29, s2
	s_add_i32 s3, s3, s8
	s_mul_i32 s2, s14, s2
	s_lshl_b64 s[8:9], s[2:3], 1
	s_lshl_b64 s[2:3], s[2:3], 3
	s_mov_b32 s28, s14
	s_waitcnt lgkmcnt(0)
	s_add_u32 s16, s6, s2
	s_addc_u32 s6, s7, s3
	s_lshl_b64 s[2:3], s[28:29], 2
	s_add_u32 s20, s16, s2
	s_addc_u32 s2, s6, s3
	s_lshl_b32 s18, s14, 2
	s_and_b32 s17, s6, 0xffff
	s_and_b32 s21, s2, 0xffff
	s_add_u32 s24, s4, s8
	s_addc_u32 s2, s5, s9
	s_add_i32 s3, s14, 1
	s_lshr_b32 s4, s3, 31
	s_add_i32 s3, s3, s4
	s_lshl_b32 s3, s3, 1
	s_and_b32 s26, s3, -4
	s_and_b32 s25, s2, 0xffff
	s_mov_b32 s19, 0x20000
	s_add_u32 s30, s0, 24
	s_mov_b32 s0, s15
	s_mov_b32 s27, s19
	v_mov_b32_e32 v1, 0
	s_addc_u32 s31, s1, 0
	s_mov_b64 s[34:35], 0
	s_mov_b32 s37, 0
	v_max_f32_e64 v10, s15, s15
	v_max_f32_e64 v11, s0, s0
	s_mov_b32 s14, 0xbfb8aa3b
	s_mov_b32 s33, 0x42ce8ed0
	;; [unrolled: 1-line block ×3, first 2 shown]
	v_mov_b32_e32 v12, 0x7f800000
	s_mov_b32 s22, s18
	s_mov_b32 s23, s19
.LBB7_2:                                ; =>This Inner Loop Header: Depth=1
	v_lshlrev_b32_e32 v13, 2, v0
	buffer_load_dwordx4 v[2:5], v13, s[20:23], 0 offen
	buffer_load_dwordx4 v[6:9], v13, s[16:19], 0 offen
	;; [unrolled: 1-line block ×4, first 2 shown]
	v_lshlrev_b32_e32 v30, 1, v0
	s_waitcnt vmcnt(3)
	v_med3_f32 v2, -s15, v2, s15
	s_waitcnt vmcnt(2)
	v_max_f32_e32 v13, v7, v7
	v_max_f32_e32 v22, v6, v6
	;; [unrolled: 1-line block ×4, first 2 shown]
	s_waitcnt vmcnt(0)
	v_max_f32_e32 v19, v19, v19
	v_max_f32_e32 v18, v18, v18
	;; [unrolled: 1-line block ×4, first 2 shown]
	v_med3_f32 v6, -s15, v14, s15
	v_med3_f32 v7, -s15, v15, s15
	;; [unrolled: 1-line block ×4, first 2 shown]
	v_min_f32_e32 v15, v13, v10
	v_min_f32_e32 v14, v22, v11
	v_min_f32_e32 v17, v23, v10
	v_min_f32_e32 v16, v24, v11
	v_min_f32_e32 v19, v19, v10
	v_min_f32_e32 v18, v18, v11
	v_min_f32_e32 v21, v21, v10
	v_min_f32_e32 v20, v20, v11
	v_mul_f32_e32 v13, 0xbfb8aa3b, v14
	v_mul_f32_e32 v22, 0xbfb8aa3b, v15
	;; [unrolled: 1-line block ×8, first 2 shown]
	v_fma_f32 v29, v14, s14, -v13
	v_rndne_f32_e32 v31, v13
	v_fma_f32 v32, v15, s14, -v22
	v_rndne_f32_e32 v33, v22
	;; [unrolled: 2-line block ×8, first 2 shown]
	v_fmac_f32_e32 v29, 0xb2a5705f, v14
	v_sub_f32_e32 v13, v13, v31
	v_fmac_f32_e32 v32, 0xb2a5705f, v15
	v_sub_f32_e32 v22, v22, v33
	;; [unrolled: 2-line block ×8, first 2 shown]
	v_add_f32_e32 v13, v13, v29
	v_add_f32_e32 v22, v22, v32
	;; [unrolled: 1-line block ×8, first 2 shown]
	v_cvt_i32_f32_e32 v31, v31
	v_cvt_i32_f32_e32 v33, v33
	;; [unrolled: 1-line block ×8, first 2 shown]
	v_exp_f32_e32 v13, v13
	v_exp_f32_e32 v22, v22
	;; [unrolled: 1-line block ×8, first 2 shown]
	v_ldexp_f32 v13, v13, v31
	v_ldexp_f32 v22, v22, v33
	v_cmp_nlt_f32_e32 vcc, s33, v15
	v_ldexp_f32 v23, v23, v35
	v_cmp_nlt_f32_e64 s[0:1], s33, v16
	v_ldexp_f32 v24, v24, v37
	v_cmp_nlt_f32_e64 s[2:3], s33, v17
	;; [unrolled: 2-line block ×6, first 2 shown]
	v_cmp_nlt_f32_e64 s[12:13], s33, v14
	v_cndmask_b32_e32 v22, 0, v22, vcc
	v_cmp_ngt_f32_e32 vcc, s38, v15
	v_cndmask_b32_e64 v13, 0, v13, s[12:13]
	v_cndmask_b32_e64 v23, 0, v23, s[0:1]
	v_cmp_ngt_f32_e64 s[0:1], s38, v16
	v_cndmask_b32_e64 v24, 0, v24, s[2:3]
	v_cmp_ngt_f32_e64 s[2:3], s38, v17
	;; [unrolled: 2-line block ×6, first 2 shown]
	v_cmp_ngt_f32_e64 s[12:13], s38, v14
	v_cndmask_b32_e32 v22, v12, v22, vcc
	v_cndmask_b32_e64 v23, v12, v23, s[0:1]
	v_cndmask_b32_e64 v13, v12, v13, s[12:13]
	;; [unrolled: 1-line block ×7, first 2 shown]
	v_add_f32_e32 v13, 1.0, v13
	v_add_f32_e32 v29, 1.0, v22
	;; [unrolled: 1-line block ×8, first 2 shown]
	v_rcp_f32_e32 v22, v13
	v_rcp_f32_e32 v23, v29
	;; [unrolled: 1-line block ×8, first 2 shown]
	v_med3_f32 v3, -s15, v3, s15
	v_med3_f32 v4, -s15, v4, s15
	;; [unrolled: 1-line block ×3, first 2 shown]
	v_pk_mul_f32 v[14:15], v[14:15], v[22:23]
	v_pk_mul_f32 v[16:17], v[16:17], v[24:25]
	;; [unrolled: 1-line block ×4, first 2 shown]
	;;#ASMSTART
	v_pk_mul_f32 v[2:3], v[14:15], v[2:3]
	;;#ASMEND
	;;#ASMSTART
	v_pk_mul_f32 v[4:5], v[16:17], v[4:5]
	;;#ASMEND
	;; [unrolled: 3-line block ×3, first 2 shown]
	s_nop 0
	;;#ASMSTART
	v_pk_mul_f32 v[8:9], v[20:21], v[8:9]
	;;#ASMEND
	s_load_dword s0, s[30:31], 0xc
	v_cvt_f16_f32_e32 v2, v2
	v_cvt_f16_f32_e32 v3, v3
	;; [unrolled: 1-line block ×8, first 2 shown]
	s_waitcnt lgkmcnt(0)
	s_and_b32 s0, s0, 0xffff
	s_lshl_b32 s36, s0, 3
	v_lshl_add_u64 v[0:1], s[36:37], 0, v[0:1]
	v_cmp_le_i64_e32 vcc, s[28:29], v[0:1]
	v_pack_b32_f16 v2, v2, v3
	v_pack_b32_f16 v3, v4, v5
	;; [unrolled: 1-line block ×4, first 2 shown]
	s_or_b64 s[34:35], vcc, s[34:35]
	buffer_store_dwordx4 v[2:5], v30, s[24:27], 0 offen
	s_andn2_b64 exec, exec, s[34:35]
	s_cbranch_execnz .LBB7_2
.LBB7_3:
	s_endpgm
	.section	.rodata,"a",@progbits
	.p2align	6, 0x0
	.amdhsa_kernel _ZN5aiter18act_and_mul_kernelIfDF16_TnPFfRKT_EXadL_ZNS_11silu_kernelIfEEfS3_EELi8ELb1ELi0EEEvPT0_PS2_if
		.amdhsa_group_segment_fixed_size 0
		.amdhsa_private_segment_fixed_size 0
		.amdhsa_kernarg_size 280
		.amdhsa_user_sgpr_count 2
		.amdhsa_user_sgpr_dispatch_ptr 0
		.amdhsa_user_sgpr_queue_ptr 0
		.amdhsa_user_sgpr_kernarg_segment_ptr 1
		.amdhsa_user_sgpr_dispatch_id 0
		.amdhsa_user_sgpr_kernarg_preload_length 0
		.amdhsa_user_sgpr_kernarg_preload_offset 0
		.amdhsa_user_sgpr_private_segment_size 0
		.amdhsa_uses_dynamic_stack 0
		.amdhsa_enable_private_segment 0
		.amdhsa_system_sgpr_workgroup_id_x 1
		.amdhsa_system_sgpr_workgroup_id_y 0
		.amdhsa_system_sgpr_workgroup_id_z 0
		.amdhsa_system_sgpr_workgroup_info 0
		.amdhsa_system_vgpr_workitem_id 0
		.amdhsa_next_free_vgpr 46
		.amdhsa_next_free_sgpr 39
		.amdhsa_accum_offset 48
		.amdhsa_reserve_vcc 1
		.amdhsa_float_round_mode_32 0
		.amdhsa_float_round_mode_16_64 0
		.amdhsa_float_denorm_mode_32 3
		.amdhsa_float_denorm_mode_16_64 3
		.amdhsa_dx10_clamp 1
		.amdhsa_ieee_mode 1
		.amdhsa_fp16_overflow 0
		.amdhsa_tg_split 0
		.amdhsa_exception_fp_ieee_invalid_op 0
		.amdhsa_exception_fp_denorm_src 0
		.amdhsa_exception_fp_ieee_div_zero 0
		.amdhsa_exception_fp_ieee_overflow 0
		.amdhsa_exception_fp_ieee_underflow 0
		.amdhsa_exception_fp_ieee_inexact 0
		.amdhsa_exception_int_div_zero 0
	.end_amdhsa_kernel
	.section	.text._ZN5aiter18act_and_mul_kernelIfDF16_TnPFfRKT_EXadL_ZNS_11silu_kernelIfEEfS3_EELi8ELb1ELi0EEEvPT0_PS2_if,"axG",@progbits,_ZN5aiter18act_and_mul_kernelIfDF16_TnPFfRKT_EXadL_ZNS_11silu_kernelIfEEfS3_EELi8ELb1ELi0EEEvPT0_PS2_if,comdat
.Lfunc_end7:
	.size	_ZN5aiter18act_and_mul_kernelIfDF16_TnPFfRKT_EXadL_ZNS_11silu_kernelIfEEfS3_EELi8ELb1ELi0EEEvPT0_PS2_if, .Lfunc_end7-_ZN5aiter18act_and_mul_kernelIfDF16_TnPFfRKT_EXadL_ZNS_11silu_kernelIfEEfS3_EELi8ELb1ELi0EEEvPT0_PS2_if
                                        ; -- End function
	.section	.AMDGPU.csdata,"",@progbits
; Kernel info:
; codeLenInByte = 1332
; NumSgprs: 45
; NumVgprs: 46
; NumAgprs: 0
; TotalNumVgprs: 46
; ScratchSize: 0
; MemoryBound: 0
; FloatMode: 240
; IeeeMode: 1
; LDSByteSize: 0 bytes/workgroup (compile time only)
; SGPRBlocks: 5
; VGPRBlocks: 5
; NumSGPRsForWavesPerEU: 45
; NumVGPRsForWavesPerEU: 46
; AccumOffset: 48
; Occupancy: 8
; WaveLimiterHint : 0
; COMPUTE_PGM_RSRC2:SCRATCH_EN: 0
; COMPUTE_PGM_RSRC2:USER_SGPR: 2
; COMPUTE_PGM_RSRC2:TRAP_HANDLER: 0
; COMPUTE_PGM_RSRC2:TGID_X_EN: 1
; COMPUTE_PGM_RSRC2:TGID_Y_EN: 0
; COMPUTE_PGM_RSRC2:TGID_Z_EN: 0
; COMPUTE_PGM_RSRC2:TIDIG_COMP_CNT: 0
; COMPUTE_PGM_RSRC3_GFX90A:ACCUM_OFFSET: 11
; COMPUTE_PGM_RSRC3_GFX90A:TG_SPLIT: 0
	.section	.text._ZN5aiter18act_and_mul_kernelIfDF16_TnPFfRKT_EXadL_ZNS_11silu_kernelIfEEfS3_EELi4ELb1ELi0EEEvPT0_PS2_if,"axG",@progbits,_ZN5aiter18act_and_mul_kernelIfDF16_TnPFfRKT_EXadL_ZNS_11silu_kernelIfEEfS3_EELi4ELb1ELi0EEEvPT0_PS2_if,comdat
	.protected	_ZN5aiter18act_and_mul_kernelIfDF16_TnPFfRKT_EXadL_ZNS_11silu_kernelIfEEfS3_EELi4ELb1ELi0EEEvPT0_PS2_if ; -- Begin function _ZN5aiter18act_and_mul_kernelIfDF16_TnPFfRKT_EXadL_ZNS_11silu_kernelIfEEfS3_EELi4ELb1ELi0EEEvPT0_PS2_if
	.globl	_ZN5aiter18act_and_mul_kernelIfDF16_TnPFfRKT_EXadL_ZNS_11silu_kernelIfEEfS3_EELi4ELb1ELi0EEEvPT0_PS2_if
	.p2align	8
	.type	_ZN5aiter18act_and_mul_kernelIfDF16_TnPFfRKT_EXadL_ZNS_11silu_kernelIfEEfS3_EELi4ELb1ELi0EEEvPT0_PS2_if,@function
_ZN5aiter18act_and_mul_kernelIfDF16_TnPFfRKT_EXadL_ZNS_11silu_kernelIfEEfS3_EELi4ELb1ELi0EEEvPT0_PS2_if: ; @_ZN5aiter18act_and_mul_kernelIfDF16_TnPFfRKT_EXadL_ZNS_11silu_kernelIfEEfS3_EELi4ELb1ELi0EEEvPT0_PS2_if
; %bb.0:
	s_load_dwordx2 s[6:7], s[0:1], 0x10
	v_lshlrev_b32_e32 v0, 2, v0
	s_waitcnt lgkmcnt(0)
	v_cmp_gt_i32_e32 vcc, s6, v0
	s_and_saveexec_b64 s[4:5], vcc
	s_cbranch_execz .LBB8_3
; %bb.1:
	s_load_dwordx4 s[16:19], s[0:1], 0x0
	s_ashr_i32 s21, s6, 31
	s_mul_hi_u32 s3, s6, s2
	s_mul_i32 s4, s21, s2
	s_add_i32 s3, s3, s4
	s_mul_i32 s2, s6, s2
	s_lshl_b64 s[4:5], s[2:3], 1
	s_lshl_b64 s[2:3], s[2:3], 3
	s_mov_b32 s20, s6
	s_waitcnt lgkmcnt(0)
	s_add_u32 s8, s18, s2
	s_addc_u32 s9, s19, s3
	s_lshl_b64 s[2:3], s[20:21], 2
	s_add_u32 s12, s8, s2
	s_addc_u32 s2, s9, s3
	s_lshl_b32 s10, s6, 2
	s_and_b32 s9, s9, 0xffff
	s_and_b32 s13, s2, 0xffff
	s_add_u32 s16, s16, s4
	s_addc_u32 s2, s17, s5
	s_add_i32 s3, s6, 1
	s_lshr_b32 s4, s3, 31
	s_add_i32 s3, s3, s4
	s_lshl_b32 s3, s3, 1
	s_and_b32 s18, s3, -4
	s_and_b32 s17, s2, 0xffff
	s_mov_b32 s11, 0x20000
	s_add_u32 s22, s0, 24
	s_mov_b32 s0, s7
	s_mov_b32 s19, s11
	v_mov_b32_e32 v1, 0
	s_addc_u32 s23, s1, 0
	s_mov_b64 s[24:25], 0
	s_mov_b32 s27, 0
	v_max_f32_e64 v2, s7, s7
	v_max_f32_e64 v3, s0, s0
	s_mov_b32 s6, 0xbfb8aa3b
	s_mov_b32 s28, 0x42ce8ed0
	;; [unrolled: 1-line block ×3, first 2 shown]
	v_mov_b32_e32 v4, 0x7f800000
	s_mov_b32 s14, s10
	s_mov_b32 s15, s11
.LBB8_2:                                ; =>This Inner Loop Header: Depth=1
	v_lshlrev_b32_e32 v5, 2, v0
	buffer_load_dwordx4 v[6:9], v5, s[8:11], 0 offen
	buffer_load_dwordx4 v[10:13], v5, s[12:15], 0 offen
	v_lshlrev_b32_e32 v18, 1, v0
	s_waitcnt vmcnt(1)
	v_max_f32_e32 v5, v7, v7
	v_max_f32_e32 v14, v6, v6
	s_waitcnt vmcnt(0)
	v_med3_f32 v6, -s7, v12, s7
	v_max_f32_e32 v12, v9, v9
	v_max_f32_e32 v15, v8, v8
	v_min_f32_e32 v9, v5, v2
	v_min_f32_e32 v8, v14, v3
	v_med3_f32 v7, -s7, v13, s7
	v_min_f32_e32 v13, v12, v2
	v_min_f32_e32 v12, v15, v3
	v_mul_f32_e32 v5, 0xbfb8aa3b, v8
	v_mul_f32_e32 v14, 0xbfb8aa3b, v9
	;; [unrolled: 1-line block ×4, first 2 shown]
	v_fma_f32 v17, v8, s6, -v5
	v_rndne_f32_e32 v19, v5
	v_fma_f32 v20, v9, s6, -v14
	v_rndne_f32_e32 v21, v14
	;; [unrolled: 2-line block ×4, first 2 shown]
	v_fmac_f32_e32 v17, 0xb2a5705f, v8
	v_sub_f32_e32 v5, v5, v19
	v_fmac_f32_e32 v20, 0xb2a5705f, v9
	v_sub_f32_e32 v14, v14, v21
	;; [unrolled: 2-line block ×4, first 2 shown]
	v_add_f32_e32 v5, v5, v17
	v_add_f32_e32 v14, v14, v20
	v_cvt_i32_f32_e32 v19, v19
	v_cvt_i32_f32_e32 v21, v21
	v_add_f32_e32 v15, v15, v22
	v_add_f32_e32 v16, v16, v24
	v_exp_f32_e32 v5, v5
	v_exp_f32_e32 v14, v14
	v_cvt_i32_f32_e32 v23, v23
	v_cvt_i32_f32_e32 v25, v25
	v_exp_f32_e32 v15, v15
	v_exp_f32_e32 v16, v16
	v_ldexp_f32 v5, v5, v19
	v_ldexp_f32 v14, v14, v21
	v_cmp_nlt_f32_e32 vcc, s28, v9
	v_cmp_nlt_f32_e64 s[4:5], s28, v8
	v_ldexp_f32 v15, v15, v23
	v_cmp_nlt_f32_e64 s[0:1], s28, v12
	v_ldexp_f32 v16, v16, v25
	v_cmp_nlt_f32_e64 s[2:3], s28, v13
	v_cndmask_b32_e64 v5, 0, v5, s[4:5]
	v_cndmask_b32_e32 v14, 0, v14, vcc
	v_cmp_ngt_f32_e32 vcc, s29, v9
	v_cmp_ngt_f32_e64 s[4:5], s29, v8
	v_cndmask_b32_e64 v15, 0, v15, s[0:1]
	v_cmp_ngt_f32_e64 s[0:1], s29, v12
	v_cndmask_b32_e64 v16, 0, v16, s[2:3]
	v_cmp_ngt_f32_e64 s[2:3], s29, v13
	v_cndmask_b32_e64 v5, v4, v5, s[4:5]
	v_cndmask_b32_e32 v14, v4, v14, vcc
	v_cndmask_b32_e64 v15, v4, v15, s[0:1]
	v_cndmask_b32_e64 v16, v4, v16, s[2:3]
	v_add_f32_e32 v5, 1.0, v5
	v_add_f32_e32 v17, 1.0, v14
	;; [unrolled: 1-line block ×4, first 2 shown]
	v_rcp_f32_e32 v14, v5
	v_rcp_f32_e32 v15, v17
	;; [unrolled: 1-line block ×4, first 2 shown]
	v_med3_f32 v10, -s7, v10, s7
	v_pk_mul_f32 v[8:9], v[8:9], v[14:15]
	v_med3_f32 v11, -s7, v11, s7
	v_pk_mul_f32 v[12:13], v[12:13], v[16:17]
	;;#ASMSTART
	v_pk_mul_f32 v[8:9], v[8:9], v[10:11]
	;;#ASMEND
	s_nop 0
	;;#ASMSTART
	v_pk_mul_f32 v[6:7], v[12:13], v[6:7]
	;;#ASMEND
	s_load_dword s0, s[22:23], 0xc
	v_cvt_f16_f32_e32 v5, v8
	v_cvt_f16_f32_e32 v8, v9
	;; [unrolled: 1-line block ×4, first 2 shown]
	s_waitcnt lgkmcnt(0)
	s_and_b32 s0, s0, 0xffff
	s_lshl_b32 s26, s0, 2
	v_lshl_add_u64 v[0:1], s[26:27], 0, v[0:1]
	v_cmp_le_i64_e32 vcc, s[20:21], v[0:1]
	v_pack_b32_f16 v6, v5, v8
	v_pack_b32_f16 v7, v9, v7
	s_or_b64 s[24:25], vcc, s[24:25]
	buffer_store_dwordx2 v[6:7], v18, s[16:19], 0 offen
	s_andn2_b64 exec, exec, s[24:25]
	s_cbranch_execnz .LBB8_2
.LBB8_3:
	s_endpgm
	.section	.rodata,"a",@progbits
	.p2align	6, 0x0
	.amdhsa_kernel _ZN5aiter18act_and_mul_kernelIfDF16_TnPFfRKT_EXadL_ZNS_11silu_kernelIfEEfS3_EELi4ELb1ELi0EEEvPT0_PS2_if
		.amdhsa_group_segment_fixed_size 0
		.amdhsa_private_segment_fixed_size 0
		.amdhsa_kernarg_size 280
		.amdhsa_user_sgpr_count 2
		.amdhsa_user_sgpr_dispatch_ptr 0
		.amdhsa_user_sgpr_queue_ptr 0
		.amdhsa_user_sgpr_kernarg_segment_ptr 1
		.amdhsa_user_sgpr_dispatch_id 0
		.amdhsa_user_sgpr_kernarg_preload_length 0
		.amdhsa_user_sgpr_kernarg_preload_offset 0
		.amdhsa_user_sgpr_private_segment_size 0
		.amdhsa_uses_dynamic_stack 0
		.amdhsa_enable_private_segment 0
		.amdhsa_system_sgpr_workgroup_id_x 1
		.amdhsa_system_sgpr_workgroup_id_y 0
		.amdhsa_system_sgpr_workgroup_id_z 0
		.amdhsa_system_sgpr_workgroup_info 0
		.amdhsa_system_vgpr_workitem_id 0
		.amdhsa_next_free_vgpr 26
		.amdhsa_next_free_sgpr 30
		.amdhsa_accum_offset 28
		.amdhsa_reserve_vcc 1
		.amdhsa_float_round_mode_32 0
		.amdhsa_float_round_mode_16_64 0
		.amdhsa_float_denorm_mode_32 3
		.amdhsa_float_denorm_mode_16_64 3
		.amdhsa_dx10_clamp 1
		.amdhsa_ieee_mode 1
		.amdhsa_fp16_overflow 0
		.amdhsa_tg_split 0
		.amdhsa_exception_fp_ieee_invalid_op 0
		.amdhsa_exception_fp_denorm_src 0
		.amdhsa_exception_fp_ieee_div_zero 0
		.amdhsa_exception_fp_ieee_overflow 0
		.amdhsa_exception_fp_ieee_underflow 0
		.amdhsa_exception_fp_ieee_inexact 0
		.amdhsa_exception_int_div_zero 0
	.end_amdhsa_kernel
	.section	.text._ZN5aiter18act_and_mul_kernelIfDF16_TnPFfRKT_EXadL_ZNS_11silu_kernelIfEEfS3_EELi4ELb1ELi0EEEvPT0_PS2_if,"axG",@progbits,_ZN5aiter18act_and_mul_kernelIfDF16_TnPFfRKT_EXadL_ZNS_11silu_kernelIfEEfS3_EELi4ELb1ELi0EEEvPT0_PS2_if,comdat
.Lfunc_end8:
	.size	_ZN5aiter18act_and_mul_kernelIfDF16_TnPFfRKT_EXadL_ZNS_11silu_kernelIfEEfS3_EELi4ELb1ELi0EEEvPT0_PS2_if, .Lfunc_end8-_ZN5aiter18act_and_mul_kernelIfDF16_TnPFfRKT_EXadL_ZNS_11silu_kernelIfEEfS3_EELi4ELb1ELi0EEEvPT0_PS2_if
                                        ; -- End function
	.section	.AMDGPU.csdata,"",@progbits
; Kernel info:
; codeLenInByte = 816
; NumSgprs: 36
; NumVgprs: 26
; NumAgprs: 0
; TotalNumVgprs: 26
; ScratchSize: 0
; MemoryBound: 0
; FloatMode: 240
; IeeeMode: 1
; LDSByteSize: 0 bytes/workgroup (compile time only)
; SGPRBlocks: 4
; VGPRBlocks: 3
; NumSGPRsForWavesPerEU: 36
; NumVGPRsForWavesPerEU: 26
; AccumOffset: 28
; Occupancy: 8
; WaveLimiterHint : 0
; COMPUTE_PGM_RSRC2:SCRATCH_EN: 0
; COMPUTE_PGM_RSRC2:USER_SGPR: 2
; COMPUTE_PGM_RSRC2:TRAP_HANDLER: 0
; COMPUTE_PGM_RSRC2:TGID_X_EN: 1
; COMPUTE_PGM_RSRC2:TGID_Y_EN: 0
; COMPUTE_PGM_RSRC2:TGID_Z_EN: 0
; COMPUTE_PGM_RSRC2:TIDIG_COMP_CNT: 0
; COMPUTE_PGM_RSRC3_GFX90A:ACCUM_OFFSET: 6
; COMPUTE_PGM_RSRC3_GFX90A:TG_SPLIT: 0
	.section	.text._ZN5aiter18act_and_mul_kernelIfDF16_TnPFfRKT_EXadL_ZNS_11silu_kernelIfEEfS3_EELi2ELb1ELi0EEEvPT0_PS2_if,"axG",@progbits,_ZN5aiter18act_and_mul_kernelIfDF16_TnPFfRKT_EXadL_ZNS_11silu_kernelIfEEfS3_EELi2ELb1ELi0EEEvPT0_PS2_if,comdat
	.protected	_ZN5aiter18act_and_mul_kernelIfDF16_TnPFfRKT_EXadL_ZNS_11silu_kernelIfEEfS3_EELi2ELb1ELi0EEEvPT0_PS2_if ; -- Begin function _ZN5aiter18act_and_mul_kernelIfDF16_TnPFfRKT_EXadL_ZNS_11silu_kernelIfEEfS3_EELi2ELb1ELi0EEEvPT0_PS2_if
	.globl	_ZN5aiter18act_and_mul_kernelIfDF16_TnPFfRKT_EXadL_ZNS_11silu_kernelIfEEfS3_EELi2ELb1ELi0EEEvPT0_PS2_if
	.p2align	8
	.type	_ZN5aiter18act_and_mul_kernelIfDF16_TnPFfRKT_EXadL_ZNS_11silu_kernelIfEEfS3_EELi2ELb1ELi0EEEvPT0_PS2_if,@function
_ZN5aiter18act_and_mul_kernelIfDF16_TnPFfRKT_EXadL_ZNS_11silu_kernelIfEEfS3_EELi2ELb1ELi0EEEvPT0_PS2_if: ; @_ZN5aiter18act_and_mul_kernelIfDF16_TnPFfRKT_EXadL_ZNS_11silu_kernelIfEEfS3_EELi2ELb1ELi0EEEvPT0_PS2_if
; %bb.0:
	s_load_dwordx2 s[16:17], s[0:1], 0x10
	v_lshlrev_b32_e32 v0, 1, v0
	s_waitcnt lgkmcnt(0)
	v_cmp_gt_i32_e32 vcc, s16, v0
	s_and_saveexec_b64 s[4:5], vcc
	s_cbranch_execz .LBB9_3
; %bb.1:
	s_load_dwordx4 s[12:15], s[0:1], 0x0
	s_ashr_i32 s19, s16, 31
	s_mul_hi_u32 s3, s16, s2
	s_mul_i32 s4, s19, s2
	s_add_i32 s3, s3, s4
	s_mul_i32 s2, s16, s2
	s_lshl_b64 s[10:11], s[2:3], 1
	s_lshl_b64 s[2:3], s[2:3], 3
	s_mov_b32 s18, s16
	s_waitcnt lgkmcnt(0)
	s_add_u32 s4, s14, s2
	s_addc_u32 s5, s15, s3
	s_lshl_b64 s[2:3], s[18:19], 2
	s_add_u32 s8, s4, s2
	s_addc_u32 s2, s5, s3
	s_lshl_b32 s6, s16, 2
	s_and_b32 s5, s5, 0xffff
	s_and_b32 s9, s2, 0xffff
	s_add_u32 s12, s12, s10
	s_addc_u32 s2, s13, s11
	s_add_i32 s3, s16, 1
	s_lshr_b32 s10, s3, 31
	s_add_i32 s3, s3, s10
	s_lshl_b32 s3, s3, 1
	s_and_b32 s14, s3, -4
	s_and_b32 s13, s2, 0xffff
	s_mov_b32 s7, 0x20000
	s_add_u32 s2, s0, 24
	s_mov_b32 s0, s17
	s_mov_b32 s15, s7
	v_mov_b32_e32 v1, 0
	s_addc_u32 s3, s1, 0
	s_mov_b64 s[20:21], 0
	s_mov_b32 s23, 0
	v_max_f32_e64 v2, s17, s17
	v_max_f32_e64 v3, s0, s0
	s_mov_b32 s16, 0xbfb8aa3b
	s_mov_b32 s24, 0x42ce8ed0
	;; [unrolled: 1-line block ×3, first 2 shown]
	v_mov_b32_e32 v4, 0x7f800000
	s_mov_b32 s10, s6
	s_mov_b32 s11, s7
.LBB9_2:                                ; =>This Inner Loop Header: Depth=1
	v_lshlrev_b32_e32 v5, 2, v0
	buffer_load_dwordx2 v[6:7], v5, s[4:7], 0 offen
	buffer_load_dwordx2 v[8:9], v5, s[8:11], 0 offen
	v_lshlrev_b32_e32 v5, 1, v0
	s_waitcnt vmcnt(1)
	v_max_f32_e32 v7, v7, v7
	v_max_f32_e32 v6, v6, v6
	v_min_f32_e32 v7, v7, v2
	v_min_f32_e32 v6, v6, v3
	v_mul_f32_e32 v10, 0xbfb8aa3b, v7
	v_mul_f32_e32 v11, 0xbfb8aa3b, v6
	v_fma_f32 v12, v7, s16, -v10
	v_rndne_f32_e32 v13, v10
	v_fma_f32 v14, v6, s16, -v11
	v_rndne_f32_e32 v15, v11
	v_fmac_f32_e32 v12, 0xb2a5705f, v7
	v_sub_f32_e32 v10, v10, v13
	v_fmac_f32_e32 v14, 0xb2a5705f, v6
	v_sub_f32_e32 v11, v11, v15
	v_add_f32_e32 v10, v10, v12
	v_add_f32_e32 v11, v11, v14
	v_cvt_i32_f32_e32 v13, v13
	v_cvt_i32_f32_e32 v15, v15
	v_exp_f32_e32 v10, v10
	v_exp_f32_e32 v11, v11
	v_cmp_nlt_f32_e32 vcc, s24, v6
	v_cmp_nlt_f32_e64 s[0:1], s24, v7
	v_ldexp_f32 v10, v10, v13
	v_ldexp_f32 v11, v11, v15
	v_cndmask_b32_e64 v10, 0, v10, s[0:1]
	v_cndmask_b32_e32 v11, 0, v11, vcc
	v_cmp_ngt_f32_e32 vcc, s25, v6
	v_cmp_ngt_f32_e64 s[0:1], s25, v7
	s_waitcnt vmcnt(0)
	v_med3_f32 v9, -s17, v9, s17
	v_cndmask_b32_e32 v11, v4, v11, vcc
	v_cndmask_b32_e64 v10, v4, v10, s[0:1]
	v_add_f32_e32 v10, 1.0, v10
	v_add_f32_e32 v12, 1.0, v11
	v_rcp_f32_e32 v11, v10
	v_rcp_f32_e32 v10, v12
	v_med3_f32 v8, -s17, v8, s17
	v_pk_mul_f32 v[6:7], v[6:7], v[10:11]
	s_nop 0
	;;#ASMSTART
	v_pk_mul_f32 v[6:7], v[6:7], v[8:9]
	;;#ASMEND
	s_load_dword s0, s[2:3], 0xc
	v_cvt_f16_f32_e32 v6, v6
	v_cvt_f16_f32_e32 v7, v7
	s_waitcnt lgkmcnt(0)
	s_and_b32 s0, s0, 0xffff
	s_lshl_b32 s22, s0, 1
	v_lshl_add_u64 v[0:1], s[22:23], 0, v[0:1]
	v_cmp_le_i64_e32 vcc, s[18:19], v[0:1]
	v_pack_b32_f16 v6, v6, v7
	s_or_b64 s[20:21], vcc, s[20:21]
	buffer_store_dword v6, v5, s[12:15], 0 offen
	s_andn2_b64 exec, exec, s[20:21]
	s_cbranch_execnz .LBB9_2
.LBB9_3:
	s_endpgm
	.section	.rodata,"a",@progbits
	.p2align	6, 0x0
	.amdhsa_kernel _ZN5aiter18act_and_mul_kernelIfDF16_TnPFfRKT_EXadL_ZNS_11silu_kernelIfEEfS3_EELi2ELb1ELi0EEEvPT0_PS2_if
		.amdhsa_group_segment_fixed_size 0
		.amdhsa_private_segment_fixed_size 0
		.amdhsa_kernarg_size 280
		.amdhsa_user_sgpr_count 2
		.amdhsa_user_sgpr_dispatch_ptr 0
		.amdhsa_user_sgpr_queue_ptr 0
		.amdhsa_user_sgpr_kernarg_segment_ptr 1
		.amdhsa_user_sgpr_dispatch_id 0
		.amdhsa_user_sgpr_kernarg_preload_length 0
		.amdhsa_user_sgpr_kernarg_preload_offset 0
		.amdhsa_user_sgpr_private_segment_size 0
		.amdhsa_uses_dynamic_stack 0
		.amdhsa_enable_private_segment 0
		.amdhsa_system_sgpr_workgroup_id_x 1
		.amdhsa_system_sgpr_workgroup_id_y 0
		.amdhsa_system_sgpr_workgroup_id_z 0
		.amdhsa_system_sgpr_workgroup_info 0
		.amdhsa_system_vgpr_workitem_id 0
		.amdhsa_next_free_vgpr 16
		.amdhsa_next_free_sgpr 26
		.amdhsa_accum_offset 16
		.amdhsa_reserve_vcc 1
		.amdhsa_float_round_mode_32 0
		.amdhsa_float_round_mode_16_64 0
		.amdhsa_float_denorm_mode_32 3
		.amdhsa_float_denorm_mode_16_64 3
		.amdhsa_dx10_clamp 1
		.amdhsa_ieee_mode 1
		.amdhsa_fp16_overflow 0
		.amdhsa_tg_split 0
		.amdhsa_exception_fp_ieee_invalid_op 0
		.amdhsa_exception_fp_denorm_src 0
		.amdhsa_exception_fp_ieee_div_zero 0
		.amdhsa_exception_fp_ieee_overflow 0
		.amdhsa_exception_fp_ieee_underflow 0
		.amdhsa_exception_fp_ieee_inexact 0
		.amdhsa_exception_int_div_zero 0
	.end_amdhsa_kernel
	.section	.text._ZN5aiter18act_and_mul_kernelIfDF16_TnPFfRKT_EXadL_ZNS_11silu_kernelIfEEfS3_EELi2ELb1ELi0EEEvPT0_PS2_if,"axG",@progbits,_ZN5aiter18act_and_mul_kernelIfDF16_TnPFfRKT_EXadL_ZNS_11silu_kernelIfEEfS3_EELi2ELb1ELi0EEEvPT0_PS2_if,comdat
.Lfunc_end9:
	.size	_ZN5aiter18act_and_mul_kernelIfDF16_TnPFfRKT_EXadL_ZNS_11silu_kernelIfEEfS3_EELi2ELb1ELi0EEEvPT0_PS2_if, .Lfunc_end9-_ZN5aiter18act_and_mul_kernelIfDF16_TnPFfRKT_EXadL_ZNS_11silu_kernelIfEEfS3_EELi2ELb1ELi0EEEvPT0_PS2_if
                                        ; -- End function
	.section	.AMDGPU.csdata,"",@progbits
; Kernel info:
; codeLenInByte = 568
; NumSgprs: 32
; NumVgprs: 16
; NumAgprs: 0
; TotalNumVgprs: 16
; ScratchSize: 0
; MemoryBound: 0
; FloatMode: 240
; IeeeMode: 1
; LDSByteSize: 0 bytes/workgroup (compile time only)
; SGPRBlocks: 3
; VGPRBlocks: 1
; NumSGPRsForWavesPerEU: 32
; NumVGPRsForWavesPerEU: 16
; AccumOffset: 16
; Occupancy: 8
; WaveLimiterHint : 0
; COMPUTE_PGM_RSRC2:SCRATCH_EN: 0
; COMPUTE_PGM_RSRC2:USER_SGPR: 2
; COMPUTE_PGM_RSRC2:TRAP_HANDLER: 0
; COMPUTE_PGM_RSRC2:TGID_X_EN: 1
; COMPUTE_PGM_RSRC2:TGID_Y_EN: 0
; COMPUTE_PGM_RSRC2:TGID_Z_EN: 0
; COMPUTE_PGM_RSRC2:TIDIG_COMP_CNT: 0
; COMPUTE_PGM_RSRC3_GFX90A:ACCUM_OFFSET: 3
; COMPUTE_PGM_RSRC3_GFX90A:TG_SPLIT: 0
	.section	.text._ZN5aiter18act_and_mul_kernelIfDF16_TnPFfRKT_EXadL_ZNS_11silu_kernelIfEEfS3_EELi1ELb1ELi0EEEvPT0_PS2_if,"axG",@progbits,_ZN5aiter18act_and_mul_kernelIfDF16_TnPFfRKT_EXadL_ZNS_11silu_kernelIfEEfS3_EELi1ELb1ELi0EEEvPT0_PS2_if,comdat
	.protected	_ZN5aiter18act_and_mul_kernelIfDF16_TnPFfRKT_EXadL_ZNS_11silu_kernelIfEEfS3_EELi1ELb1ELi0EEEvPT0_PS2_if ; -- Begin function _ZN5aiter18act_and_mul_kernelIfDF16_TnPFfRKT_EXadL_ZNS_11silu_kernelIfEEfS3_EELi1ELb1ELi0EEEvPT0_PS2_if
	.globl	_ZN5aiter18act_and_mul_kernelIfDF16_TnPFfRKT_EXadL_ZNS_11silu_kernelIfEEfS3_EELi1ELb1ELi0EEEvPT0_PS2_if
	.p2align	8
	.type	_ZN5aiter18act_and_mul_kernelIfDF16_TnPFfRKT_EXadL_ZNS_11silu_kernelIfEEfS3_EELi1ELb1ELi0EEEvPT0_PS2_if,@function
_ZN5aiter18act_and_mul_kernelIfDF16_TnPFfRKT_EXadL_ZNS_11silu_kernelIfEEfS3_EELi1ELb1ELi0EEEvPT0_PS2_if: ; @_ZN5aiter18act_and_mul_kernelIfDF16_TnPFfRKT_EXadL_ZNS_11silu_kernelIfEEfS3_EELi1ELb1ELi0EEEvPT0_PS2_if
; %bb.0:
	s_load_dwordx2 s[16:17], s[0:1], 0x10
	s_waitcnt lgkmcnt(0)
	v_cmp_gt_i32_e32 vcc, s16, v0
	s_and_saveexec_b64 s[4:5], vcc
	s_cbranch_execz .LBB10_3
; %bb.1:
	s_load_dwordx4 s[12:15], s[0:1], 0x0
	s_load_dword s18, s[0:1], 0x24
	s_mov_b32 s20, s17
	s_ashr_i32 s17, s16, 31
	s_mul_hi_u32 s3, s16, s2
	s_mul_i32 s4, s17, s2
	s_add_i32 s3, s3, s4
	s_mul_i32 s2, s16, s2
	s_lshl_b64 s[10:11], s[2:3], 1
	s_lshl_b64 s[2:3], s[2:3], 3
	s_waitcnt lgkmcnt(0)
	s_add_u32 s4, s14, s2
	s_addc_u32 s2, s15, s3
	s_lshl_b64 s[0:1], s[16:17], 2
	s_add_u32 s8, s4, s0
	s_addc_u32 s0, s2, s1
	s_lshl_b32 s6, s16, 2
	s_and_b32 s5, s2, 0xffff
	s_and_b32 s9, s0, 0xffff
	s_add_u32 s12, s12, s10
	s_addc_u32 s0, s13, s11
	s_add_i32 s1, s16, 1
	s_lshr_b32 s2, s1, 31
	s_add_i32 s1, s1, s2
	s_mov_b32 s7, 0x20000
	s_lshl_b32 s1, s1, 1
	s_and_b32 s2, s18, 0xffff
	s_and_b32 s14, s1, -4
	s_and_b32 s13, s0, 0xffff
	s_mov_b32 s15, s7
	s_mov_b32 s3, 0
	v_mov_b32_e32 v1, 0
	v_lshlrev_b32_e32 v2, 1, v0
	s_lshl_b32 s21, s2, 1
	v_lshlrev_b32_e32 v3, 2, v0
	s_lshl_b32 s22, s2, 2
	s_mov_b64 s[18:19], 0
	v_max_f32_e64 v4, s20, s20
	s_mov_b32 s23, 0xbfb8aa3b
	s_mov_b32 s24, 0x42ce8ed0
	;; [unrolled: 1-line block ×3, first 2 shown]
	v_mov_b32_e32 v5, 0x7f800000
	s_mov_b32 s10, s6
	s_mov_b32 s11, s7
.LBB10_2:                               ; =>This Inner Loop Header: Depth=1
	buffer_load_dword v6, v3, s[4:7], 0 offen
	buffer_load_dword v7, v3, s[8:11], 0 offen
	v_lshl_add_u64 v[0:1], v[0:1], 0, s[2:3]
	v_cmp_le_i64_e32 vcc, s[16:17], v[0:1]
	v_add_u32_e32 v3, s22, v3
	s_or_b64 s[18:19], vcc, s[18:19]
	s_waitcnt vmcnt(1)
	v_max_f32_e32 v6, v6, v6
	v_min_f32_e32 v6, v6, v4
	v_mul_f32_e32 v8, 0xbfb8aa3b, v6
	v_fma_f32 v9, v6, s23, -v8
	v_rndne_f32_e32 v10, v8
	v_fmac_f32_e32 v9, 0xb2a5705f, v6
	v_sub_f32_e32 v8, v8, v10
	v_add_f32_e32 v8, v8, v9
	v_cvt_i32_f32_e32 v10, v10
	v_exp_f32_e32 v8, v8
	v_cmp_nlt_f32_e64 s[0:1], s24, v6
	s_waitcnt vmcnt(0)
	v_med3_f32 v7, -s20, v7, s20
	v_ldexp_f32 v8, v8, v10
	v_cndmask_b32_e64 v8, 0, v8, s[0:1]
	v_cmp_ngt_f32_e64 s[0:1], s25, v6
	s_nop 1
	v_cndmask_b32_e64 v8, v5, v8, s[0:1]
	v_add_f32_e32 v8, 1.0, v8
	v_rcp_f32_e32 v8, v8
	s_nop 0
	v_mul_f32_e32 v6, v6, v8
	v_fma_mixlo_f16 v6, v7, v6, 0
	buffer_store_short v6, v2, s[12:15], 0 offen
	v_add_u32_e32 v2, s21, v2
	s_andn2_b64 exec, exec, s[18:19]
	s_cbranch_execnz .LBB10_2
.LBB10_3:
	s_endpgm
	.section	.rodata,"a",@progbits
	.p2align	6, 0x0
	.amdhsa_kernel _ZN5aiter18act_and_mul_kernelIfDF16_TnPFfRKT_EXadL_ZNS_11silu_kernelIfEEfS3_EELi1ELb1ELi0EEEvPT0_PS2_if
		.amdhsa_group_segment_fixed_size 0
		.amdhsa_private_segment_fixed_size 0
		.amdhsa_kernarg_size 280
		.amdhsa_user_sgpr_count 2
		.amdhsa_user_sgpr_dispatch_ptr 0
		.amdhsa_user_sgpr_queue_ptr 0
		.amdhsa_user_sgpr_kernarg_segment_ptr 1
		.amdhsa_user_sgpr_dispatch_id 0
		.amdhsa_user_sgpr_kernarg_preload_length 0
		.amdhsa_user_sgpr_kernarg_preload_offset 0
		.amdhsa_user_sgpr_private_segment_size 0
		.amdhsa_uses_dynamic_stack 0
		.amdhsa_enable_private_segment 0
		.amdhsa_system_sgpr_workgroup_id_x 1
		.amdhsa_system_sgpr_workgroup_id_y 0
		.amdhsa_system_sgpr_workgroup_id_z 0
		.amdhsa_system_sgpr_workgroup_info 0
		.amdhsa_system_vgpr_workitem_id 0
		.amdhsa_next_free_vgpr 11
		.amdhsa_next_free_sgpr 26
		.amdhsa_accum_offset 12
		.amdhsa_reserve_vcc 1
		.amdhsa_float_round_mode_32 0
		.amdhsa_float_round_mode_16_64 0
		.amdhsa_float_denorm_mode_32 3
		.amdhsa_float_denorm_mode_16_64 3
		.amdhsa_dx10_clamp 1
		.amdhsa_ieee_mode 1
		.amdhsa_fp16_overflow 0
		.amdhsa_tg_split 0
		.amdhsa_exception_fp_ieee_invalid_op 0
		.amdhsa_exception_fp_denorm_src 0
		.amdhsa_exception_fp_ieee_div_zero 0
		.amdhsa_exception_fp_ieee_overflow 0
		.amdhsa_exception_fp_ieee_underflow 0
		.amdhsa_exception_fp_ieee_inexact 0
		.amdhsa_exception_int_div_zero 0
	.end_amdhsa_kernel
	.section	.text._ZN5aiter18act_and_mul_kernelIfDF16_TnPFfRKT_EXadL_ZNS_11silu_kernelIfEEfS3_EELi1ELb1ELi0EEEvPT0_PS2_if,"axG",@progbits,_ZN5aiter18act_and_mul_kernelIfDF16_TnPFfRKT_EXadL_ZNS_11silu_kernelIfEEfS3_EELi1ELb1ELi0EEEvPT0_PS2_if,comdat
.Lfunc_end10:
	.size	_ZN5aiter18act_and_mul_kernelIfDF16_TnPFfRKT_EXadL_ZNS_11silu_kernelIfEEfS3_EELi1ELb1ELi0EEEvPT0_PS2_if, .Lfunc_end10-_ZN5aiter18act_and_mul_kernelIfDF16_TnPFfRKT_EXadL_ZNS_11silu_kernelIfEEfS3_EELi1ELb1ELi0EEEvPT0_PS2_if
                                        ; -- End function
	.section	.AMDGPU.csdata,"",@progbits
; Kernel info:
; codeLenInByte = 444
; NumSgprs: 32
; NumVgprs: 11
; NumAgprs: 0
; TotalNumVgprs: 11
; ScratchSize: 0
; MemoryBound: 0
; FloatMode: 240
; IeeeMode: 1
; LDSByteSize: 0 bytes/workgroup (compile time only)
; SGPRBlocks: 3
; VGPRBlocks: 1
; NumSGPRsForWavesPerEU: 32
; NumVGPRsForWavesPerEU: 11
; AccumOffset: 12
; Occupancy: 8
; WaveLimiterHint : 0
; COMPUTE_PGM_RSRC2:SCRATCH_EN: 0
; COMPUTE_PGM_RSRC2:USER_SGPR: 2
; COMPUTE_PGM_RSRC2:TRAP_HANDLER: 0
; COMPUTE_PGM_RSRC2:TGID_X_EN: 1
; COMPUTE_PGM_RSRC2:TGID_Y_EN: 0
; COMPUTE_PGM_RSRC2:TGID_Z_EN: 0
; COMPUTE_PGM_RSRC2:TIDIG_COMP_CNT: 0
; COMPUTE_PGM_RSRC3_GFX90A:ACCUM_OFFSET: 2
; COMPUTE_PGM_RSRC3_GFX90A:TG_SPLIT: 0
	.section	.text._ZN5aiter18act_and_mul_kernelIffTnPFfRKT_EXadL_ZNS_11silu_kernelIfEEfS3_EELi16ELb1ELi0EEEvPT0_PS2_if,"axG",@progbits,_ZN5aiter18act_and_mul_kernelIffTnPFfRKT_EXadL_ZNS_11silu_kernelIfEEfS3_EELi16ELb1ELi0EEEvPT0_PS2_if,comdat
	.protected	_ZN5aiter18act_and_mul_kernelIffTnPFfRKT_EXadL_ZNS_11silu_kernelIfEEfS3_EELi16ELb1ELi0EEEvPT0_PS2_if ; -- Begin function _ZN5aiter18act_and_mul_kernelIffTnPFfRKT_EXadL_ZNS_11silu_kernelIfEEfS3_EELi16ELb1ELi0EEEvPT0_PS2_if
	.globl	_ZN5aiter18act_and_mul_kernelIffTnPFfRKT_EXadL_ZNS_11silu_kernelIfEEfS3_EELi16ELb1ELi0EEEvPT0_PS2_if
	.p2align	8
	.type	_ZN5aiter18act_and_mul_kernelIffTnPFfRKT_EXadL_ZNS_11silu_kernelIfEEfS3_EELi16ELb1ELi0EEEvPT0_PS2_if,@function
_ZN5aiter18act_and_mul_kernelIffTnPFfRKT_EXadL_ZNS_11silu_kernelIfEEfS3_EELi16ELb1ELi0EEEvPT0_PS2_if: ; @_ZN5aiter18act_and_mul_kernelIffTnPFfRKT_EXadL_ZNS_11silu_kernelIfEEfS3_EELi16ELb1ELi0EEEvPT0_PS2_if
; %bb.0:
	s_load_dwordx2 s[16:17], s[0:1], 0x10
	v_lshlrev_b32_e32 v28, 4, v0
	s_waitcnt lgkmcnt(0)
	v_cmp_gt_i32_e32 vcc, s16, v28
	s_and_saveexec_b64 s[4:5], vcc
	s_cbranch_execz .LBB11_3
; %bb.1:
	s_load_dwordx4 s[12:15], s[0:1], 0x0
	s_ashr_i32 s19, s16, 31
	s_mul_hi_u32 s3, s16, s2
	s_mul_i32 s4, s19, s2
	s_add_i32 s3, s3, s4
	s_mul_i32 s2, s16, s2
	s_lshl_b64 s[4:5], s[2:3], 3
	s_mov_b32 s18, s16
	s_waitcnt lgkmcnt(0)
	s_add_u32 s4, s14, s4
	s_addc_u32 s5, s15, s5
	s_lshl_b64 s[6:7], s[18:19], 2
	s_add_u32 s8, s4, s6
	s_addc_u32 s9, s5, s7
	s_lshl_b32 s6, s16, 2
	s_and_b32 s5, s5, 0xffff
	s_and_b32 s9, s9, 0xffff
	s_lshl_b64 s[2:3], s[2:3], 2
	s_add_u32 s12, s12, s2
	s_addc_u32 s2, s13, s3
	s_and_b32 s13, s2, 0xffff
	s_mov_b32 s7, 0x20000
	s_add_u32 s0, s0, 24
	s_mov_b32 s10, s17
	v_mov_b32_e32 v29, 0
	s_addc_u32 s1, s1, 0
	s_mov_b64 s[2:3], 0
	s_mov_b32 s21, 0
	v_max_f32_e64 v30, s17, s17
	v_max_f32_e64 v31, s10, s10
	s_mov_b32 s16, 0xbfb8aa3b
	s_mov_b32 s22, 0x42ce8ed0
	;; [unrolled: 1-line block ×3, first 2 shown]
	v_mov_b32_e32 v32, 0x7f800000
	s_mov_b32 s10, s6
	s_mov_b32 s11, s7
	;; [unrolled: 1-line block ×4, first 2 shown]
.LBB11_2:                               ; =>This Inner Loop Header: Depth=1
	v_lshlrev_b32_e32 v33, 2, v28
	buffer_load_dwordx4 v[0:3], v33, s[4:7], 0 offen
	buffer_load_dwordx4 v[4:7], v33, s[4:7], 16 offen
	;; [unrolled: 1-line block ×8, first 2 shown]
	s_waitcnt vmcnt(7)
	v_max_f32_e32 v0, v0, v0
	v_min_f32_e32 v0, v0, v31
	v_mul_f32_e32 v38, 0xbfb8aa3b, v0
	v_fma_f32 v39, v0, s16, -v38
	v_rndne_f32_e32 v40, v38
	v_fmac_f32_e32 v39, 0xb2a5705f, v0
	v_sub_f32_e32 v38, v38, v40
	v_add_f32_e32 v38, v38, v39
	v_exp_f32_e32 v38, v38
	v_cvt_i32_f32_e32 v39, v40
	v_max_f32_e32 v1, v1, v1
	v_min_f32_e32 v1, v1, v30
	v_cmp_nlt_f32_e32 vcc, s22, v0
	v_ldexp_f32 v38, v38, v39
	v_mul_f32_e32 v39, 0xbfb8aa3b, v1
	v_fma_f32 v40, v1, s16, -v39
	v_rndne_f32_e32 v41, v39
	v_fmac_f32_e32 v40, 0xb2a5705f, v1
	v_sub_f32_e32 v39, v39, v41
	v_add_f32_e32 v39, v39, v40
	v_exp_f32_e32 v39, v39
	v_cvt_i32_f32_e32 v40, v41
	v_cndmask_b32_e32 v38, 0, v38, vcc
	v_cmp_ngt_f32_e32 vcc, s23, v0
	v_max_f32_e32 v2, v2, v2
	v_ldexp_f32 v39, v39, v40
	v_cndmask_b32_e32 v38, v32, v38, vcc
	v_cmp_nlt_f32_e32 vcc, s22, v1
	v_add_f32_e32 v38, 1.0, v38
	v_rcp_f32_e32 v38, v38
	v_cndmask_b32_e32 v39, 0, v39, vcc
	v_cmp_ngt_f32_e32 vcc, s23, v1
	s_waitcnt vmcnt(3)
	v_med3_f32 v34, -s17, v34, s17
	v_min_f32_e32 v2, v2, v31
	v_cndmask_b32_e32 v39, v32, v39, vcc
	v_add_f32_e32 v39, 1.0, v39
	v_rcp_f32_e32 v39, v39
	v_med3_f32 v35, -s17, v35, s17
	v_max_f32_e32 v3, v3, v3
	v_min_f32_e32 v3, v3, v30
	v_pk_mul_f32 v[0:1], v[0:1], v[38:39]
	v_cmp_nlt_f32_e32 vcc, s22, v2
	;;#ASMSTART
	v_pk_mul_f32 v[0:1], v[0:1], v[34:35]
	;;#ASMEND
	v_med3_f32 v34, -s17, v36, s17
	v_mul_f32_e32 v36, 0xbfb8aa3b, v2
	v_med3_f32 v35, -s17, v37, s17
	v_fma_f32 v37, v2, s16, -v36
	v_rndne_f32_e32 v38, v36
	v_fmac_f32_e32 v37, 0xb2a5705f, v2
	v_sub_f32_e32 v36, v36, v38
	v_add_f32_e32 v36, v36, v37
	v_exp_f32_e32 v36, v36
	v_cvt_i32_f32_e32 v37, v38
	v_max_f32_e32 v4, v4, v4
	v_min_f32_e32 v4, v4, v31
	v_max_f32_e32 v5, v5, v5
	v_ldexp_f32 v36, v36, v37
	v_mul_f32_e32 v37, 0xbfb8aa3b, v3
	v_fma_f32 v38, v3, s16, -v37
	v_rndne_f32_e32 v39, v37
	v_fmac_f32_e32 v38, 0xb2a5705f, v3
	v_sub_f32_e32 v37, v37, v39
	v_add_f32_e32 v37, v37, v38
	v_exp_f32_e32 v37, v37
	v_cvt_i32_f32_e32 v38, v39
	v_cndmask_b32_e32 v36, 0, v36, vcc
	v_cmp_ngt_f32_e32 vcc, s23, v2
	v_min_f32_e32 v5, v5, v30
	v_ldexp_f32 v37, v37, v38
	v_cndmask_b32_e32 v36, v32, v36, vcc
	v_cmp_nlt_f32_e32 vcc, s22, v3
	v_add_f32_e32 v36, 1.0, v36
	v_rcp_f32_e32 v36, v36
	v_cndmask_b32_e32 v37, 0, v37, vcc
	v_cmp_ngt_f32_e32 vcc, s23, v3
	v_max_f32_e32 v6, v6, v6
	s_waitcnt vmcnt(2)
	v_med3_f32 v24, -s17, v24, s17
	v_cndmask_b32_e32 v37, v32, v37, vcc
	v_add_f32_e32 v37, 1.0, v37
	v_rcp_f32_e32 v37, v37
	v_cmp_nlt_f32_e32 vcc, s22, v4
	v_min_f32_e32 v6, v6, v31
	v_med3_f32 v25, -s17, v25, s17
	v_pk_mul_f32 v[2:3], v[2:3], v[36:37]
	v_max_f32_e32 v7, v7, v7
	;;#ASMSTART
	v_pk_mul_f32 v[2:3], v[2:3], v[34:35]
	;;#ASMEND
	v_mul_f32_e32 v34, 0xbfb8aa3b, v4
	v_fma_f32 v35, v4, s16, -v34
	v_rndne_f32_e32 v36, v34
	v_fmac_f32_e32 v35, 0xb2a5705f, v4
	v_sub_f32_e32 v34, v34, v36
	v_add_f32_e32 v34, v34, v35
	v_exp_f32_e32 v34, v34
	v_cvt_i32_f32_e32 v35, v36
	v_min_f32_e32 v7, v7, v30
	v_max_f32_e32 v16, v16, v16
	v_min_f32_e32 v16, v16, v31
	v_ldexp_f32 v34, v34, v35
	v_mul_f32_e32 v35, 0xbfb8aa3b, v5
	v_fma_f32 v36, v5, s16, -v35
	v_rndne_f32_e32 v37, v35
	v_fmac_f32_e32 v36, 0xb2a5705f, v5
	v_sub_f32_e32 v35, v35, v37
	v_add_f32_e32 v35, v35, v36
	v_exp_f32_e32 v35, v35
	v_cvt_i32_f32_e32 v36, v37
	v_cndmask_b32_e32 v34, 0, v34, vcc
	v_cmp_ngt_f32_e32 vcc, s23, v4
	v_max_f32_e32 v17, v17, v17
	v_ldexp_f32 v35, v35, v36
	v_cndmask_b32_e32 v34, v32, v34, vcc
	v_cmp_nlt_f32_e32 vcc, s22, v5
	v_add_f32_e32 v34, 1.0, v34
	v_rcp_f32_e32 v34, v34
	v_cndmask_b32_e32 v35, 0, v35, vcc
	v_cmp_ngt_f32_e32 vcc, s23, v5
	v_min_f32_e32 v17, v17, v30
	v_max_f32_e32 v18, v18, v18
	v_cndmask_b32_e32 v35, v32, v35, vcc
	v_add_f32_e32 v35, 1.0, v35
	v_rcp_f32_e32 v35, v35
	v_cmp_nlt_f32_e32 vcc, s22, v6
	s_waitcnt vmcnt(1)
	v_med3_f32 v20, -s17, v20, s17
	v_min_f32_e32 v18, v18, v31
	v_pk_mul_f32 v[4:5], v[4:5], v[34:35]
	v_med3_f32 v21, -s17, v21, s17
	;;#ASMSTART
	v_pk_mul_f32 v[4:5], v[4:5], v[24:25]
	;;#ASMEND
	v_med3_f32 v24, -s17, v26, s17
	v_mul_f32_e32 v26, 0xbfb8aa3b, v6
	v_med3_f32 v25, -s17, v27, s17
	v_fma_f32 v27, v6, s16, -v26
	v_rndne_f32_e32 v34, v26
	v_fmac_f32_e32 v27, 0xb2a5705f, v6
	v_sub_f32_e32 v26, v26, v34
	v_add_f32_e32 v26, v26, v27
	v_exp_f32_e32 v26, v26
	v_cvt_i32_f32_e32 v27, v34
	v_max_f32_e32 v19, v19, v19
	v_min_f32_e32 v19, v19, v30
	v_max_f32_e32 v8, v8, v8
	v_ldexp_f32 v26, v26, v27
	v_mul_f32_e32 v27, 0xbfb8aa3b, v7
	v_fma_f32 v34, v7, s16, -v27
	v_rndne_f32_e32 v35, v27
	v_fmac_f32_e32 v34, 0xb2a5705f, v7
	v_sub_f32_e32 v27, v27, v35
	v_add_f32_e32 v27, v27, v34
	v_exp_f32_e32 v27, v27
	v_cvt_i32_f32_e32 v34, v35
	v_cndmask_b32_e32 v26, 0, v26, vcc
	v_cmp_ngt_f32_e32 vcc, s23, v6
	v_min_f32_e32 v8, v8, v31
	v_ldexp_f32 v27, v27, v34
	v_cndmask_b32_e32 v26, v32, v26, vcc
	v_cmp_nlt_f32_e32 vcc, s22, v7
	v_add_f32_e32 v26, 1.0, v26
	v_rcp_f32_e32 v26, v26
	v_cndmask_b32_e32 v27, 0, v27, vcc
	v_cmp_ngt_f32_e32 vcc, s23, v7
	v_max_f32_e32 v9, v9, v9
	v_min_f32_e32 v9, v9, v30
	v_cndmask_b32_e32 v27, v32, v27, vcc
	v_add_f32_e32 v27, 1.0, v27
	v_rcp_f32_e32 v27, v27
	v_cmp_nlt_f32_e32 vcc, s22, v16
	v_max_f32_e32 v10, v10, v10
	s_waitcnt vmcnt(0)
	v_med3_f32 v12, -s17, v12, s17
	v_pk_mul_f32 v[6:7], v[6:7], v[26:27]
	v_min_f32_e32 v10, v10, v31
	;;#ASMSTART
	v_pk_mul_f32 v[6:7], v[6:7], v[24:25]
	;;#ASMEND
	v_mul_f32_e32 v24, 0xbfb8aa3b, v16
	v_fma_f32 v25, v16, s16, -v24
	v_rndne_f32_e32 v26, v24
	v_fmac_f32_e32 v25, 0xb2a5705f, v16
	v_sub_f32_e32 v24, v24, v26
	v_add_f32_e32 v24, v24, v25
	v_exp_f32_e32 v24, v24
	v_cvt_i32_f32_e32 v25, v26
	v_med3_f32 v13, -s17, v13, s17
	v_max_f32_e32 v11, v11, v11
	v_min_f32_e32 v11, v11, v30
	v_ldexp_f32 v24, v24, v25
	v_mul_f32_e32 v25, 0xbfb8aa3b, v17
	v_fma_f32 v26, v17, s16, -v25
	v_rndne_f32_e32 v27, v25
	v_fmac_f32_e32 v26, 0xb2a5705f, v17
	v_sub_f32_e32 v25, v25, v27
	v_add_f32_e32 v25, v25, v26
	v_exp_f32_e32 v25, v25
	v_cvt_i32_f32_e32 v26, v27
	v_cndmask_b32_e32 v24, 0, v24, vcc
	v_cmp_ngt_f32_e32 vcc, s23, v16
	v_ldexp_f32 v25, v25, v26
	s_nop 0
	v_cndmask_b32_e32 v24, v32, v24, vcc
	v_cmp_nlt_f32_e32 vcc, s22, v17
	v_add_f32_e32 v24, 1.0, v24
	v_rcp_f32_e32 v24, v24
	v_cndmask_b32_e32 v25, 0, v25, vcc
	v_cmp_ngt_f32_e32 vcc, s23, v17
	s_nop 1
	v_cndmask_b32_e32 v25, v32, v25, vcc
	v_add_f32_e32 v25, 1.0, v25
	v_rcp_f32_e32 v25, v25
	v_cmp_nlt_f32_e32 vcc, s22, v18
	v_pk_mul_f32 v[16:17], v[16:17], v[24:25]
	s_nop 0
	;;#ASMSTART
	v_pk_mul_f32 v[16:17], v[16:17], v[20:21]
	;;#ASMEND
	v_med3_f32 v20, -s17, v22, s17
	v_mul_f32_e32 v22, 0xbfb8aa3b, v18
	v_med3_f32 v21, -s17, v23, s17
	v_fma_f32 v23, v18, s16, -v22
	v_rndne_f32_e32 v24, v22
	v_fmac_f32_e32 v23, 0xb2a5705f, v18
	v_sub_f32_e32 v22, v22, v24
	v_add_f32_e32 v22, v22, v23
	v_exp_f32_e32 v22, v22
	v_cvt_i32_f32_e32 v23, v24
	v_ldexp_f32 v22, v22, v23
	v_mul_f32_e32 v23, 0xbfb8aa3b, v19
	v_fma_f32 v24, v19, s16, -v23
	v_rndne_f32_e32 v25, v23
	v_fmac_f32_e32 v24, 0xb2a5705f, v19
	v_sub_f32_e32 v23, v23, v25
	v_add_f32_e32 v23, v23, v24
	v_exp_f32_e32 v23, v23
	v_cvt_i32_f32_e32 v24, v25
	v_cndmask_b32_e32 v22, 0, v22, vcc
	v_cmp_ngt_f32_e32 vcc, s23, v18
	v_ldexp_f32 v23, v23, v24
	s_nop 0
	v_cndmask_b32_e32 v22, v32, v22, vcc
	v_cmp_nlt_f32_e32 vcc, s22, v19
	v_add_f32_e32 v22, 1.0, v22
	v_rcp_f32_e32 v22, v22
	v_cndmask_b32_e32 v23, 0, v23, vcc
	v_cmp_ngt_f32_e32 vcc, s23, v19
	s_nop 1
	v_cndmask_b32_e32 v23, v32, v23, vcc
	v_add_f32_e32 v23, 1.0, v23
	v_rcp_f32_e32 v23, v23
	v_cmp_nlt_f32_e32 vcc, s22, v8
	v_pk_mul_f32 v[18:19], v[18:19], v[22:23]
	s_nop 0
	;;#ASMSTART
	v_pk_mul_f32 v[18:19], v[18:19], v[20:21]
	;;#ASMEND
	v_mul_f32_e32 v20, 0xbfb8aa3b, v8
	v_fma_f32 v21, v8, s16, -v20
	v_rndne_f32_e32 v22, v20
	v_fmac_f32_e32 v21, 0xb2a5705f, v8
	v_sub_f32_e32 v20, v20, v22
	v_add_f32_e32 v20, v20, v21
	v_exp_f32_e32 v20, v20
	v_cvt_i32_f32_e32 v21, v22
	v_ldexp_f32 v20, v20, v21
	v_mul_f32_e32 v21, 0xbfb8aa3b, v9
	v_fma_f32 v22, v9, s16, -v21
	v_rndne_f32_e32 v23, v21
	v_fmac_f32_e32 v22, 0xb2a5705f, v9
	v_sub_f32_e32 v21, v21, v23
	v_add_f32_e32 v21, v21, v22
	v_exp_f32_e32 v21, v21
	v_cvt_i32_f32_e32 v22, v23
	v_cndmask_b32_e32 v20, 0, v20, vcc
	v_cmp_ngt_f32_e32 vcc, s23, v8
	v_ldexp_f32 v21, v21, v22
	s_nop 0
	v_cndmask_b32_e32 v20, v32, v20, vcc
	v_cmp_nlt_f32_e32 vcc, s22, v9
	v_add_f32_e32 v20, 1.0, v20
	v_rcp_f32_e32 v20, v20
	v_cndmask_b32_e32 v21, 0, v21, vcc
	v_cmp_ngt_f32_e32 vcc, s23, v9
	s_nop 1
	v_cndmask_b32_e32 v21, v32, v21, vcc
	v_add_f32_e32 v21, 1.0, v21
	v_rcp_f32_e32 v21, v21
	v_cmp_nlt_f32_e32 vcc, s22, v10
	v_pk_mul_f32 v[8:9], v[8:9], v[20:21]
	s_nop 0
	;;#ASMSTART
	v_pk_mul_f32 v[8:9], v[8:9], v[12:13]
	;;#ASMEND
	v_med3_f32 v12, -s17, v14, s17
	v_mul_f32_e32 v14, 0xbfb8aa3b, v10
	v_med3_f32 v13, -s17, v15, s17
	v_fma_f32 v15, v10, s16, -v14
	v_rndne_f32_e32 v20, v14
	v_fmac_f32_e32 v15, 0xb2a5705f, v10
	v_sub_f32_e32 v14, v14, v20
	v_add_f32_e32 v14, v14, v15
	v_exp_f32_e32 v14, v14
	v_cvt_i32_f32_e32 v15, v20
	v_ldexp_f32 v14, v14, v15
	v_mul_f32_e32 v15, 0xbfb8aa3b, v11
	v_fma_f32 v20, v11, s16, -v15
	v_rndne_f32_e32 v21, v15
	v_fmac_f32_e32 v20, 0xb2a5705f, v11
	v_sub_f32_e32 v15, v15, v21
	v_add_f32_e32 v15, v15, v20
	v_exp_f32_e32 v15, v15
	v_cvt_i32_f32_e32 v20, v21
	v_cndmask_b32_e32 v14, 0, v14, vcc
	v_cmp_ngt_f32_e32 vcc, s23, v10
	v_ldexp_f32 v15, v15, v20
	s_nop 0
	v_cndmask_b32_e32 v14, v32, v14, vcc
	v_cmp_nlt_f32_e32 vcc, s22, v11
	v_add_f32_e32 v14, 1.0, v14
	v_rcp_f32_e32 v14, v14
	v_cndmask_b32_e32 v15, 0, v15, vcc
	v_cmp_ngt_f32_e32 vcc, s23, v11
	s_nop 1
	v_cndmask_b32_e32 v15, v32, v15, vcc
	v_add_f32_e32 v15, 1.0, v15
	v_rcp_f32_e32 v15, v15
	s_nop 0
	v_pk_mul_f32 v[10:11], v[10:11], v[14:15]
	s_nop 0
	;;#ASMSTART
	v_pk_mul_f32 v[10:11], v[10:11], v[12:13]
	;;#ASMEND
	buffer_store_dwordx4 v[0:3], v33, s[12:15], 0 offen
	buffer_store_dwordx4 v[4:7], v33, s[12:15], 16 offen
	;; [unrolled: 1-line block ×4, first 2 shown]
	s_load_dword s20, s[0:1], 0xc
	s_waitcnt lgkmcnt(0)
	s_and_b32 s20, s20, 0xffff
	s_lshl_b32 s20, s20, 4
	v_lshl_add_u64 v[28:29], s[20:21], 0, v[28:29]
	v_cmp_le_i64_e32 vcc, s[18:19], v[28:29]
	s_or_b64 s[2:3], vcc, s[2:3]
	s_andn2_b64 exec, exec, s[2:3]
	s_cbranch_execnz .LBB11_2
.LBB11_3:
	s_endpgm
	.section	.rodata,"a",@progbits
	.p2align	6, 0x0
	.amdhsa_kernel _ZN5aiter18act_and_mul_kernelIffTnPFfRKT_EXadL_ZNS_11silu_kernelIfEEfS3_EELi16ELb1ELi0EEEvPT0_PS2_if
		.amdhsa_group_segment_fixed_size 0
		.amdhsa_private_segment_fixed_size 0
		.amdhsa_kernarg_size 280
		.amdhsa_user_sgpr_count 2
		.amdhsa_user_sgpr_dispatch_ptr 0
		.amdhsa_user_sgpr_queue_ptr 0
		.amdhsa_user_sgpr_kernarg_segment_ptr 1
		.amdhsa_user_sgpr_dispatch_id 0
		.amdhsa_user_sgpr_kernarg_preload_length 0
		.amdhsa_user_sgpr_kernarg_preload_offset 0
		.amdhsa_user_sgpr_private_segment_size 0
		.amdhsa_uses_dynamic_stack 0
		.amdhsa_enable_private_segment 0
		.amdhsa_system_sgpr_workgroup_id_x 1
		.amdhsa_system_sgpr_workgroup_id_y 0
		.amdhsa_system_sgpr_workgroup_id_z 0
		.amdhsa_system_sgpr_workgroup_info 0
		.amdhsa_system_vgpr_workitem_id 0
		.amdhsa_next_free_vgpr 42
		.amdhsa_next_free_sgpr 24
		.amdhsa_accum_offset 44
		.amdhsa_reserve_vcc 1
		.amdhsa_float_round_mode_32 0
		.amdhsa_float_round_mode_16_64 0
		.amdhsa_float_denorm_mode_32 3
		.amdhsa_float_denorm_mode_16_64 3
		.amdhsa_dx10_clamp 1
		.amdhsa_ieee_mode 1
		.amdhsa_fp16_overflow 0
		.amdhsa_tg_split 0
		.amdhsa_exception_fp_ieee_invalid_op 0
		.amdhsa_exception_fp_denorm_src 0
		.amdhsa_exception_fp_ieee_div_zero 0
		.amdhsa_exception_fp_ieee_overflow 0
		.amdhsa_exception_fp_ieee_underflow 0
		.amdhsa_exception_fp_ieee_inexact 0
		.amdhsa_exception_int_div_zero 0
	.end_amdhsa_kernel
	.section	.text._ZN5aiter18act_and_mul_kernelIffTnPFfRKT_EXadL_ZNS_11silu_kernelIfEEfS3_EELi16ELb1ELi0EEEvPT0_PS2_if,"axG",@progbits,_ZN5aiter18act_and_mul_kernelIffTnPFfRKT_EXadL_ZNS_11silu_kernelIfEEfS3_EELi16ELb1ELi0EEEvPT0_PS2_if,comdat
.Lfunc_end11:
	.size	_ZN5aiter18act_and_mul_kernelIffTnPFfRKT_EXadL_ZNS_11silu_kernelIfEEfS3_EELi16ELb1ELi0EEEvPT0_PS2_if, .Lfunc_end11-_ZN5aiter18act_and_mul_kernelIffTnPFfRKT_EXadL_ZNS_11silu_kernelIfEEfS3_EELi16ELb1ELi0EEEvPT0_PS2_if
                                        ; -- End function
	.section	.AMDGPU.csdata,"",@progbits
; Kernel info:
; codeLenInByte = 2048
; NumSgprs: 30
; NumVgprs: 42
; NumAgprs: 0
; TotalNumVgprs: 42
; ScratchSize: 0
; MemoryBound: 0
; FloatMode: 240
; IeeeMode: 1
; LDSByteSize: 0 bytes/workgroup (compile time only)
; SGPRBlocks: 3
; VGPRBlocks: 5
; NumSGPRsForWavesPerEU: 30
; NumVGPRsForWavesPerEU: 42
; AccumOffset: 44
; Occupancy: 8
; WaveLimiterHint : 0
; COMPUTE_PGM_RSRC2:SCRATCH_EN: 0
; COMPUTE_PGM_RSRC2:USER_SGPR: 2
; COMPUTE_PGM_RSRC2:TRAP_HANDLER: 0
; COMPUTE_PGM_RSRC2:TGID_X_EN: 1
; COMPUTE_PGM_RSRC2:TGID_Y_EN: 0
; COMPUTE_PGM_RSRC2:TGID_Z_EN: 0
; COMPUTE_PGM_RSRC2:TIDIG_COMP_CNT: 0
; COMPUTE_PGM_RSRC3_GFX90A:ACCUM_OFFSET: 10
; COMPUTE_PGM_RSRC3_GFX90A:TG_SPLIT: 0
	.section	.text._ZN5aiter18act_and_mul_kernelIffTnPFfRKT_EXadL_ZNS_11silu_kernelIfEEfS3_EELi8ELb1ELi0EEEvPT0_PS2_if,"axG",@progbits,_ZN5aiter18act_and_mul_kernelIffTnPFfRKT_EXadL_ZNS_11silu_kernelIfEEfS3_EELi8ELb1ELi0EEEvPT0_PS2_if,comdat
	.protected	_ZN5aiter18act_and_mul_kernelIffTnPFfRKT_EXadL_ZNS_11silu_kernelIfEEfS3_EELi8ELb1ELi0EEEvPT0_PS2_if ; -- Begin function _ZN5aiter18act_and_mul_kernelIffTnPFfRKT_EXadL_ZNS_11silu_kernelIfEEfS3_EELi8ELb1ELi0EEEvPT0_PS2_if
	.globl	_ZN5aiter18act_and_mul_kernelIffTnPFfRKT_EXadL_ZNS_11silu_kernelIfEEfS3_EELi8ELb1ELi0EEEvPT0_PS2_if
	.p2align	8
	.type	_ZN5aiter18act_and_mul_kernelIffTnPFfRKT_EXadL_ZNS_11silu_kernelIfEEfS3_EELi8ELb1ELi0EEEvPT0_PS2_if,@function
_ZN5aiter18act_and_mul_kernelIffTnPFfRKT_EXadL_ZNS_11silu_kernelIfEEfS3_EELi8ELb1ELi0EEEvPT0_PS2_if: ; @_ZN5aiter18act_and_mul_kernelIffTnPFfRKT_EXadL_ZNS_11silu_kernelIfEEfS3_EELi8ELb1ELi0EEEvPT0_PS2_if
; %bb.0:
	s_load_dwordx2 s[14:15], s[0:1], 0x10
	v_lshlrev_b32_e32 v8, 3, v0
	s_waitcnt lgkmcnt(0)
	v_cmp_gt_i32_e32 vcc, s14, v8
	s_and_saveexec_b64 s[4:5], vcc
	s_cbranch_execz .LBB12_3
; %bb.1:
	s_load_dwordx4 s[4:7], s[0:1], 0x0
	s_ashr_i32 s29, s14, 31
	s_mul_hi_u32 s3, s14, s2
	s_mul_i32 s8, s29, s2
	s_add_i32 s3, s3, s8
	s_mul_i32 s2, s14, s2
	s_lshl_b64 s[8:9], s[2:3], 3
	s_mov_b32 s28, s14
	s_waitcnt lgkmcnt(0)
	s_add_u32 s16, s6, s8
	s_addc_u32 s8, s7, s9
	s_lshl_b64 s[6:7], s[28:29], 2
	s_add_u32 s20, s16, s6
	s_addc_u32 s6, s8, s7
	s_lshl_b32 s18, s14, 2
	s_and_b32 s17, s8, 0xffff
	s_and_b32 s21, s6, 0xffff
	s_lshl_b64 s[2:3], s[2:3], 2
	s_add_u32 s24, s4, s2
	s_addc_u32 s2, s5, s3
	s_and_b32 s25, s2, 0xffff
	s_mov_b32 s19, 0x20000
	s_add_u32 s30, s0, 24
	s_mov_b32 s0, s15
	v_mov_b32_e32 v9, 0
	s_addc_u32 s31, s1, 0
	s_mov_b64 s[34:35], 0
	s_mov_b32 s37, 0
	v_max_f32_e64 v18, s15, s15
	v_max_f32_e64 v19, s0, s0
	s_mov_b32 s14, 0xbfb8aa3b
	s_mov_b32 s33, 0x42ce8ed0
	;; [unrolled: 1-line block ×3, first 2 shown]
	v_mov_b32_e32 v20, 0x7f800000
	s_mov_b32 s22, s18
	s_mov_b32 s23, s19
	;; [unrolled: 1-line block ×4, first 2 shown]
.LBB12_2:                               ; =>This Inner Loop Header: Depth=1
	v_lshlrev_b32_e32 v21, 2, v8
	buffer_load_dwordx4 v[10:13], v21, s[20:23], 0 offen
	buffer_load_dwordx4 v[14:17], v21, s[16:19], 0 offen
	;; [unrolled: 1-line block ×4, first 2 shown]
	s_waitcnt vmcnt(3)
	v_med3_f32 v10, -s15, v10, s15
	s_waitcnt vmcnt(2)
	v_max_f32_e32 v15, v15, v15
	v_max_f32_e32 v14, v14, v14
	;; [unrolled: 1-line block ×4, first 2 shown]
	s_waitcnt vmcnt(0)
	v_max_f32_e32 v22, v1, v1
	v_max_f32_e32 v23, v0, v0
	v_med3_f32 v0, -s15, v6, s15
	v_max_f32_e32 v6, v3, v3
	v_max_f32_e32 v24, v2, v2
	v_min_f32_e32 v3, v15, v18
	v_min_f32_e32 v2, v14, v19
	v_med3_f32 v1, -s15, v7, s15
	v_min_f32_e32 v15, v17, v18
	v_min_f32_e32 v14, v16, v19
	;; [unrolled: 1-line block ×6, first 2 shown]
	v_mul_f32_e32 v22, 0xbfb8aa3b, v2
	v_mul_f32_e32 v23, 0xbfb8aa3b, v3
	;; [unrolled: 1-line block ×8, first 2 shown]
	v_fma_f32 v30, v2, s14, -v22
	v_rndne_f32_e32 v31, v22
	v_fma_f32 v32, v3, s14, -v23
	v_rndne_f32_e32 v33, v23
	;; [unrolled: 2-line block ×8, first 2 shown]
	v_fmac_f32_e32 v30, 0xb2a5705f, v2
	v_sub_f32_e32 v22, v22, v31
	v_fmac_f32_e32 v32, 0xb2a5705f, v3
	v_sub_f32_e32 v23, v23, v33
	;; [unrolled: 2-line block ×8, first 2 shown]
	v_add_f32_e32 v22, v22, v30
	v_add_f32_e32 v23, v23, v32
	v_cvt_i32_f32_e32 v31, v31
	v_cvt_i32_f32_e32 v33, v33
	v_add_f32_e32 v24, v24, v34
	v_add_f32_e32 v25, v25, v36
	;; [unrolled: 1-line block ×6, first 2 shown]
	v_exp_f32_e32 v22, v22
	v_exp_f32_e32 v23, v23
	v_cvt_i32_f32_e32 v35, v35
	v_cvt_i32_f32_e32 v37, v37
	;; [unrolled: 1-line block ×6, first 2 shown]
	v_exp_f32_e32 v24, v24
	v_exp_f32_e32 v25, v25
	;; [unrolled: 1-line block ×6, first 2 shown]
	v_ldexp_f32 v22, v22, v31
	v_ldexp_f32 v23, v23, v33
	v_cmp_nlt_f32_e32 vcc, s33, v3
	v_cmp_nlt_f32_e64 s[12:13], s33, v2
	v_ldexp_f32 v24, v24, v35
	v_cmp_nlt_f32_e64 s[0:1], s33, v14
	v_ldexp_f32 v25, v25, v37
	;; [unrolled: 2-line block ×6, first 2 shown]
	v_cmp_nlt_f32_e64 s[10:11], s33, v7
	v_cndmask_b32_e64 v22, 0, v22, s[12:13]
	v_cndmask_b32_e32 v23, 0, v23, vcc
	v_cmp_ngt_f32_e32 vcc, s38, v3
	v_cmp_ngt_f32_e64 s[12:13], s38, v2
	v_cndmask_b32_e64 v24, 0, v24, s[0:1]
	v_cmp_ngt_f32_e64 s[0:1], s38, v14
	v_cndmask_b32_e64 v25, 0, v25, s[2:3]
	;; [unrolled: 2-line block ×7, first 2 shown]
	v_cndmask_b32_e32 v23, v20, v23, vcc
	v_cndmask_b32_e64 v24, v20, v24, s[0:1]
	v_cndmask_b32_e64 v25, v20, v25, s[2:3]
	;; [unrolled: 1-line block ×6, first 2 shown]
	v_add_f32_e32 v22, 1.0, v22
	v_add_f32_e32 v23, 1.0, v23
	v_add_f32_e32 v24, 1.0, v24
	v_add_f32_e32 v25, 1.0, v25
	v_add_f32_e32 v26, 1.0, v26
	v_add_f32_e32 v27, 1.0, v27
	v_add_f32_e32 v28, 1.0, v28
	v_add_f32_e32 v29, 1.0, v29
	v_rcp_f32_e32 v22, v22
	v_rcp_f32_e32 v23, v23
	;; [unrolled: 1-line block ×8, first 2 shown]
	v_med3_f32 v11, -s15, v11, s15
	v_med3_f32 v12, -s15, v12, s15
	;; [unrolled: 1-line block ×5, first 2 shown]
	v_pk_mul_f32 v[2:3], v[2:3], v[22:23]
	v_pk_mul_f32 v[14:15], v[14:15], v[24:25]
	;; [unrolled: 1-line block ×4, first 2 shown]
	;;#ASMSTART
	v_pk_mul_f32 v[10:11], v[2:3], v[10:11]
	;;#ASMEND
	;;#ASMSTART
	v_pk_mul_f32 v[12:13], v[14:15], v[12:13]
	;;#ASMEND
	;; [unrolled: 3-line block ×3, first 2 shown]
	s_nop 0
	;;#ASMSTART
	v_pk_mul_f32 v[4:5], v[6:7], v[0:1]
	;;#ASMEND
	s_load_dword s0, s[30:31], 0xc
	buffer_store_dwordx4 v[10:13], v21, s[24:27], 0 offen
	buffer_store_dwordx4 v[2:5], v21, s[24:27], 16 offen
	s_waitcnt lgkmcnt(0)
	s_and_b32 s0, s0, 0xffff
	s_lshl_b32 s36, s0, 3
	v_lshl_add_u64 v[8:9], s[36:37], 0, v[8:9]
	v_cmp_le_i64_e32 vcc, s[28:29], v[8:9]
	s_or_b64 s[34:35], vcc, s[34:35]
	s_andn2_b64 exec, exec, s[34:35]
	s_cbranch_execnz .LBB12_2
.LBB12_3:
	s_endpgm
	.section	.rodata,"a",@progbits
	.p2align	6, 0x0
	.amdhsa_kernel _ZN5aiter18act_and_mul_kernelIffTnPFfRKT_EXadL_ZNS_11silu_kernelIfEEfS3_EELi8ELb1ELi0EEEvPT0_PS2_if
		.amdhsa_group_segment_fixed_size 0
		.amdhsa_private_segment_fixed_size 0
		.amdhsa_kernarg_size 280
		.amdhsa_user_sgpr_count 2
		.amdhsa_user_sgpr_dispatch_ptr 0
		.amdhsa_user_sgpr_queue_ptr 0
		.amdhsa_user_sgpr_kernarg_segment_ptr 1
		.amdhsa_user_sgpr_dispatch_id 0
		.amdhsa_user_sgpr_kernarg_preload_length 0
		.amdhsa_user_sgpr_kernarg_preload_offset 0
		.amdhsa_user_sgpr_private_segment_size 0
		.amdhsa_uses_dynamic_stack 0
		.amdhsa_enable_private_segment 0
		.amdhsa_system_sgpr_workgroup_id_x 1
		.amdhsa_system_sgpr_workgroup_id_y 0
		.amdhsa_system_sgpr_workgroup_id_z 0
		.amdhsa_system_sgpr_workgroup_info 0
		.amdhsa_system_vgpr_workitem_id 0
		.amdhsa_next_free_vgpr 46
		.amdhsa_next_free_sgpr 39
		.amdhsa_accum_offset 48
		.amdhsa_reserve_vcc 1
		.amdhsa_float_round_mode_32 0
		.amdhsa_float_round_mode_16_64 0
		.amdhsa_float_denorm_mode_32 3
		.amdhsa_float_denorm_mode_16_64 3
		.amdhsa_dx10_clamp 1
		.amdhsa_ieee_mode 1
		.amdhsa_fp16_overflow 0
		.amdhsa_tg_split 0
		.amdhsa_exception_fp_ieee_invalid_op 0
		.amdhsa_exception_fp_denorm_src 0
		.amdhsa_exception_fp_ieee_div_zero 0
		.amdhsa_exception_fp_ieee_overflow 0
		.amdhsa_exception_fp_ieee_underflow 0
		.amdhsa_exception_fp_ieee_inexact 0
		.amdhsa_exception_int_div_zero 0
	.end_amdhsa_kernel
	.section	.text._ZN5aiter18act_and_mul_kernelIffTnPFfRKT_EXadL_ZNS_11silu_kernelIfEEfS3_EELi8ELb1ELi0EEEvPT0_PS2_if,"axG",@progbits,_ZN5aiter18act_and_mul_kernelIffTnPFfRKT_EXadL_ZNS_11silu_kernelIfEEfS3_EELi8ELb1ELi0EEEvPT0_PS2_if,comdat
.Lfunc_end12:
	.size	_ZN5aiter18act_and_mul_kernelIffTnPFfRKT_EXadL_ZNS_11silu_kernelIfEEfS3_EELi8ELb1ELi0EEEvPT0_PS2_if, .Lfunc_end12-_ZN5aiter18act_and_mul_kernelIffTnPFfRKT_EXadL_ZNS_11silu_kernelIfEEfS3_EELi8ELb1ELi0EEEvPT0_PS2_if
                                        ; -- End function
	.section	.AMDGPU.csdata,"",@progbits
; Kernel info:
; codeLenInByte = 1256
; NumSgprs: 45
; NumVgprs: 46
; NumAgprs: 0
; TotalNumVgprs: 46
; ScratchSize: 0
; MemoryBound: 0
; FloatMode: 240
; IeeeMode: 1
; LDSByteSize: 0 bytes/workgroup (compile time only)
; SGPRBlocks: 5
; VGPRBlocks: 5
; NumSGPRsForWavesPerEU: 45
; NumVGPRsForWavesPerEU: 46
; AccumOffset: 48
; Occupancy: 8
; WaveLimiterHint : 0
; COMPUTE_PGM_RSRC2:SCRATCH_EN: 0
; COMPUTE_PGM_RSRC2:USER_SGPR: 2
; COMPUTE_PGM_RSRC2:TRAP_HANDLER: 0
; COMPUTE_PGM_RSRC2:TGID_X_EN: 1
; COMPUTE_PGM_RSRC2:TGID_Y_EN: 0
; COMPUTE_PGM_RSRC2:TGID_Z_EN: 0
; COMPUTE_PGM_RSRC2:TIDIG_COMP_CNT: 0
; COMPUTE_PGM_RSRC3_GFX90A:ACCUM_OFFSET: 11
; COMPUTE_PGM_RSRC3_GFX90A:TG_SPLIT: 0
	.section	.text._ZN5aiter18act_and_mul_kernelIffTnPFfRKT_EXadL_ZNS_11silu_kernelIfEEfS3_EELi4ELb1ELi0EEEvPT0_PS2_if,"axG",@progbits,_ZN5aiter18act_and_mul_kernelIffTnPFfRKT_EXadL_ZNS_11silu_kernelIfEEfS3_EELi4ELb1ELi0EEEvPT0_PS2_if,comdat
	.protected	_ZN5aiter18act_and_mul_kernelIffTnPFfRKT_EXadL_ZNS_11silu_kernelIfEEfS3_EELi4ELb1ELi0EEEvPT0_PS2_if ; -- Begin function _ZN5aiter18act_and_mul_kernelIffTnPFfRKT_EXadL_ZNS_11silu_kernelIfEEfS3_EELi4ELb1ELi0EEEvPT0_PS2_if
	.globl	_ZN5aiter18act_and_mul_kernelIffTnPFfRKT_EXadL_ZNS_11silu_kernelIfEEfS3_EELi4ELb1ELi0EEEvPT0_PS2_if
	.p2align	8
	.type	_ZN5aiter18act_and_mul_kernelIffTnPFfRKT_EXadL_ZNS_11silu_kernelIfEEfS3_EELi4ELb1ELi0EEEvPT0_PS2_if,@function
_ZN5aiter18act_and_mul_kernelIffTnPFfRKT_EXadL_ZNS_11silu_kernelIfEEfS3_EELi4ELb1ELi0EEEvPT0_PS2_if: ; @_ZN5aiter18act_and_mul_kernelIffTnPFfRKT_EXadL_ZNS_11silu_kernelIfEEfS3_EELi4ELb1ELi0EEEvPT0_PS2_if
; %bb.0:
	s_load_dwordx2 s[6:7], s[0:1], 0x10
	v_lshlrev_b32_e32 v0, 2, v0
	s_waitcnt lgkmcnt(0)
	v_cmp_gt_i32_e32 vcc, s6, v0
	s_and_saveexec_b64 s[4:5], vcc
	s_cbranch_execz .LBB13_3
; %bb.1:
	s_load_dwordx4 s[16:19], s[0:1], 0x0
	s_ashr_i32 s21, s6, 31
	s_mul_hi_u32 s3, s6, s2
	s_mul_i32 s4, s21, s2
	s_add_i32 s3, s3, s4
	s_mul_i32 s2, s6, s2
	s_lshl_b64 s[4:5], s[2:3], 3
	s_mov_b32 s20, s6
	s_waitcnt lgkmcnt(0)
	s_add_u32 s8, s18, s4
	s_addc_u32 s9, s19, s5
	s_lshl_b64 s[4:5], s[20:21], 2
	s_add_u32 s12, s8, s4
	s_addc_u32 s4, s9, s5
	s_lshl_b32 s10, s6, 2
	s_and_b32 s9, s9, 0xffff
	s_and_b32 s13, s4, 0xffff
	s_lshl_b64 s[2:3], s[2:3], 2
	s_add_u32 s16, s16, s2
	s_addc_u32 s2, s17, s3
	s_and_b32 s17, s2, 0xffff
	s_mov_b32 s11, 0x20000
	s_add_u32 s22, s0, 24
	s_mov_b32 s0, s7
	v_mov_b32_e32 v1, 0
	s_addc_u32 s23, s1, 0
	s_mov_b64 s[24:25], 0
	s_mov_b32 s27, 0
	v_max_f32_e64 v4, s7, s7
	v_max_f32_e64 v5, s0, s0
	s_mov_b32 s6, 0xbfb8aa3b
	s_mov_b32 s28, 0x42ce8ed0
	s_mov_b32 s29, 0xc2b17218
	v_mov_b32_e32 v6, 0x7f800000
	s_mov_b32 s14, s10
	s_mov_b32 s15, s11
	;; [unrolled: 1-line block ×4, first 2 shown]
.LBB13_2:                               ; =>This Inner Loop Header: Depth=1
	v_lshlrev_b32_e32 v7, 2, v0
	buffer_load_dwordx4 v[8:11], v7, s[8:11], 0 offen
	buffer_load_dwordx4 v[12:15], v7, s[12:15], 0 offen
	s_waitcnt vmcnt(1)
	v_max_f32_e32 v9, v9, v9
	v_max_f32_e32 v8, v8, v8
	;; [unrolled: 1-line block ×4, first 2 shown]
	v_min_f32_e32 v9, v9, v4
	v_min_f32_e32 v8, v8, v5
	;; [unrolled: 1-line block ×4, first 2 shown]
	s_waitcnt vmcnt(0)
	v_med3_f32 v2, -s7, v12, s7
	v_med3_f32 v3, -s7, v13, s7
	;; [unrolled: 1-line block ×4, first 2 shown]
	v_mul_f32_e32 v14, 0xbfb8aa3b, v8
	v_mul_f32_e32 v15, 0xbfb8aa3b, v9
	;; [unrolled: 1-line block ×4, first 2 shown]
	v_fma_f32 v18, v8, s6, -v14
	v_rndne_f32_e32 v19, v14
	v_fma_f32 v20, v9, s6, -v15
	v_rndne_f32_e32 v21, v15
	v_fma_f32 v22, v10, s6, -v16
	v_rndne_f32_e32 v23, v16
	v_fma_f32 v24, v11, s6, -v17
	v_rndne_f32_e32 v25, v17
	v_fmac_f32_e32 v18, 0xb2a5705f, v8
	v_sub_f32_e32 v14, v14, v19
	v_fmac_f32_e32 v20, 0xb2a5705f, v9
	v_sub_f32_e32 v15, v15, v21
	;; [unrolled: 2-line block ×4, first 2 shown]
	v_add_f32_e32 v14, v14, v18
	v_add_f32_e32 v15, v15, v20
	;; [unrolled: 1-line block ×4, first 2 shown]
	v_cvt_i32_f32_e32 v19, v19
	v_cvt_i32_f32_e32 v21, v21
	;; [unrolled: 1-line block ×4, first 2 shown]
	v_exp_f32_e32 v14, v14
	v_exp_f32_e32 v15, v15
	;; [unrolled: 1-line block ×4, first 2 shown]
	v_ldexp_f32 v14, v14, v19
	v_ldexp_f32 v15, v15, v21
	v_cmp_nlt_f32_e32 vcc, s28, v9
	v_ldexp_f32 v16, v16, v23
	v_cmp_nlt_f32_e64 s[0:1], s28, v10
	v_ldexp_f32 v17, v17, v25
	v_cmp_nlt_f32_e64 s[2:3], s28, v11
	v_cmp_nlt_f32_e64 s[4:5], s28, v8
	v_cndmask_b32_e32 v15, 0, v15, vcc
	v_cmp_ngt_f32_e32 vcc, s29, v9
	v_cndmask_b32_e64 v14, 0, v14, s[4:5]
	v_cndmask_b32_e64 v16, 0, v16, s[0:1]
	v_cmp_ngt_f32_e64 s[0:1], s29, v10
	v_cndmask_b32_e64 v17, 0, v17, s[2:3]
	v_cmp_ngt_f32_e64 s[2:3], s29, v11
	v_cmp_ngt_f32_e64 s[4:5], s29, v8
	v_cndmask_b32_e32 v15, v6, v15, vcc
	v_cndmask_b32_e64 v16, v6, v16, s[0:1]
	v_cndmask_b32_e64 v14, v6, v14, s[4:5]
	;; [unrolled: 1-line block ×3, first 2 shown]
	v_add_f32_e32 v14, 1.0, v14
	v_add_f32_e32 v15, 1.0, v15
	;; [unrolled: 1-line block ×4, first 2 shown]
	v_rcp_f32_e32 v14, v14
	v_rcp_f32_e32 v15, v15
	;; [unrolled: 1-line block ×4, first 2 shown]
	v_pk_mul_f32 v[8:9], v[8:9], v[14:15]
	s_nop 0
	;;#ASMSTART
	v_pk_mul_f32 v[8:9], v[8:9], v[2:3]
	;;#ASMEND
	v_pk_mul_f32 v[10:11], v[10:11], v[16:17]
	s_nop 0
	;;#ASMSTART
	v_pk_mul_f32 v[10:11], v[10:11], v[12:13]
	;;#ASMEND
	s_load_dword s0, s[22:23], 0xc
	buffer_store_dwordx4 v[8:11], v7, s[16:19], 0 offen
	s_waitcnt lgkmcnt(0)
	s_and_b32 s0, s0, 0xffff
	s_lshl_b32 s26, s0, 2
	v_lshl_add_u64 v[0:1], s[26:27], 0, v[0:1]
	v_cmp_le_i64_e32 vcc, s[20:21], v[0:1]
	s_or_b64 s[24:25], vcc, s[24:25]
	s_andn2_b64 exec, exec, s[24:25]
	s_cbranch_execnz .LBB13_2
.LBB13_3:
	s_endpgm
	.section	.rodata,"a",@progbits
	.p2align	6, 0x0
	.amdhsa_kernel _ZN5aiter18act_and_mul_kernelIffTnPFfRKT_EXadL_ZNS_11silu_kernelIfEEfS3_EELi4ELb1ELi0EEEvPT0_PS2_if
		.amdhsa_group_segment_fixed_size 0
		.amdhsa_private_segment_fixed_size 0
		.amdhsa_kernarg_size 280
		.amdhsa_user_sgpr_count 2
		.amdhsa_user_sgpr_dispatch_ptr 0
		.amdhsa_user_sgpr_queue_ptr 0
		.amdhsa_user_sgpr_kernarg_segment_ptr 1
		.amdhsa_user_sgpr_dispatch_id 0
		.amdhsa_user_sgpr_kernarg_preload_length 0
		.amdhsa_user_sgpr_kernarg_preload_offset 0
		.amdhsa_user_sgpr_private_segment_size 0
		.amdhsa_uses_dynamic_stack 0
		.amdhsa_enable_private_segment 0
		.amdhsa_system_sgpr_workgroup_id_x 1
		.amdhsa_system_sgpr_workgroup_id_y 0
		.amdhsa_system_sgpr_workgroup_id_z 0
		.amdhsa_system_sgpr_workgroup_info 0
		.amdhsa_system_vgpr_workitem_id 0
		.amdhsa_next_free_vgpr 26
		.amdhsa_next_free_sgpr 30
		.amdhsa_accum_offset 28
		.amdhsa_reserve_vcc 1
		.amdhsa_float_round_mode_32 0
		.amdhsa_float_round_mode_16_64 0
		.amdhsa_float_denorm_mode_32 3
		.amdhsa_float_denorm_mode_16_64 3
		.amdhsa_dx10_clamp 1
		.amdhsa_ieee_mode 1
		.amdhsa_fp16_overflow 0
		.amdhsa_tg_split 0
		.amdhsa_exception_fp_ieee_invalid_op 0
		.amdhsa_exception_fp_denorm_src 0
		.amdhsa_exception_fp_ieee_div_zero 0
		.amdhsa_exception_fp_ieee_overflow 0
		.amdhsa_exception_fp_ieee_underflow 0
		.amdhsa_exception_fp_ieee_inexact 0
		.amdhsa_exception_int_div_zero 0
	.end_amdhsa_kernel
	.section	.text._ZN5aiter18act_and_mul_kernelIffTnPFfRKT_EXadL_ZNS_11silu_kernelIfEEfS3_EELi4ELb1ELi0EEEvPT0_PS2_if,"axG",@progbits,_ZN5aiter18act_and_mul_kernelIffTnPFfRKT_EXadL_ZNS_11silu_kernelIfEEfS3_EELi4ELb1ELi0EEEvPT0_PS2_if,comdat
.Lfunc_end13:
	.size	_ZN5aiter18act_and_mul_kernelIffTnPFfRKT_EXadL_ZNS_11silu_kernelIfEEfS3_EELi4ELb1ELi0EEEvPT0_PS2_if, .Lfunc_end13-_ZN5aiter18act_and_mul_kernelIffTnPFfRKT_EXadL_ZNS_11silu_kernelIfEEfS3_EELi4ELb1ELi0EEEvPT0_PS2_if
                                        ; -- End function
	.section	.AMDGPU.csdata,"",@progbits
; Kernel info:
; codeLenInByte = 768
; NumSgprs: 36
; NumVgprs: 26
; NumAgprs: 0
; TotalNumVgprs: 26
; ScratchSize: 0
; MemoryBound: 0
; FloatMode: 240
; IeeeMode: 1
; LDSByteSize: 0 bytes/workgroup (compile time only)
; SGPRBlocks: 4
; VGPRBlocks: 3
; NumSGPRsForWavesPerEU: 36
; NumVGPRsForWavesPerEU: 26
; AccumOffset: 28
; Occupancy: 8
; WaveLimiterHint : 0
; COMPUTE_PGM_RSRC2:SCRATCH_EN: 0
; COMPUTE_PGM_RSRC2:USER_SGPR: 2
; COMPUTE_PGM_RSRC2:TRAP_HANDLER: 0
; COMPUTE_PGM_RSRC2:TGID_X_EN: 1
; COMPUTE_PGM_RSRC2:TGID_Y_EN: 0
; COMPUTE_PGM_RSRC2:TGID_Z_EN: 0
; COMPUTE_PGM_RSRC2:TIDIG_COMP_CNT: 0
; COMPUTE_PGM_RSRC3_GFX90A:ACCUM_OFFSET: 6
; COMPUTE_PGM_RSRC3_GFX90A:TG_SPLIT: 0
	.section	.text._ZN5aiter18act_and_mul_kernelIffTnPFfRKT_EXadL_ZNS_11silu_kernelIfEEfS3_EELi2ELb1ELi0EEEvPT0_PS2_if,"axG",@progbits,_ZN5aiter18act_and_mul_kernelIffTnPFfRKT_EXadL_ZNS_11silu_kernelIfEEfS3_EELi2ELb1ELi0EEEvPT0_PS2_if,comdat
	.protected	_ZN5aiter18act_and_mul_kernelIffTnPFfRKT_EXadL_ZNS_11silu_kernelIfEEfS3_EELi2ELb1ELi0EEEvPT0_PS2_if ; -- Begin function _ZN5aiter18act_and_mul_kernelIffTnPFfRKT_EXadL_ZNS_11silu_kernelIfEEfS3_EELi2ELb1ELi0EEEvPT0_PS2_if
	.globl	_ZN5aiter18act_and_mul_kernelIffTnPFfRKT_EXadL_ZNS_11silu_kernelIfEEfS3_EELi2ELb1ELi0EEEvPT0_PS2_if
	.p2align	8
	.type	_ZN5aiter18act_and_mul_kernelIffTnPFfRKT_EXadL_ZNS_11silu_kernelIfEEfS3_EELi2ELb1ELi0EEEvPT0_PS2_if,@function
_ZN5aiter18act_and_mul_kernelIffTnPFfRKT_EXadL_ZNS_11silu_kernelIfEEfS3_EELi2ELb1ELi0EEEvPT0_PS2_if: ; @_ZN5aiter18act_and_mul_kernelIffTnPFfRKT_EXadL_ZNS_11silu_kernelIfEEfS3_EELi2ELb1ELi0EEEvPT0_PS2_if
; %bb.0:
	s_load_dwordx2 s[16:17], s[0:1], 0x10
	v_lshlrev_b32_e32 v0, 1, v0
	s_waitcnt lgkmcnt(0)
	v_cmp_gt_i32_e32 vcc, s16, v0
	s_and_saveexec_b64 s[4:5], vcc
	s_cbranch_execz .LBB14_3
; %bb.1:
	s_load_dwordx4 s[12:15], s[0:1], 0x0
	s_ashr_i32 s19, s16, 31
	s_mul_hi_u32 s3, s16, s2
	s_mul_i32 s4, s19, s2
	s_add_i32 s3, s3, s4
	s_mul_i32 s2, s16, s2
	s_lshl_b64 s[4:5], s[2:3], 3
	s_mov_b32 s18, s16
	s_waitcnt lgkmcnt(0)
	s_add_u32 s4, s14, s4
	s_addc_u32 s5, s15, s5
	s_lshl_b64 s[6:7], s[18:19], 2
	s_add_u32 s8, s4, s6
	s_addc_u32 s9, s5, s7
	s_lshl_b32 s6, s16, 2
	s_and_b32 s5, s5, 0xffff
	s_and_b32 s9, s9, 0xffff
	s_lshl_b64 s[2:3], s[2:3], 2
	s_add_u32 s12, s12, s2
	s_addc_u32 s2, s13, s3
	s_and_b32 s13, s2, 0xffff
	s_mov_b32 s7, 0x20000
	s_add_u32 s2, s0, 24
	s_mov_b32 s0, s17
	v_mov_b32_e32 v1, 0
	s_addc_u32 s3, s1, 0
	s_mov_b64 s[20:21], 0
	s_mov_b32 s23, 0
	v_max_f32_e64 v2, s17, s17
	v_max_f32_e64 v3, s0, s0
	s_mov_b32 s16, 0xbfb8aa3b
	s_mov_b32 s24, 0x42ce8ed0
	s_mov_b32 s25, 0xc2b17218
	v_mov_b32_e32 v4, 0x7f800000
	s_mov_b32 s10, s6
	s_mov_b32 s11, s7
	;; [unrolled: 1-line block ×4, first 2 shown]
.LBB14_2:                               ; =>This Inner Loop Header: Depth=1
	v_lshlrev_b32_e32 v5, 2, v0
	buffer_load_dwordx2 v[6:7], v5, s[4:7], 0 offen
	buffer_load_dwordx2 v[8:9], v5, s[8:11], 0 offen
	s_waitcnt vmcnt(1)
	v_max_f32_e32 v7, v7, v7
	v_max_f32_e32 v6, v6, v6
	v_min_f32_e32 v7, v7, v2
	v_min_f32_e32 v6, v6, v3
	v_mul_f32_e32 v10, 0xbfb8aa3b, v7
	v_mul_f32_e32 v11, 0xbfb8aa3b, v6
	v_fma_f32 v12, v7, s16, -v10
	v_rndne_f32_e32 v13, v10
	v_fma_f32 v14, v6, s16, -v11
	v_rndne_f32_e32 v15, v11
	v_fmac_f32_e32 v12, 0xb2a5705f, v7
	v_sub_f32_e32 v10, v10, v13
	v_fmac_f32_e32 v14, 0xb2a5705f, v6
	v_sub_f32_e32 v11, v11, v15
	v_add_f32_e32 v10, v10, v12
	v_add_f32_e32 v11, v11, v14
	v_cvt_i32_f32_e32 v13, v13
	v_cvt_i32_f32_e32 v15, v15
	v_exp_f32_e32 v10, v10
	v_exp_f32_e32 v11, v11
	v_cmp_nlt_f32_e32 vcc, s24, v6
	v_cmp_nlt_f32_e64 s[0:1], s24, v7
	v_ldexp_f32 v10, v10, v13
	v_ldexp_f32 v11, v11, v15
	v_cndmask_b32_e64 v10, 0, v10, s[0:1]
	v_cndmask_b32_e32 v11, 0, v11, vcc
	v_cmp_ngt_f32_e32 vcc, s25, v6
	v_cmp_ngt_f32_e64 s[0:1], s25, v7
	s_waitcnt vmcnt(0)
	v_med3_f32 v9, -s17, v9, s17
	v_cndmask_b32_e32 v11, v4, v11, vcc
	v_cndmask_b32_e64 v10, v4, v10, s[0:1]
	v_add_f32_e32 v10, 1.0, v10
	v_add_f32_e32 v12, 1.0, v11
	v_rcp_f32_e32 v11, v10
	v_rcp_f32_e32 v10, v12
	v_med3_f32 v8, -s17, v8, s17
	v_pk_mul_f32 v[6:7], v[6:7], v[10:11]
	s_nop 0
	;;#ASMSTART
	v_pk_mul_f32 v[6:7], v[6:7], v[8:9]
	;;#ASMEND
	s_load_dword s0, s[2:3], 0xc
	buffer_store_dwordx2 v[6:7], v5, s[12:15], 0 offen
	s_waitcnt lgkmcnt(0)
	s_and_b32 s0, s0, 0xffff
	s_lshl_b32 s22, s0, 1
	v_lshl_add_u64 v[0:1], s[22:23], 0, v[0:1]
	v_cmp_le_i64_e32 vcc, s[18:19], v[0:1]
	s_or_b64 s[20:21], vcc, s[20:21]
	s_andn2_b64 exec, exec, s[20:21]
	s_cbranch_execnz .LBB14_2
.LBB14_3:
	s_endpgm
	.section	.rodata,"a",@progbits
	.p2align	6, 0x0
	.amdhsa_kernel _ZN5aiter18act_and_mul_kernelIffTnPFfRKT_EXadL_ZNS_11silu_kernelIfEEfS3_EELi2ELb1ELi0EEEvPT0_PS2_if
		.amdhsa_group_segment_fixed_size 0
		.amdhsa_private_segment_fixed_size 0
		.amdhsa_kernarg_size 280
		.amdhsa_user_sgpr_count 2
		.amdhsa_user_sgpr_dispatch_ptr 0
		.amdhsa_user_sgpr_queue_ptr 0
		.amdhsa_user_sgpr_kernarg_segment_ptr 1
		.amdhsa_user_sgpr_dispatch_id 0
		.amdhsa_user_sgpr_kernarg_preload_length 0
		.amdhsa_user_sgpr_kernarg_preload_offset 0
		.amdhsa_user_sgpr_private_segment_size 0
		.amdhsa_uses_dynamic_stack 0
		.amdhsa_enable_private_segment 0
		.amdhsa_system_sgpr_workgroup_id_x 1
		.amdhsa_system_sgpr_workgroup_id_y 0
		.amdhsa_system_sgpr_workgroup_id_z 0
		.amdhsa_system_sgpr_workgroup_info 0
		.amdhsa_system_vgpr_workitem_id 0
		.amdhsa_next_free_vgpr 16
		.amdhsa_next_free_sgpr 26
		.amdhsa_accum_offset 16
		.amdhsa_reserve_vcc 1
		.amdhsa_float_round_mode_32 0
		.amdhsa_float_round_mode_16_64 0
		.amdhsa_float_denorm_mode_32 3
		.amdhsa_float_denorm_mode_16_64 3
		.amdhsa_dx10_clamp 1
		.amdhsa_ieee_mode 1
		.amdhsa_fp16_overflow 0
		.amdhsa_tg_split 0
		.amdhsa_exception_fp_ieee_invalid_op 0
		.amdhsa_exception_fp_denorm_src 0
		.amdhsa_exception_fp_ieee_div_zero 0
		.amdhsa_exception_fp_ieee_overflow 0
		.amdhsa_exception_fp_ieee_underflow 0
		.amdhsa_exception_fp_ieee_inexact 0
		.amdhsa_exception_int_div_zero 0
	.end_amdhsa_kernel
	.section	.text._ZN5aiter18act_and_mul_kernelIffTnPFfRKT_EXadL_ZNS_11silu_kernelIfEEfS3_EELi2ELb1ELi0EEEvPT0_PS2_if,"axG",@progbits,_ZN5aiter18act_and_mul_kernelIffTnPFfRKT_EXadL_ZNS_11silu_kernelIfEEfS3_EELi2ELb1ELi0EEEvPT0_PS2_if,comdat
.Lfunc_end14:
	.size	_ZN5aiter18act_and_mul_kernelIffTnPFfRKT_EXadL_ZNS_11silu_kernelIfEEfS3_EELi2ELb1ELi0EEEvPT0_PS2_if, .Lfunc_end14-_ZN5aiter18act_and_mul_kernelIffTnPFfRKT_EXadL_ZNS_11silu_kernelIfEEfS3_EELi2ELb1ELi0EEEvPT0_PS2_if
                                        ; -- End function
	.section	.AMDGPU.csdata,"",@progbits
; Kernel info:
; codeLenInByte = 532
; NumSgprs: 32
; NumVgprs: 16
; NumAgprs: 0
; TotalNumVgprs: 16
; ScratchSize: 0
; MemoryBound: 0
; FloatMode: 240
; IeeeMode: 1
; LDSByteSize: 0 bytes/workgroup (compile time only)
; SGPRBlocks: 3
; VGPRBlocks: 1
; NumSGPRsForWavesPerEU: 32
; NumVGPRsForWavesPerEU: 16
; AccumOffset: 16
; Occupancy: 8
; WaveLimiterHint : 0
; COMPUTE_PGM_RSRC2:SCRATCH_EN: 0
; COMPUTE_PGM_RSRC2:USER_SGPR: 2
; COMPUTE_PGM_RSRC2:TRAP_HANDLER: 0
; COMPUTE_PGM_RSRC2:TGID_X_EN: 1
; COMPUTE_PGM_RSRC2:TGID_Y_EN: 0
; COMPUTE_PGM_RSRC2:TGID_Z_EN: 0
; COMPUTE_PGM_RSRC2:TIDIG_COMP_CNT: 0
; COMPUTE_PGM_RSRC3_GFX90A:ACCUM_OFFSET: 3
; COMPUTE_PGM_RSRC3_GFX90A:TG_SPLIT: 0
	.section	.text._ZN5aiter18act_and_mul_kernelIffTnPFfRKT_EXadL_ZNS_11silu_kernelIfEEfS3_EELi1ELb1ELi0EEEvPT0_PS2_if,"axG",@progbits,_ZN5aiter18act_and_mul_kernelIffTnPFfRKT_EXadL_ZNS_11silu_kernelIfEEfS3_EELi1ELb1ELi0EEEvPT0_PS2_if,comdat
	.protected	_ZN5aiter18act_and_mul_kernelIffTnPFfRKT_EXadL_ZNS_11silu_kernelIfEEfS3_EELi1ELb1ELi0EEEvPT0_PS2_if ; -- Begin function _ZN5aiter18act_and_mul_kernelIffTnPFfRKT_EXadL_ZNS_11silu_kernelIfEEfS3_EELi1ELb1ELi0EEEvPT0_PS2_if
	.globl	_ZN5aiter18act_and_mul_kernelIffTnPFfRKT_EXadL_ZNS_11silu_kernelIfEEfS3_EELi1ELb1ELi0EEEvPT0_PS2_if
	.p2align	8
	.type	_ZN5aiter18act_and_mul_kernelIffTnPFfRKT_EXadL_ZNS_11silu_kernelIfEEfS3_EELi1ELb1ELi0EEEvPT0_PS2_if,@function
_ZN5aiter18act_and_mul_kernelIffTnPFfRKT_EXadL_ZNS_11silu_kernelIfEEfS3_EELi1ELb1ELi0EEEvPT0_PS2_if: ; @_ZN5aiter18act_and_mul_kernelIffTnPFfRKT_EXadL_ZNS_11silu_kernelIfEEfS3_EELi1ELb1ELi0EEEvPT0_PS2_if
; %bb.0:
	s_load_dwordx2 s[12:13], s[0:1], 0x10
	s_waitcnt lgkmcnt(0)
	v_cmp_gt_i32_e32 vcc, s12, v0
	s_and_saveexec_b64 s[4:5], vcc
	s_cbranch_execz .LBB15_3
; %bb.1:
	s_load_dwordx4 s[8:11], s[0:1], 0x0
	s_load_dword s14, s[0:1], 0x24
	s_mov_b32 s18, s13
	s_ashr_i32 s13, s12, 31
	s_mul_hi_u32 s3, s12, s2
	s_mul_i32 s4, s13, s2
	s_add_i32 s7, s3, s4
	s_mul_i32 s6, s12, s2
	s_lshl_b64 s[2:3], s[6:7], 3
	s_waitcnt lgkmcnt(0)
	s_add_u32 s0, s10, s2
	s_addc_u32 s1, s11, s3
	s_lshl_b64 s[2:3], s[12:13], 2
	s_add_u32 s4, s0, s2
	s_addc_u32 s5, s1, s3
	s_lshl_b32 s2, s12, 2
	s_and_b32 s1, s1, 0xffff
	s_and_b32 s5, s5, 0xffff
	s_lshl_b64 s[6:7], s[6:7], 2
	s_add_u32 s8, s8, s6
	s_mov_b32 s3, 0x20000
	s_addc_u32 s6, s9, s7
	s_and_b32 s14, s14, 0xffff
	s_and_b32 s9, s6, 0xffff
	s_mov_b32 s15, 0
	v_mov_b32_e32 v1, 0
	v_lshlrev_b32_e32 v2, 2, v0
	s_lshl_b32 s19, s14, 2
	s_mov_b64 s[16:17], 0
	s_mov_b32 s6, s2
	s_mov_b32 s7, s3
	v_max_f32_e64 v3, s18, s18
	s_mov_b32 s20, 0xbfb8aa3b
	s_mov_b32 s21, 0x42ce8ed0
	;; [unrolled: 1-line block ×3, first 2 shown]
	v_mov_b32_e32 v4, 0x7f800000
	s_mov_b32 s10, s2
	s_mov_b32 s11, s3
.LBB15_2:                               ; =>This Inner Loop Header: Depth=1
	buffer_load_dword v5, v2, s[0:3], 0 offen
	buffer_load_dword v6, v2, s[4:7], 0 offen
	v_lshl_add_u64 v[0:1], v[0:1], 0, s[14:15]
	s_waitcnt vmcnt(1)
	v_max_f32_e32 v5, v5, v5
	v_min_f32_e32 v5, v5, v3
	v_mul_f32_e32 v7, 0xbfb8aa3b, v5
	v_fma_f32 v8, v5, s20, -v7
	v_rndne_f32_e32 v9, v7
	v_fmac_f32_e32 v8, 0xb2a5705f, v5
	v_sub_f32_e32 v7, v7, v9
	v_add_f32_e32 v7, v7, v8
	v_cvt_i32_f32_e32 v9, v9
	v_exp_f32_e32 v7, v7
	v_cmp_nlt_f32_e32 vcc, s21, v5
	s_waitcnt vmcnt(0)
	v_med3_f32 v6, -s18, v6, s18
	v_ldexp_f32 v7, v7, v9
	v_cndmask_b32_e32 v7, 0, v7, vcc
	v_cmp_ngt_f32_e32 vcc, s22, v5
	s_nop 1
	v_cndmask_b32_e32 v7, v4, v7, vcc
	v_add_f32_e32 v7, 1.0, v7
	v_rcp_f32_e32 v7, v7
	v_cmp_le_i64_e32 vcc, s[12:13], v[0:1]
	s_or_b64 s[16:17], vcc, s[16:17]
	v_mul_f32_e32 v5, v5, v7
	v_mul_f32_e32 v5, v6, v5
	buffer_store_dword v5, v2, s[8:11], 0 offen
	v_add_u32_e32 v2, s19, v2
	s_andn2_b64 exec, exec, s[16:17]
	s_cbranch_execnz .LBB15_2
.LBB15_3:
	s_endpgm
	.section	.rodata,"a",@progbits
	.p2align	6, 0x0
	.amdhsa_kernel _ZN5aiter18act_and_mul_kernelIffTnPFfRKT_EXadL_ZNS_11silu_kernelIfEEfS3_EELi1ELb1ELi0EEEvPT0_PS2_if
		.amdhsa_group_segment_fixed_size 0
		.amdhsa_private_segment_fixed_size 0
		.amdhsa_kernarg_size 280
		.amdhsa_user_sgpr_count 2
		.amdhsa_user_sgpr_dispatch_ptr 0
		.amdhsa_user_sgpr_queue_ptr 0
		.amdhsa_user_sgpr_kernarg_segment_ptr 1
		.amdhsa_user_sgpr_dispatch_id 0
		.amdhsa_user_sgpr_kernarg_preload_length 0
		.amdhsa_user_sgpr_kernarg_preload_offset 0
		.amdhsa_user_sgpr_private_segment_size 0
		.amdhsa_uses_dynamic_stack 0
		.amdhsa_enable_private_segment 0
		.amdhsa_system_sgpr_workgroup_id_x 1
		.amdhsa_system_sgpr_workgroup_id_y 0
		.amdhsa_system_sgpr_workgroup_id_z 0
		.amdhsa_system_sgpr_workgroup_info 0
		.amdhsa_system_vgpr_workitem_id 0
		.amdhsa_next_free_vgpr 10
		.amdhsa_next_free_sgpr 23
		.amdhsa_accum_offset 12
		.amdhsa_reserve_vcc 1
		.amdhsa_float_round_mode_32 0
		.amdhsa_float_round_mode_16_64 0
		.amdhsa_float_denorm_mode_32 3
		.amdhsa_float_denorm_mode_16_64 3
		.amdhsa_dx10_clamp 1
		.amdhsa_ieee_mode 1
		.amdhsa_fp16_overflow 0
		.amdhsa_tg_split 0
		.amdhsa_exception_fp_ieee_invalid_op 0
		.amdhsa_exception_fp_denorm_src 0
		.amdhsa_exception_fp_ieee_div_zero 0
		.amdhsa_exception_fp_ieee_overflow 0
		.amdhsa_exception_fp_ieee_underflow 0
		.amdhsa_exception_fp_ieee_inexact 0
		.amdhsa_exception_int_div_zero 0
	.end_amdhsa_kernel
	.section	.text._ZN5aiter18act_and_mul_kernelIffTnPFfRKT_EXadL_ZNS_11silu_kernelIfEEfS3_EELi1ELb1ELi0EEEvPT0_PS2_if,"axG",@progbits,_ZN5aiter18act_and_mul_kernelIffTnPFfRKT_EXadL_ZNS_11silu_kernelIfEEfS3_EELi1ELb1ELi0EEEvPT0_PS2_if,comdat
.Lfunc_end15:
	.size	_ZN5aiter18act_and_mul_kernelIffTnPFfRKT_EXadL_ZNS_11silu_kernelIfEEfS3_EELi1ELb1ELi0EEEvPT0_PS2_if, .Lfunc_end15-_ZN5aiter18act_and_mul_kernelIffTnPFfRKT_EXadL_ZNS_11silu_kernelIfEEfS3_EELi1ELb1ELi0EEEvPT0_PS2_if
                                        ; -- End function
	.section	.AMDGPU.csdata,"",@progbits
; Kernel info:
; codeLenInByte = 392
; NumSgprs: 29
; NumVgprs: 10
; NumAgprs: 0
; TotalNumVgprs: 10
; ScratchSize: 0
; MemoryBound: 0
; FloatMode: 240
; IeeeMode: 1
; LDSByteSize: 0 bytes/workgroup (compile time only)
; SGPRBlocks: 3
; VGPRBlocks: 1
; NumSGPRsForWavesPerEU: 29
; NumVGPRsForWavesPerEU: 10
; AccumOffset: 12
; Occupancy: 8
; WaveLimiterHint : 0
; COMPUTE_PGM_RSRC2:SCRATCH_EN: 0
; COMPUTE_PGM_RSRC2:USER_SGPR: 2
; COMPUTE_PGM_RSRC2:TRAP_HANDLER: 0
; COMPUTE_PGM_RSRC2:TGID_X_EN: 1
; COMPUTE_PGM_RSRC2:TGID_Y_EN: 0
; COMPUTE_PGM_RSRC2:TGID_Z_EN: 0
; COMPUTE_PGM_RSRC2:TIDIG_COMP_CNT: 0
; COMPUTE_PGM_RSRC3_GFX90A:ACCUM_OFFSET: 2
; COMPUTE_PGM_RSRC3_GFX90A:TG_SPLIT: 0
	.section	.text._ZN5aiter18act_and_mul_kernelIDF16_DF16_TnPFfRKT_EXadL_ZNS_11silu_kernelIDF16_EEfS3_EELi32ELb1ELi3EEEvPT0_PS2_if,"axG",@progbits,_ZN5aiter18act_and_mul_kernelIDF16_DF16_TnPFfRKT_EXadL_ZNS_11silu_kernelIDF16_EEfS3_EELi32ELb1ELi3EEEvPT0_PS2_if,comdat
	.protected	_ZN5aiter18act_and_mul_kernelIDF16_DF16_TnPFfRKT_EXadL_ZNS_11silu_kernelIDF16_EEfS3_EELi32ELb1ELi3EEEvPT0_PS2_if ; -- Begin function _ZN5aiter18act_and_mul_kernelIDF16_DF16_TnPFfRKT_EXadL_ZNS_11silu_kernelIDF16_EEfS3_EELi32ELb1ELi3EEEvPT0_PS2_if
	.globl	_ZN5aiter18act_and_mul_kernelIDF16_DF16_TnPFfRKT_EXadL_ZNS_11silu_kernelIDF16_EEfS3_EELi32ELb1ELi3EEEvPT0_PS2_if
	.p2align	8
	.type	_ZN5aiter18act_and_mul_kernelIDF16_DF16_TnPFfRKT_EXadL_ZNS_11silu_kernelIDF16_EEfS3_EELi32ELb1ELi3EEEvPT0_PS2_if,@function
_ZN5aiter18act_and_mul_kernelIDF16_DF16_TnPFfRKT_EXadL_ZNS_11silu_kernelIDF16_EEfS3_EELi32ELb1ELi3EEEvPT0_PS2_if: ; @_ZN5aiter18act_and_mul_kernelIDF16_DF16_TnPFfRKT_EXadL_ZNS_11silu_kernelIDF16_EEfS3_EELi32ELb1ELi3EEEvPT0_PS2_if
; %bb.0:
	s_load_dwordx2 s[16:17], s[0:1], 0x10
	v_lshlrev_b32_e32 v32, 5, v0
	s_waitcnt lgkmcnt(0)
	v_cmp_gt_i32_e32 vcc, s16, v32
	s_and_saveexec_b64 s[4:5], vcc
	s_cbranch_execz .LBB16_3
; %bb.1:
	s_load_dwordx4 s[12:15], s[0:1], 0x0
	s_ashr_i32 s19, s16, 31
	s_mul_hi_u32 s3, s16, s2
	s_mul_i32 s4, s19, s2
	s_add_i32 s3, s3, s4
	s_mul_i32 s2, s16, s2
	s_lshl_b64 s[10:11], s[2:3], 1
	s_lshl_b64 s[2:3], s[2:3], 2
	s_mov_b32 s18, s16
	s_waitcnt lgkmcnt(0)
	s_add_u32 s4, s14, s2
	s_addc_u32 s5, s15, s3
	s_lshl_b64 s[2:3], s[18:19], 1
	s_add_u32 s8, s4, s2
	s_addc_u32 s2, s5, s3
	s_add_i32 s3, s16, 1
	s_lshr_b32 s6, s3, 31
	s_add_i32 s3, s3, s6
	s_lshl_b32 s3, s3, 1
	s_and_b32 s6, s3, -4
	s_and_b32 s5, s5, 0xffff
	s_and_b32 s9, s2, 0xffff
	s_add_u32 s12, s12, s10
	s_addc_u32 s2, s13, s11
	s_and_b32 s13, s2, 0xffff
	s_mov_b32 s7, 0x20000
	s_add_u32 s0, s0, 24
	s_mov_b32 s10, s17
	v_mov_b32_e32 v33, 0
	s_addc_u32 s1, s1, 0
	s_mov_b64 s[2:3], 0
	s_mov_b32 s21, 0
	v_max_f32_e64 v34, s17, s17
	s_mov_b32 s16, 0xbfb8aa3b
	s_mov_b32 s22, 0xb2a5705f
	;; [unrolled: 1-line block ×4, first 2 shown]
	v_mov_b32_e32 v35, 0x7f800000
	v_max_f32_e64 v36, s10, s10
	v_max_f32_e64 v37, s17, s17
	s_mov_b32 s10, s6
	s_mov_b32 s11, s7
	;; [unrolled: 1-line block ×4, first 2 shown]
.LBB16_2:                               ; =>This Inner Loop Header: Depth=1
	v_lshlrev_b32_e32 v38, 1, v32
	buffer_load_dwordx4 v[24:27], v38, s[4:7], 0 offen sc0 nt
	buffer_load_dwordx4 v[16:19], v38, s[4:7], 16 offen sc0 nt
	;; [unrolled: 1-line block ×8, first 2 shown]
	s_waitcnt vmcnt(7)
	v_cvt_f32_f16_e32 v40, v24
	v_cvt_f32_f16_sdwa v24, v24 dst_sel:DWORD dst_unused:UNUSED_PAD src0_sel:WORD_1
	v_min_f32_e32 v40, v40, v34
	v_cvt_f16_f32_e32 v40, v40
	v_min_f32_e32 v24, v24, v34
	s_waitcnt vmcnt(3)
	v_cvt_f32_f16_e32 v39, v28
	v_cvt_f32_f16_sdwa v28, v28 dst_sel:DWORD dst_unused:UNUSED_PAD src0_sel:WORD_1
	v_cvt_f32_f16_e32 v41, v40
	v_cvt_f16_f32_e32 v24, v24
	v_mul_f32_e32 v42, 0xbfb8aa3b, v41
	v_fma_mix_f32 v43, v40, s16, -v42 op_sel_hi:[1,0,0]
	v_cmp_nlt_f32_e32 vcc, s23, v41
	v_fma_mix_f32 v40, v40, s22, v43 op_sel_hi:[1,0,0]
	v_rndne_f32_e32 v43, v42
	v_sub_f32_e32 v42, v42, v43
	v_add_f32_e32 v40, v42, v40
	v_exp_f32_e32 v40, v40
	v_cvt_i32_f32_e32 v42, v43
	v_med3_f32 v43, -s17, v28, s17
	v_cvt_f32_f16_e32 v28, v24
	v_ldexp_f32 v40, v40, v42
	v_cndmask_b32_e32 v40, 0, v40, vcc
	v_cmp_ngt_f32_e32 vcc, s24, v41
	v_med3_f32 v42, -s17, v39, s17
	v_mul_f32_e32 v39, 0xbfb8aa3b, v28
	v_cndmask_b32_e32 v40, v35, v40, vcc
	v_add_f32_e32 v40, 1.0, v40
	v_rcp_f32_e32 v40, v40
	v_cmp_nlt_f32_e32 vcc, s23, v28
	v_mul_f32_e32 v40, v40, v41
	v_fma_mix_f32 v41, v24, s16, -v39 op_sel_hi:[1,0,0]
	s_nop 0
	v_fma_mix_f32 v24, v24, s22, v41 op_sel_hi:[1,0,0]
	v_rndne_f32_e32 v41, v39
	v_sub_f32_e32 v39, v39, v41
	v_add_f32_e32 v24, v39, v24
	v_exp_f32_e32 v24, v24
	v_cvt_i32_f32_e32 v39, v41
	v_ldexp_f32 v24, v24, v39
	v_cndmask_b32_e32 v24, 0, v24, vcc
	v_cmp_ngt_f32_e32 vcc, s24, v28
	v_cvt_f32_f16_e32 v39, v29
	v_cvt_f32_f16_sdwa v29, v29 dst_sel:DWORD dst_unused:UNUSED_PAD src0_sel:WORD_1
	v_cndmask_b32_e32 v24, v35, v24, vcc
	v_add_f32_e32 v24, 1.0, v24
	v_rcp_f32_e32 v24, v24
	s_nop 0
	v_mul_f32_e32 v41, v24, v28
	;;#ASMSTART
	v_pk_mul_f32 v[40:41], v[40:41], v[42:43]
	;;#ASMEND
	s_nop 0
	v_cvt_f16_f32_e32 v28, v41
	v_med3_f32 v41, -s17, v29, s17
	v_cvt_f32_f16_sdwa v29, v25 dst_sel:DWORD dst_unused:UNUSED_PAD src0_sel:WORD_1
	v_cvt_f32_f16_e32 v25, v25
	v_cvt_f16_f32_e32 v24, v40
	v_med3_f32 v40, -s17, v39, s17
	v_min_f32_e32 v29, v29, v37
	v_min_f32_e32 v25, v25, v36
	v_cvt_f16_f32_e32 v25, v25
	v_cvt_f16_f32_e32 v29, v29
	v_pack_b32_f16 v24, v24, v28
	v_cvt_f32_f16_e32 v42, v25
	v_cvt_f32_f16_e32 v43, v29
	v_mul_f32_e32 v39, 0xbfb8aa3b, v42
	v_fma_mix_f32 v44, v25, s16, -v39 op_sel_hi:[1,0,0]
	v_cmp_nlt_f32_e32 vcc, s23, v42
	v_fma_mix_f32 v25, v25, s22, v44 op_sel_hi:[1,0,0]
	v_rndne_f32_e32 v44, v39
	v_sub_f32_e32 v39, v39, v44
	v_add_f32_e32 v25, v39, v25
	v_exp_f32_e32 v25, v25
	v_cvt_i32_f32_e32 v39, v44
	v_ldexp_f32 v25, v25, v39
	v_cndmask_b32_e32 v25, 0, v25, vcc
	v_cmp_ngt_f32_e32 vcc, s24, v42
	s_nop 1
	v_cndmask_b32_e32 v25, v35, v25, vcc
	v_add_f32_e32 v25, 1.0, v25
	v_rcp_f32_e32 v44, v25
	v_mul_f32_e32 v25, 0xbfb8aa3b, v43
	v_fma_mix_f32 v39, v29, s16, -v25 op_sel_hi:[1,0,0]
	v_cmp_nlt_f32_e32 vcc, s23, v43
	v_fma_mix_f32 v29, v29, s22, v39 op_sel_hi:[1,0,0]
	v_rndne_f32_e32 v39, v25
	v_sub_f32_e32 v25, v25, v39
	v_add_f32_e32 v25, v25, v29
	v_exp_f32_e32 v25, v25
	v_cvt_i32_f32_e32 v29, v39
	v_cvt_f32_f16_e32 v39, v30
	v_cvt_f32_f16_sdwa v30, v30 dst_sel:DWORD dst_unused:UNUSED_PAD src0_sel:WORD_1
	v_ldexp_f32 v25, v25, v29
	v_cndmask_b32_e32 v25, 0, v25, vcc
	v_cmp_ngt_f32_e32 vcc, s24, v43
	s_nop 1
	v_cndmask_b32_e32 v25, v35, v25, vcc
	v_add_f32_e32 v25, 1.0, v25
	v_rcp_f32_e32 v45, v25
	s_nop 0
	v_pk_mul_f32 v[42:43], v[44:45], v[42:43]
	s_nop 0
	;;#ASMSTART
	v_pk_mul_f32 v[40:41], v[42:43], v[40:41]
	;;#ASMEND
	s_nop 0
	v_cvt_f16_f32_e32 v29, v41
	v_med3_f32 v41, -s17, v30, s17
	v_cvt_f32_f16_sdwa v30, v26 dst_sel:DWORD dst_unused:UNUSED_PAD src0_sel:WORD_1
	v_cvt_f32_f16_e32 v26, v26
	v_cvt_f16_f32_e32 v25, v40
	v_med3_f32 v40, -s17, v39, s17
	v_min_f32_e32 v30, v30, v37
	v_min_f32_e32 v26, v26, v36
	v_cvt_f16_f32_e32 v26, v26
	v_cvt_f16_f32_e32 v30, v30
	v_pack_b32_f16 v25, v25, v29
	v_cvt_f32_f16_e32 v42, v26
	v_cvt_f32_f16_e32 v43, v30
	v_mul_f32_e32 v39, 0xbfb8aa3b, v42
	v_fma_mix_f32 v44, v26, s16, -v39 op_sel_hi:[1,0,0]
	v_cmp_nlt_f32_e32 vcc, s23, v42
	v_fma_mix_f32 v26, v26, s22, v44 op_sel_hi:[1,0,0]
	v_rndne_f32_e32 v44, v39
	v_sub_f32_e32 v39, v39, v44
	v_add_f32_e32 v26, v39, v26
	v_exp_f32_e32 v26, v26
	v_cvt_i32_f32_e32 v39, v44
	v_ldexp_f32 v26, v26, v39
	v_cndmask_b32_e32 v26, 0, v26, vcc
	v_cmp_ngt_f32_e32 vcc, s24, v42
	s_nop 1
	v_cndmask_b32_e32 v26, v35, v26, vcc
	v_add_f32_e32 v26, 1.0, v26
	v_rcp_f32_e32 v44, v26
	v_mul_f32_e32 v26, 0xbfb8aa3b, v43
	v_fma_mix_f32 v39, v30, s16, -v26 op_sel_hi:[1,0,0]
	v_cmp_nlt_f32_e32 vcc, s23, v43
	v_fma_mix_f32 v30, v30, s22, v39 op_sel_hi:[1,0,0]
	v_rndne_f32_e32 v39, v26
	v_sub_f32_e32 v26, v26, v39
	v_add_f32_e32 v26, v26, v30
	v_exp_f32_e32 v26, v26
	v_cvt_i32_f32_e32 v30, v39
	v_cvt_f32_f16_e32 v39, v31
	v_cvt_f32_f16_sdwa v31, v31 dst_sel:DWORD dst_unused:UNUSED_PAD src0_sel:WORD_1
	v_ldexp_f32 v26, v26, v30
	v_cndmask_b32_e32 v26, 0, v26, vcc
	v_cmp_ngt_f32_e32 vcc, s24, v43
	s_nop 1
	v_cndmask_b32_e32 v26, v35, v26, vcc
	v_add_f32_e32 v26, 1.0, v26
	v_rcp_f32_e32 v45, v26
	s_nop 0
	v_pk_mul_f32 v[42:43], v[44:45], v[42:43]
	s_nop 0
	;;#ASMSTART
	v_pk_mul_f32 v[40:41], v[42:43], v[40:41]
	;;#ASMEND
	s_nop 0
	v_cvt_f16_f32_e32 v30, v41
	v_med3_f32 v41, -s17, v31, s17
	v_cvt_f32_f16_sdwa v31, v27 dst_sel:DWORD dst_unused:UNUSED_PAD src0_sel:WORD_1
	v_cvt_f32_f16_e32 v27, v27
	v_cvt_f16_f32_e32 v26, v40
	v_med3_f32 v40, -s17, v39, s17
	v_min_f32_e32 v31, v31, v37
	v_min_f32_e32 v27, v27, v36
	v_cvt_f16_f32_e32 v27, v27
	v_cvt_f16_f32_e32 v31, v31
	v_pack_b32_f16 v26, v26, v30
	v_cvt_f32_f16_e32 v42, v27
	v_cvt_f32_f16_e32 v43, v31
	v_mul_f32_e32 v39, 0xbfb8aa3b, v42
	v_fma_mix_f32 v44, v27, s16, -v39 op_sel_hi:[1,0,0]
	v_cmp_nlt_f32_e32 vcc, s23, v42
	v_fma_mix_f32 v27, v27, s22, v44 op_sel_hi:[1,0,0]
	v_rndne_f32_e32 v44, v39
	v_sub_f32_e32 v39, v39, v44
	v_add_f32_e32 v27, v39, v27
	v_exp_f32_e32 v27, v27
	v_cvt_i32_f32_e32 v39, v44
	v_ldexp_f32 v27, v27, v39
	v_cndmask_b32_e32 v27, 0, v27, vcc
	v_cmp_ngt_f32_e32 vcc, s24, v42
	s_nop 1
	v_cndmask_b32_e32 v27, v35, v27, vcc
	v_add_f32_e32 v27, 1.0, v27
	v_rcp_f32_e32 v44, v27
	v_mul_f32_e32 v27, 0xbfb8aa3b, v43
	v_fma_mix_f32 v39, v31, s16, -v27 op_sel_hi:[1,0,0]
	v_cmp_nlt_f32_e32 vcc, s23, v43
	v_fma_mix_f32 v31, v31, s22, v39 op_sel_hi:[1,0,0]
	v_rndne_f32_e32 v39, v27
	v_sub_f32_e32 v27, v27, v39
	v_add_f32_e32 v27, v27, v31
	v_exp_f32_e32 v27, v27
	v_cvt_i32_f32_e32 v31, v39
	s_waitcnt vmcnt(2)
	v_cvt_f32_f16_e32 v39, v20
	v_cvt_f32_f16_sdwa v20, v20 dst_sel:DWORD dst_unused:UNUSED_PAD src0_sel:WORD_1
	v_ldexp_f32 v27, v27, v31
	v_cndmask_b32_e32 v27, 0, v27, vcc
	v_cmp_ngt_f32_e32 vcc, s24, v43
	s_nop 1
	v_cndmask_b32_e32 v27, v35, v27, vcc
	v_add_f32_e32 v27, 1.0, v27
	v_rcp_f32_e32 v45, v27
	s_nop 0
	v_pk_mul_f32 v[42:43], v[44:45], v[42:43]
	s_nop 0
	;;#ASMSTART
	v_pk_mul_f32 v[40:41], v[42:43], v[40:41]
	;;#ASMEND
	s_nop 0
	v_cvt_f16_f32_e32 v27, v40
	v_cvt_f32_f16_e32 v40, v16
	v_cvt_f16_f32_e32 v31, v41
	v_cvt_f32_f16_sdwa v16, v16 dst_sel:DWORD dst_unused:UNUSED_PAD src0_sel:WORD_1
	v_min_f32_e32 v40, v40, v34
	v_cvt_f16_f32_e32 v40, v40
	v_min_f32_e32 v16, v16, v34
	v_cvt_f16_f32_e32 v16, v16
	v_pack_b32_f16 v27, v27, v31
	v_cvt_f32_f16_e32 v41, v40
	v_mul_f32_e32 v42, 0xbfb8aa3b, v41
	v_fma_mix_f32 v43, v40, s16, -v42 op_sel_hi:[1,0,0]
	v_cmp_nlt_f32_e32 vcc, s23, v41
	v_fma_mix_f32 v40, v40, s22, v43 op_sel_hi:[1,0,0]
	v_rndne_f32_e32 v43, v42
	v_sub_f32_e32 v42, v42, v43
	v_add_f32_e32 v40, v42, v40
	v_exp_f32_e32 v40, v40
	v_cvt_i32_f32_e32 v42, v43
	v_med3_f32 v43, -s17, v20, s17
	v_cvt_f32_f16_e32 v20, v16
	v_ldexp_f32 v40, v40, v42
	v_cndmask_b32_e32 v40, 0, v40, vcc
	v_cmp_ngt_f32_e32 vcc, s24, v41
	v_med3_f32 v42, -s17, v39, s17
	v_mul_f32_e32 v39, 0xbfb8aa3b, v20
	v_cndmask_b32_e32 v40, v35, v40, vcc
	v_add_f32_e32 v40, 1.0, v40
	v_rcp_f32_e32 v40, v40
	v_cmp_nlt_f32_e32 vcc, s23, v20
	v_mul_f32_e32 v40, v40, v41
	v_fma_mix_f32 v41, v16, s16, -v39 op_sel_hi:[1,0,0]
	s_nop 0
	v_fma_mix_f32 v16, v16, s22, v41 op_sel_hi:[1,0,0]
	v_rndne_f32_e32 v41, v39
	v_sub_f32_e32 v39, v39, v41
	v_add_f32_e32 v16, v39, v16
	v_exp_f32_e32 v16, v16
	v_cvt_i32_f32_e32 v39, v41
	v_ldexp_f32 v16, v16, v39
	v_cndmask_b32_e32 v16, 0, v16, vcc
	v_cmp_ngt_f32_e32 vcc, s24, v20
	v_cvt_f32_f16_e32 v39, v21
	v_cvt_f32_f16_sdwa v21, v21 dst_sel:DWORD dst_unused:UNUSED_PAD src0_sel:WORD_1
	v_cndmask_b32_e32 v16, v35, v16, vcc
	v_add_f32_e32 v16, 1.0, v16
	v_rcp_f32_e32 v16, v16
	s_nop 0
	v_mul_f32_e32 v41, v16, v20
	;;#ASMSTART
	v_pk_mul_f32 v[40:41], v[40:41], v[42:43]
	;;#ASMEND
	s_nop 0
	v_cvt_f16_f32_e32 v20, v41
	v_med3_f32 v41, -s17, v21, s17
	v_cvt_f32_f16_sdwa v21, v17 dst_sel:DWORD dst_unused:UNUSED_PAD src0_sel:WORD_1
	v_cvt_f32_f16_e32 v17, v17
	v_cvt_f16_f32_e32 v16, v40
	v_med3_f32 v40, -s17, v39, s17
	v_min_f32_e32 v21, v21, v37
	v_min_f32_e32 v17, v17, v36
	v_cvt_f16_f32_e32 v17, v17
	v_cvt_f16_f32_e32 v21, v21
	v_pack_b32_f16 v16, v16, v20
	v_cvt_f32_f16_e32 v42, v17
	v_cvt_f32_f16_e32 v43, v21
	v_mul_f32_e32 v39, 0xbfb8aa3b, v42
	v_fma_mix_f32 v44, v17, s16, -v39 op_sel_hi:[1,0,0]
	v_cmp_nlt_f32_e32 vcc, s23, v42
	v_fma_mix_f32 v17, v17, s22, v44 op_sel_hi:[1,0,0]
	v_rndne_f32_e32 v44, v39
	v_sub_f32_e32 v39, v39, v44
	v_add_f32_e32 v17, v39, v17
	v_exp_f32_e32 v17, v17
	v_cvt_i32_f32_e32 v39, v44
	v_ldexp_f32 v17, v17, v39
	v_cndmask_b32_e32 v17, 0, v17, vcc
	v_cmp_ngt_f32_e32 vcc, s24, v42
	s_nop 1
	v_cndmask_b32_e32 v17, v35, v17, vcc
	v_add_f32_e32 v17, 1.0, v17
	v_rcp_f32_e32 v44, v17
	v_mul_f32_e32 v17, 0xbfb8aa3b, v43
	v_fma_mix_f32 v39, v21, s16, -v17 op_sel_hi:[1,0,0]
	v_cmp_nlt_f32_e32 vcc, s23, v43
	v_fma_mix_f32 v21, v21, s22, v39 op_sel_hi:[1,0,0]
	v_rndne_f32_e32 v39, v17
	v_sub_f32_e32 v17, v17, v39
	v_add_f32_e32 v17, v17, v21
	v_exp_f32_e32 v17, v17
	v_cvt_i32_f32_e32 v21, v39
	v_cvt_f32_f16_e32 v39, v22
	v_cvt_f32_f16_sdwa v22, v22 dst_sel:DWORD dst_unused:UNUSED_PAD src0_sel:WORD_1
	v_ldexp_f32 v17, v17, v21
	v_cndmask_b32_e32 v17, 0, v17, vcc
	v_cmp_ngt_f32_e32 vcc, s24, v43
	s_nop 1
	v_cndmask_b32_e32 v17, v35, v17, vcc
	v_add_f32_e32 v17, 1.0, v17
	v_rcp_f32_e32 v45, v17
	s_nop 0
	v_pk_mul_f32 v[42:43], v[44:45], v[42:43]
	s_nop 0
	;;#ASMSTART
	v_pk_mul_f32 v[40:41], v[42:43], v[40:41]
	;;#ASMEND
	s_nop 0
	v_cvt_f16_f32_e32 v21, v41
	v_med3_f32 v41, -s17, v22, s17
	v_cvt_f32_f16_sdwa v22, v18 dst_sel:DWORD dst_unused:UNUSED_PAD src0_sel:WORD_1
	v_cvt_f32_f16_e32 v18, v18
	v_cvt_f16_f32_e32 v17, v40
	v_med3_f32 v40, -s17, v39, s17
	v_min_f32_e32 v22, v22, v37
	v_min_f32_e32 v18, v18, v36
	v_cvt_f16_f32_e32 v18, v18
	v_cvt_f16_f32_e32 v22, v22
	v_pack_b32_f16 v17, v17, v21
	v_cvt_f32_f16_e32 v42, v18
	v_cvt_f32_f16_e32 v43, v22
	v_mul_f32_e32 v39, 0xbfb8aa3b, v42
	v_fma_mix_f32 v44, v18, s16, -v39 op_sel_hi:[1,0,0]
	v_cmp_nlt_f32_e32 vcc, s23, v42
	v_fma_mix_f32 v18, v18, s22, v44 op_sel_hi:[1,0,0]
	v_rndne_f32_e32 v44, v39
	v_sub_f32_e32 v39, v39, v44
	v_add_f32_e32 v18, v39, v18
	v_exp_f32_e32 v18, v18
	v_cvt_i32_f32_e32 v39, v44
	v_ldexp_f32 v18, v18, v39
	v_cndmask_b32_e32 v18, 0, v18, vcc
	v_cmp_ngt_f32_e32 vcc, s24, v42
	s_nop 1
	v_cndmask_b32_e32 v18, v35, v18, vcc
	v_add_f32_e32 v18, 1.0, v18
	v_rcp_f32_e32 v44, v18
	v_mul_f32_e32 v18, 0xbfb8aa3b, v43
	v_fma_mix_f32 v39, v22, s16, -v18 op_sel_hi:[1,0,0]
	v_cmp_nlt_f32_e32 vcc, s23, v43
	v_fma_mix_f32 v22, v22, s22, v39 op_sel_hi:[1,0,0]
	v_rndne_f32_e32 v39, v18
	v_sub_f32_e32 v18, v18, v39
	v_add_f32_e32 v18, v18, v22
	v_exp_f32_e32 v18, v18
	v_cvt_i32_f32_e32 v22, v39
	v_cvt_f32_f16_e32 v39, v23
	v_cvt_f32_f16_sdwa v23, v23 dst_sel:DWORD dst_unused:UNUSED_PAD src0_sel:WORD_1
	v_ldexp_f32 v18, v18, v22
	v_cndmask_b32_e32 v18, 0, v18, vcc
	v_cmp_ngt_f32_e32 vcc, s24, v43
	s_nop 1
	v_cndmask_b32_e32 v18, v35, v18, vcc
	v_add_f32_e32 v18, 1.0, v18
	v_rcp_f32_e32 v45, v18
	s_nop 0
	v_pk_mul_f32 v[42:43], v[44:45], v[42:43]
	s_nop 0
	;;#ASMSTART
	v_pk_mul_f32 v[40:41], v[42:43], v[40:41]
	;;#ASMEND
	s_nop 0
	v_cvt_f16_f32_e32 v22, v41
	v_med3_f32 v41, -s17, v23, s17
	v_cvt_f32_f16_sdwa v23, v19 dst_sel:DWORD dst_unused:UNUSED_PAD src0_sel:WORD_1
	v_cvt_f32_f16_e32 v19, v19
	v_cvt_f16_f32_e32 v18, v40
	v_med3_f32 v40, -s17, v39, s17
	v_min_f32_e32 v23, v23, v37
	v_min_f32_e32 v19, v19, v36
	v_cvt_f16_f32_e32 v19, v19
	v_cvt_f16_f32_e32 v23, v23
	v_pack_b32_f16 v18, v18, v22
	v_cvt_f32_f16_e32 v42, v19
	v_cvt_f32_f16_e32 v43, v23
	v_mul_f32_e32 v39, 0xbfb8aa3b, v42
	v_fma_mix_f32 v44, v19, s16, -v39 op_sel_hi:[1,0,0]
	v_cmp_nlt_f32_e32 vcc, s23, v42
	v_fma_mix_f32 v19, v19, s22, v44 op_sel_hi:[1,0,0]
	v_rndne_f32_e32 v44, v39
	v_sub_f32_e32 v39, v39, v44
	v_add_f32_e32 v19, v39, v19
	v_exp_f32_e32 v19, v19
	v_cvt_i32_f32_e32 v39, v44
	v_ldexp_f32 v19, v19, v39
	v_cndmask_b32_e32 v19, 0, v19, vcc
	v_cmp_ngt_f32_e32 vcc, s24, v42
	s_nop 1
	v_cndmask_b32_e32 v19, v35, v19, vcc
	v_add_f32_e32 v19, 1.0, v19
	v_rcp_f32_e32 v44, v19
	v_mul_f32_e32 v19, 0xbfb8aa3b, v43
	v_fma_mix_f32 v39, v23, s16, -v19 op_sel_hi:[1,0,0]
	v_cmp_nlt_f32_e32 vcc, s23, v43
	v_fma_mix_f32 v23, v23, s22, v39 op_sel_hi:[1,0,0]
	v_rndne_f32_e32 v39, v19
	v_sub_f32_e32 v19, v19, v39
	v_add_f32_e32 v19, v19, v23
	v_exp_f32_e32 v19, v19
	v_cvt_i32_f32_e32 v23, v39
	s_waitcnt vmcnt(1)
	v_cvt_f32_f16_e32 v39, v12
	v_cvt_f32_f16_sdwa v12, v12 dst_sel:DWORD dst_unused:UNUSED_PAD src0_sel:WORD_1
	v_ldexp_f32 v19, v19, v23
	v_cndmask_b32_e32 v19, 0, v19, vcc
	v_cmp_ngt_f32_e32 vcc, s24, v43
	s_nop 1
	v_cndmask_b32_e32 v19, v35, v19, vcc
	v_add_f32_e32 v19, 1.0, v19
	v_rcp_f32_e32 v45, v19
	s_nop 0
	v_pk_mul_f32 v[42:43], v[44:45], v[42:43]
	s_nop 0
	;;#ASMSTART
	v_pk_mul_f32 v[40:41], v[42:43], v[40:41]
	;;#ASMEND
	s_nop 0
	v_cvt_f16_f32_e32 v19, v40
	v_cvt_f32_f16_e32 v40, v8
	v_cvt_f16_f32_e32 v23, v41
	v_cvt_f32_f16_sdwa v8, v8 dst_sel:DWORD dst_unused:UNUSED_PAD src0_sel:WORD_1
	v_min_f32_e32 v40, v40, v34
	v_cvt_f16_f32_e32 v40, v40
	v_min_f32_e32 v8, v8, v34
	v_cvt_f16_f32_e32 v8, v8
	v_pack_b32_f16 v19, v19, v23
	v_cvt_f32_f16_e32 v41, v40
	v_mul_f32_e32 v42, 0xbfb8aa3b, v41
	v_fma_mix_f32 v43, v40, s16, -v42 op_sel_hi:[1,0,0]
	v_cmp_nlt_f32_e32 vcc, s23, v41
	v_fma_mix_f32 v40, v40, s22, v43 op_sel_hi:[1,0,0]
	v_rndne_f32_e32 v43, v42
	v_sub_f32_e32 v42, v42, v43
	v_add_f32_e32 v40, v42, v40
	v_exp_f32_e32 v40, v40
	v_cvt_i32_f32_e32 v42, v43
	v_med3_f32 v43, -s17, v12, s17
	v_cvt_f32_f16_e32 v12, v8
	v_ldexp_f32 v40, v40, v42
	v_cndmask_b32_e32 v40, 0, v40, vcc
	v_cmp_ngt_f32_e32 vcc, s24, v41
	v_med3_f32 v42, -s17, v39, s17
	v_mul_f32_e32 v39, 0xbfb8aa3b, v12
	v_cndmask_b32_e32 v40, v35, v40, vcc
	v_add_f32_e32 v40, 1.0, v40
	v_rcp_f32_e32 v40, v40
	v_cmp_nlt_f32_e32 vcc, s23, v12
	v_mul_f32_e32 v40, v40, v41
	v_fma_mix_f32 v41, v8, s16, -v39 op_sel_hi:[1,0,0]
	s_nop 0
	v_fma_mix_f32 v8, v8, s22, v41 op_sel_hi:[1,0,0]
	v_rndne_f32_e32 v41, v39
	v_sub_f32_e32 v39, v39, v41
	v_add_f32_e32 v8, v39, v8
	v_exp_f32_e32 v8, v8
	v_cvt_i32_f32_e32 v39, v41
	v_ldexp_f32 v8, v8, v39
	v_cndmask_b32_e32 v8, 0, v8, vcc
	v_cmp_ngt_f32_e32 vcc, s24, v12
	v_cvt_f32_f16_e32 v39, v13
	v_cvt_f32_f16_sdwa v13, v13 dst_sel:DWORD dst_unused:UNUSED_PAD src0_sel:WORD_1
	v_cndmask_b32_e32 v8, v35, v8, vcc
	v_add_f32_e32 v8, 1.0, v8
	v_rcp_f32_e32 v8, v8
	s_nop 0
	v_mul_f32_e32 v41, v8, v12
	;;#ASMSTART
	v_pk_mul_f32 v[40:41], v[40:41], v[42:43]
	;;#ASMEND
	s_nop 0
	v_cvt_f16_f32_e32 v12, v41
	v_med3_f32 v41, -s17, v13, s17
	v_cvt_f32_f16_sdwa v13, v9 dst_sel:DWORD dst_unused:UNUSED_PAD src0_sel:WORD_1
	v_cvt_f32_f16_e32 v9, v9
	v_cvt_f16_f32_e32 v8, v40
	v_med3_f32 v40, -s17, v39, s17
	v_min_f32_e32 v13, v13, v37
	v_min_f32_e32 v9, v9, v36
	v_cvt_f16_f32_e32 v9, v9
	v_cvt_f16_f32_e32 v13, v13
	v_pack_b32_f16 v8, v8, v12
	v_cvt_f32_f16_e32 v42, v9
	v_cvt_f32_f16_e32 v43, v13
	v_mul_f32_e32 v39, 0xbfb8aa3b, v42
	v_fma_mix_f32 v44, v9, s16, -v39 op_sel_hi:[1,0,0]
	v_cmp_nlt_f32_e32 vcc, s23, v42
	v_fma_mix_f32 v9, v9, s22, v44 op_sel_hi:[1,0,0]
	v_rndne_f32_e32 v44, v39
	v_sub_f32_e32 v39, v39, v44
	v_add_f32_e32 v9, v39, v9
	v_exp_f32_e32 v9, v9
	v_cvt_i32_f32_e32 v39, v44
	v_ldexp_f32 v9, v9, v39
	v_cndmask_b32_e32 v9, 0, v9, vcc
	v_cmp_ngt_f32_e32 vcc, s24, v42
	s_nop 1
	v_cndmask_b32_e32 v9, v35, v9, vcc
	v_add_f32_e32 v9, 1.0, v9
	v_rcp_f32_e32 v44, v9
	v_mul_f32_e32 v9, 0xbfb8aa3b, v43
	v_fma_mix_f32 v39, v13, s16, -v9 op_sel_hi:[1,0,0]
	v_cmp_nlt_f32_e32 vcc, s23, v43
	v_fma_mix_f32 v13, v13, s22, v39 op_sel_hi:[1,0,0]
	v_rndne_f32_e32 v39, v9
	v_sub_f32_e32 v9, v9, v39
	v_add_f32_e32 v9, v9, v13
	v_exp_f32_e32 v9, v9
	v_cvt_i32_f32_e32 v13, v39
	v_cvt_f32_f16_e32 v39, v14
	v_cvt_f32_f16_sdwa v14, v14 dst_sel:DWORD dst_unused:UNUSED_PAD src0_sel:WORD_1
	v_ldexp_f32 v9, v9, v13
	v_cndmask_b32_e32 v9, 0, v9, vcc
	v_cmp_ngt_f32_e32 vcc, s24, v43
	s_nop 1
	v_cndmask_b32_e32 v9, v35, v9, vcc
	v_add_f32_e32 v9, 1.0, v9
	v_rcp_f32_e32 v45, v9
	s_nop 0
	v_pk_mul_f32 v[42:43], v[44:45], v[42:43]
	s_nop 0
	;;#ASMSTART
	v_pk_mul_f32 v[40:41], v[42:43], v[40:41]
	;;#ASMEND
	s_nop 0
	v_cvt_f16_f32_e32 v13, v41
	v_med3_f32 v41, -s17, v14, s17
	v_cvt_f32_f16_sdwa v14, v10 dst_sel:DWORD dst_unused:UNUSED_PAD src0_sel:WORD_1
	v_cvt_f32_f16_e32 v10, v10
	v_cvt_f16_f32_e32 v9, v40
	v_med3_f32 v40, -s17, v39, s17
	v_min_f32_e32 v14, v14, v37
	v_min_f32_e32 v10, v10, v36
	v_cvt_f16_f32_e32 v10, v10
	v_cvt_f16_f32_e32 v14, v14
	v_pack_b32_f16 v9, v9, v13
	v_cvt_f32_f16_e32 v42, v10
	v_cvt_f32_f16_e32 v43, v14
	v_mul_f32_e32 v39, 0xbfb8aa3b, v42
	v_fma_mix_f32 v44, v10, s16, -v39 op_sel_hi:[1,0,0]
	v_cmp_nlt_f32_e32 vcc, s23, v42
	v_fma_mix_f32 v10, v10, s22, v44 op_sel_hi:[1,0,0]
	v_rndne_f32_e32 v44, v39
	v_sub_f32_e32 v39, v39, v44
	v_add_f32_e32 v10, v39, v10
	v_exp_f32_e32 v10, v10
	v_cvt_i32_f32_e32 v39, v44
	v_ldexp_f32 v10, v10, v39
	v_cndmask_b32_e32 v10, 0, v10, vcc
	v_cmp_ngt_f32_e32 vcc, s24, v42
	s_nop 1
	v_cndmask_b32_e32 v10, v35, v10, vcc
	v_add_f32_e32 v10, 1.0, v10
	v_rcp_f32_e32 v44, v10
	v_mul_f32_e32 v10, 0xbfb8aa3b, v43
	v_fma_mix_f32 v39, v14, s16, -v10 op_sel_hi:[1,0,0]
	v_cmp_nlt_f32_e32 vcc, s23, v43
	v_fma_mix_f32 v14, v14, s22, v39 op_sel_hi:[1,0,0]
	v_rndne_f32_e32 v39, v10
	v_sub_f32_e32 v10, v10, v39
	v_add_f32_e32 v10, v10, v14
	v_exp_f32_e32 v10, v10
	v_cvt_i32_f32_e32 v14, v39
	v_cvt_f32_f16_e32 v39, v15
	v_cvt_f32_f16_sdwa v15, v15 dst_sel:DWORD dst_unused:UNUSED_PAD src0_sel:WORD_1
	v_ldexp_f32 v10, v10, v14
	v_cndmask_b32_e32 v10, 0, v10, vcc
	v_cmp_ngt_f32_e32 vcc, s24, v43
	s_nop 1
	v_cndmask_b32_e32 v10, v35, v10, vcc
	v_add_f32_e32 v10, 1.0, v10
	v_rcp_f32_e32 v45, v10
	s_nop 0
	v_pk_mul_f32 v[42:43], v[44:45], v[42:43]
	s_nop 0
	;;#ASMSTART
	v_pk_mul_f32 v[40:41], v[42:43], v[40:41]
	;;#ASMEND
	s_nop 0
	v_cvt_f16_f32_e32 v14, v41
	v_med3_f32 v41, -s17, v15, s17
	v_cvt_f32_f16_sdwa v15, v11 dst_sel:DWORD dst_unused:UNUSED_PAD src0_sel:WORD_1
	v_cvt_f32_f16_e32 v11, v11
	v_cvt_f16_f32_e32 v10, v40
	v_med3_f32 v40, -s17, v39, s17
	v_min_f32_e32 v15, v15, v37
	v_min_f32_e32 v11, v11, v36
	v_cvt_f16_f32_e32 v11, v11
	v_cvt_f16_f32_e32 v15, v15
	v_pack_b32_f16 v10, v10, v14
	v_cvt_f32_f16_e32 v42, v11
	v_cvt_f32_f16_e32 v43, v15
	v_mul_f32_e32 v39, 0xbfb8aa3b, v42
	v_fma_mix_f32 v44, v11, s16, -v39 op_sel_hi:[1,0,0]
	v_cmp_nlt_f32_e32 vcc, s23, v42
	v_fma_mix_f32 v11, v11, s22, v44 op_sel_hi:[1,0,0]
	v_rndne_f32_e32 v44, v39
	v_sub_f32_e32 v39, v39, v44
	v_add_f32_e32 v11, v39, v11
	v_exp_f32_e32 v11, v11
	v_cvt_i32_f32_e32 v39, v44
	v_ldexp_f32 v11, v11, v39
	v_cndmask_b32_e32 v11, 0, v11, vcc
	v_cmp_ngt_f32_e32 vcc, s24, v42
	s_nop 1
	v_cndmask_b32_e32 v11, v35, v11, vcc
	v_add_f32_e32 v11, 1.0, v11
	v_rcp_f32_e32 v44, v11
	v_mul_f32_e32 v11, 0xbfb8aa3b, v43
	v_fma_mix_f32 v39, v15, s16, -v11 op_sel_hi:[1,0,0]
	v_cmp_nlt_f32_e32 vcc, s23, v43
	v_fma_mix_f32 v15, v15, s22, v39 op_sel_hi:[1,0,0]
	v_rndne_f32_e32 v39, v11
	v_sub_f32_e32 v11, v11, v39
	v_add_f32_e32 v11, v11, v15
	v_exp_f32_e32 v11, v11
	v_cvt_i32_f32_e32 v15, v39
	s_waitcnt vmcnt(0)
	v_cvt_f32_f16_e32 v39, v4
	v_cvt_f32_f16_sdwa v4, v4 dst_sel:DWORD dst_unused:UNUSED_PAD src0_sel:WORD_1
	v_ldexp_f32 v11, v11, v15
	v_cndmask_b32_e32 v11, 0, v11, vcc
	v_cmp_ngt_f32_e32 vcc, s24, v43
	s_nop 1
	v_cndmask_b32_e32 v11, v35, v11, vcc
	v_add_f32_e32 v11, 1.0, v11
	v_rcp_f32_e32 v45, v11
	s_nop 0
	v_pk_mul_f32 v[42:43], v[44:45], v[42:43]
	s_nop 0
	;;#ASMSTART
	v_pk_mul_f32 v[40:41], v[42:43], v[40:41]
	;;#ASMEND
	s_nop 0
	v_cvt_f16_f32_e32 v11, v40
	v_cvt_f32_f16_e32 v40, v0
	v_cvt_f16_f32_e32 v15, v41
	v_cvt_f32_f16_sdwa v0, v0 dst_sel:DWORD dst_unused:UNUSED_PAD src0_sel:WORD_1
	v_min_f32_e32 v40, v40, v34
	v_cvt_f16_f32_e32 v40, v40
	v_min_f32_e32 v0, v0, v34
	v_cvt_f16_f32_e32 v0, v0
	v_pack_b32_f16 v11, v11, v15
	v_cvt_f32_f16_e32 v41, v40
	v_mul_f32_e32 v42, 0xbfb8aa3b, v41
	v_fma_mix_f32 v43, v40, s16, -v42 op_sel_hi:[1,0,0]
	v_cmp_nlt_f32_e32 vcc, s23, v41
	v_fma_mix_f32 v40, v40, s22, v43 op_sel_hi:[1,0,0]
	v_rndne_f32_e32 v43, v42
	v_sub_f32_e32 v42, v42, v43
	v_add_f32_e32 v40, v42, v40
	v_exp_f32_e32 v40, v40
	v_cvt_i32_f32_e32 v42, v43
	v_med3_f32 v43, -s17, v4, s17
	v_cvt_f32_f16_e32 v4, v0
	v_ldexp_f32 v40, v40, v42
	v_cndmask_b32_e32 v40, 0, v40, vcc
	v_cmp_ngt_f32_e32 vcc, s24, v41
	v_med3_f32 v42, -s17, v39, s17
	v_mul_f32_e32 v39, 0xbfb8aa3b, v4
	v_cndmask_b32_e32 v40, v35, v40, vcc
	v_add_f32_e32 v40, 1.0, v40
	v_rcp_f32_e32 v40, v40
	v_cmp_nlt_f32_e32 vcc, s23, v4
	v_mul_f32_e32 v40, v40, v41
	v_fma_mix_f32 v41, v0, s16, -v39 op_sel_hi:[1,0,0]
	s_nop 0
	v_fma_mix_f32 v0, v0, s22, v41 op_sel_hi:[1,0,0]
	v_rndne_f32_e32 v41, v39
	v_sub_f32_e32 v39, v39, v41
	v_add_f32_e32 v0, v39, v0
	v_exp_f32_e32 v0, v0
	v_cvt_i32_f32_e32 v39, v41
	v_ldexp_f32 v0, v0, v39
	v_cndmask_b32_e32 v0, 0, v0, vcc
	v_cmp_ngt_f32_e32 vcc, s24, v4
	s_nop 1
	v_cndmask_b32_e32 v0, v35, v0, vcc
	v_add_f32_e32 v0, 1.0, v0
	v_rcp_f32_e32 v0, v0
	s_nop 0
	v_mul_f32_e32 v41, v0, v4
	v_cvt_f32_f16_e32 v0, v5
	;;#ASMSTART
	v_pk_mul_f32 v[40:41], v[40:41], v[42:43]
	;;#ASMEND
	s_nop 0
	v_cvt_f16_f32_e32 v4, v40
	v_med3_f32 v40, -s17, v0, s17
	v_cvt_f32_f16_sdwa v0, v5 dst_sel:DWORD dst_unused:UNUSED_PAD src0_sel:WORD_1
	v_cvt_f16_f32_e32 v39, v41
	v_med3_f32 v41, -s17, v0, s17
	v_cvt_f32_f16_sdwa v0, v1 dst_sel:DWORD dst_unused:UNUSED_PAD src0_sel:WORD_1
	v_cvt_f32_f16_e32 v1, v1
	v_min_f32_e32 v0, v0, v37
	v_min_f32_e32 v1, v1, v36
	v_cvt_f16_f32_e32 v42, v1
	v_cvt_f16_f32_e32 v5, v0
	v_cvt_f32_f16_e32 v0, v42
	v_cvt_f32_f16_e32 v1, v5
	v_mul_f32_e32 v43, 0xbfb8aa3b, v0
	v_fma_mix_f32 v44, v42, s16, -v43 op_sel_hi:[1,0,0]
	v_cmp_nlt_f32_e32 vcc, s23, v0
	v_fma_mix_f32 v42, v42, s22, v44 op_sel_hi:[1,0,0]
	v_rndne_f32_e32 v44, v43
	v_sub_f32_e32 v43, v43, v44
	v_add_f32_e32 v42, v43, v42
	v_exp_f32_e32 v42, v42
	v_cvt_i32_f32_e32 v43, v44
	v_ldexp_f32 v42, v42, v43
	v_mul_f32_e32 v43, 0xbfb8aa3b, v1
	v_fma_mix_f32 v44, v5, s16, -v43 op_sel_hi:[1,0,0]
	v_cndmask_b32_e32 v42, 0, v42, vcc
	v_fma_mix_f32 v5, v5, s22, v44 op_sel_hi:[1,0,0]
	v_rndne_f32_e32 v44, v43
	v_sub_f32_e32 v43, v43, v44
	v_add_f32_e32 v5, v43, v5
	v_exp_f32_e32 v5, v5
	v_cvt_i32_f32_e32 v43, v44
	v_cmp_ngt_f32_e32 vcc, s24, v0
	v_ldexp_f32 v5, v5, v43
	s_nop 0
	v_cndmask_b32_e32 v42, v35, v42, vcc
	v_cmp_nlt_f32_e32 vcc, s23, v1
	v_add_f32_e32 v42, 1.0, v42
	v_rcp_f32_e32 v42, v42
	v_cndmask_b32_e32 v5, 0, v5, vcc
	v_cmp_ngt_f32_e32 vcc, s24, v1
	s_nop 1
	v_cndmask_b32_e32 v5, v35, v5, vcc
	v_add_f32_e32 v5, 1.0, v5
	v_rcp_f32_e32 v43, v5
	s_nop 0
	v_pk_mul_f32 v[0:1], v[42:43], v[0:1]
	s_nop 0
	;;#ASMSTART
	v_pk_mul_f32 v[0:1], v[0:1], v[40:41]
	;;#ASMEND
	s_nop 0
	v_cvt_f16_f32_e32 v5, v0
	v_cvt_f16_f32_e32 v40, v1
	v_cvt_f32_f16_e32 v0, v6
	v_cvt_f32_f16_sdwa v1, v6 dst_sel:DWORD dst_unused:UNUSED_PAD src0_sel:WORD_1
	v_cvt_f32_f16_sdwa v6, v2 dst_sel:DWORD dst_unused:UNUSED_PAD src0_sel:WORD_1
	v_cvt_f32_f16_e32 v2, v2
	v_med3_f32 v0, -s17, v0, s17
	v_med3_f32 v1, -s17, v1, s17
	v_min_f32_e32 v6, v6, v37
	v_min_f32_e32 v2, v2, v36
	v_cvt_f16_f32_e32 v2, v2
	v_cvt_f16_f32_e32 v6, v6
	v_cvt_f32_f16_e32 v42, v2
	v_cvt_f32_f16_e32 v43, v6
	v_mul_f32_e32 v41, 0xbfb8aa3b, v42
	v_fma_mix_f32 v44, v2, s16, -v41 op_sel_hi:[1,0,0]
	v_cmp_nlt_f32_e32 vcc, s23, v42
	v_fma_mix_f32 v2, v2, s22, v44 op_sel_hi:[1,0,0]
	v_rndne_f32_e32 v44, v41
	v_sub_f32_e32 v41, v41, v44
	v_add_f32_e32 v2, v41, v2
	v_exp_f32_e32 v2, v2
	v_cvt_i32_f32_e32 v41, v44
	v_ldexp_f32 v2, v2, v41
	v_cndmask_b32_e32 v2, 0, v2, vcc
	v_cmp_ngt_f32_e32 vcc, s24, v42
	s_nop 1
	v_cndmask_b32_e32 v2, v35, v2, vcc
	v_add_f32_e32 v2, 1.0, v2
	v_rcp_f32_e32 v44, v2
	v_mul_f32_e32 v2, 0xbfb8aa3b, v43
	v_fma_mix_f32 v41, v6, s16, -v2 op_sel_hi:[1,0,0]
	v_cmp_nlt_f32_e32 vcc, s23, v43
	v_fma_mix_f32 v6, v6, s22, v41 op_sel_hi:[1,0,0]
	v_rndne_f32_e32 v41, v2
	v_sub_f32_e32 v2, v2, v41
	v_add_f32_e32 v2, v2, v6
	v_exp_f32_e32 v2, v2
	v_cvt_i32_f32_e32 v6, v41
	v_ldexp_f32 v2, v2, v6
	v_cndmask_b32_e32 v2, 0, v2, vcc
	v_cmp_ngt_f32_e32 vcc, s24, v43
	s_nop 1
	v_cndmask_b32_e32 v2, v35, v2, vcc
	v_add_f32_e32 v2, 1.0, v2
	v_rcp_f32_e32 v45, v2
	s_nop 0
	v_pk_mul_f32 v[42:43], v[44:45], v[42:43]
	s_nop 0
	;;#ASMSTART
	v_pk_mul_f32 v[0:1], v[42:43], v[0:1]
	;;#ASMEND
	s_nop 0
	v_cvt_f16_f32_e32 v2, v0
	v_cvt_f16_f32_e32 v6, v1
	v_cvt_f32_f16_e32 v0, v7
	v_cvt_f32_f16_sdwa v1, v7 dst_sel:DWORD dst_unused:UNUSED_PAD src0_sel:WORD_1
	v_cvt_f32_f16_sdwa v7, v3 dst_sel:DWORD dst_unused:UNUSED_PAD src0_sel:WORD_1
	v_cvt_f32_f16_e32 v3, v3
	v_med3_f32 v0, -s17, v0, s17
	v_med3_f32 v1, -s17, v1, s17
	v_min_f32_e32 v7, v7, v37
	v_min_f32_e32 v3, v3, v36
	v_cvt_f16_f32_e32 v3, v3
	v_cvt_f16_f32_e32 v7, v7
	v_pack_b32_f16 v2, v2, v6
	v_cvt_f32_f16_e32 v42, v3
	v_cvt_f32_f16_e32 v43, v7
	v_mul_f32_e32 v41, 0xbfb8aa3b, v42
	v_fma_mix_f32 v44, v3, s16, -v41 op_sel_hi:[1,0,0]
	v_cmp_nlt_f32_e32 vcc, s23, v42
	v_fma_mix_f32 v3, v3, s22, v44 op_sel_hi:[1,0,0]
	v_rndne_f32_e32 v44, v41
	v_sub_f32_e32 v41, v41, v44
	v_add_f32_e32 v3, v41, v3
	v_exp_f32_e32 v3, v3
	v_cvt_i32_f32_e32 v41, v44
	v_ldexp_f32 v3, v3, v41
	v_cndmask_b32_e32 v3, 0, v3, vcc
	v_cmp_ngt_f32_e32 vcc, s24, v42
	s_nop 1
	v_cndmask_b32_e32 v3, v35, v3, vcc
	v_add_f32_e32 v3, 1.0, v3
	v_rcp_f32_e32 v44, v3
	v_mul_f32_e32 v3, 0xbfb8aa3b, v43
	v_fma_mix_f32 v41, v7, s16, -v3 op_sel_hi:[1,0,0]
	v_cmp_nlt_f32_e32 vcc, s23, v43
	v_fma_mix_f32 v7, v7, s22, v41 op_sel_hi:[1,0,0]
	v_rndne_f32_e32 v41, v3
	v_sub_f32_e32 v3, v3, v41
	v_add_f32_e32 v3, v3, v7
	v_exp_f32_e32 v3, v3
	v_cvt_i32_f32_e32 v7, v41
	v_ldexp_f32 v3, v3, v7
	v_cndmask_b32_e32 v3, 0, v3, vcc
	v_cmp_ngt_f32_e32 vcc, s24, v43
	s_nop 1
	v_cndmask_b32_e32 v3, v35, v3, vcc
	v_add_f32_e32 v3, 1.0, v3
	v_rcp_f32_e32 v45, v3
	s_nop 0
	v_pk_mul_f32 v[42:43], v[44:45], v[42:43]
	s_nop 0
	;;#ASMSTART
	v_pk_mul_f32 v[0:1], v[42:43], v[0:1]
	;;#ASMEND
	s_load_dword s20, s[0:1], 0xc
	v_cvt_f16_f32_e32 v3, v0
	v_cvt_f16_f32_e32 v7, v1
	v_pack_b32_f16 v0, v4, v39
	v_pack_b32_f16 v1, v5, v40
	s_waitcnt lgkmcnt(0)
	s_and_b32 s20, s20, 0xffff
	s_lshl_b32 s20, s20, 5
	v_lshl_add_u64 v[32:33], s[20:21], 0, v[32:33]
	v_cmp_le_i64_e32 vcc, s[18:19], v[32:33]
	v_pack_b32_f16 v3, v3, v7
	s_or_b64 s[2:3], vcc, s[2:3]
	buffer_store_dwordx4 v[24:27], v38, s[12:15], 0 offen
	buffer_store_dwordx4 v[16:19], v38, s[12:15], 16 offen
	;; [unrolled: 1-line block ×4, first 2 shown]
	s_andn2_b64 exec, exec, s[2:3]
	s_cbranch_execnz .LBB16_2
.LBB16_3:
	s_endpgm
	.section	.rodata,"a",@progbits
	.p2align	6, 0x0
	.amdhsa_kernel _ZN5aiter18act_and_mul_kernelIDF16_DF16_TnPFfRKT_EXadL_ZNS_11silu_kernelIDF16_EEfS3_EELi32ELb1ELi3EEEvPT0_PS2_if
		.amdhsa_group_segment_fixed_size 0
		.amdhsa_private_segment_fixed_size 0
		.amdhsa_kernarg_size 280
		.amdhsa_user_sgpr_count 2
		.amdhsa_user_sgpr_dispatch_ptr 0
		.amdhsa_user_sgpr_queue_ptr 0
		.amdhsa_user_sgpr_kernarg_segment_ptr 1
		.amdhsa_user_sgpr_dispatch_id 0
		.amdhsa_user_sgpr_kernarg_preload_length 0
		.amdhsa_user_sgpr_kernarg_preload_offset 0
		.amdhsa_user_sgpr_private_segment_size 0
		.amdhsa_uses_dynamic_stack 0
		.amdhsa_enable_private_segment 0
		.amdhsa_system_sgpr_workgroup_id_x 1
		.amdhsa_system_sgpr_workgroup_id_y 0
		.amdhsa_system_sgpr_workgroup_id_z 0
		.amdhsa_system_sgpr_workgroup_info 0
		.amdhsa_system_vgpr_workitem_id 0
		.amdhsa_next_free_vgpr 46
		.amdhsa_next_free_sgpr 25
		.amdhsa_accum_offset 48
		.amdhsa_reserve_vcc 1
		.amdhsa_float_round_mode_32 0
		.amdhsa_float_round_mode_16_64 0
		.amdhsa_float_denorm_mode_32 3
		.amdhsa_float_denorm_mode_16_64 3
		.amdhsa_dx10_clamp 1
		.amdhsa_ieee_mode 1
		.amdhsa_fp16_overflow 0
		.amdhsa_tg_split 0
		.amdhsa_exception_fp_ieee_invalid_op 0
		.amdhsa_exception_fp_denorm_src 0
		.amdhsa_exception_fp_ieee_div_zero 0
		.amdhsa_exception_fp_ieee_overflow 0
		.amdhsa_exception_fp_ieee_underflow 0
		.amdhsa_exception_fp_ieee_inexact 0
		.amdhsa_exception_int_div_zero 0
	.end_amdhsa_kernel
	.section	.text._ZN5aiter18act_and_mul_kernelIDF16_DF16_TnPFfRKT_EXadL_ZNS_11silu_kernelIDF16_EEfS3_EELi32ELb1ELi3EEEvPT0_PS2_if,"axG",@progbits,_ZN5aiter18act_and_mul_kernelIDF16_DF16_TnPFfRKT_EXadL_ZNS_11silu_kernelIDF16_EEfS3_EELi32ELb1ELi3EEEvPT0_PS2_if,comdat
.Lfunc_end16:
	.size	_ZN5aiter18act_and_mul_kernelIDF16_DF16_TnPFfRKT_EXadL_ZNS_11silu_kernelIDF16_EEfS3_EELi32ELb1ELi3EEEvPT0_PS2_if, .Lfunc_end16-_ZN5aiter18act_and_mul_kernelIDF16_DF16_TnPFfRKT_EXadL_ZNS_11silu_kernelIDF16_EEfS3_EELi32ELb1ELi3EEEvPT0_PS2_if
                                        ; -- End function
	.section	.AMDGPU.csdata,"",@progbits
; Kernel info:
; codeLenInByte = 4684
; NumSgprs: 31
; NumVgprs: 46
; NumAgprs: 0
; TotalNumVgprs: 46
; ScratchSize: 0
; MemoryBound: 0
; FloatMode: 240
; IeeeMode: 1
; LDSByteSize: 0 bytes/workgroup (compile time only)
; SGPRBlocks: 3
; VGPRBlocks: 5
; NumSGPRsForWavesPerEU: 31
; NumVGPRsForWavesPerEU: 46
; AccumOffset: 48
; Occupancy: 8
; WaveLimiterHint : 0
; COMPUTE_PGM_RSRC2:SCRATCH_EN: 0
; COMPUTE_PGM_RSRC2:USER_SGPR: 2
; COMPUTE_PGM_RSRC2:TRAP_HANDLER: 0
; COMPUTE_PGM_RSRC2:TGID_X_EN: 1
; COMPUTE_PGM_RSRC2:TGID_Y_EN: 0
; COMPUTE_PGM_RSRC2:TGID_Z_EN: 0
; COMPUTE_PGM_RSRC2:TIDIG_COMP_CNT: 0
; COMPUTE_PGM_RSRC3_GFX90A:ACCUM_OFFSET: 11
; COMPUTE_PGM_RSRC3_GFX90A:TG_SPLIT: 0
	.section	.text._ZN5aiter18act_and_mul_kernelIDF16_DF16_TnPFfRKT_EXadL_ZNS_11silu_kernelIDF16_EEfS3_EELi16ELb1ELi3EEEvPT0_PS2_if,"axG",@progbits,_ZN5aiter18act_and_mul_kernelIDF16_DF16_TnPFfRKT_EXadL_ZNS_11silu_kernelIDF16_EEfS3_EELi16ELb1ELi3EEEvPT0_PS2_if,comdat
	.protected	_ZN5aiter18act_and_mul_kernelIDF16_DF16_TnPFfRKT_EXadL_ZNS_11silu_kernelIDF16_EEfS3_EELi16ELb1ELi3EEEvPT0_PS2_if ; -- Begin function _ZN5aiter18act_and_mul_kernelIDF16_DF16_TnPFfRKT_EXadL_ZNS_11silu_kernelIDF16_EEfS3_EELi16ELb1ELi3EEEvPT0_PS2_if
	.globl	_ZN5aiter18act_and_mul_kernelIDF16_DF16_TnPFfRKT_EXadL_ZNS_11silu_kernelIDF16_EEfS3_EELi16ELb1ELi3EEEvPT0_PS2_if
	.p2align	8
	.type	_ZN5aiter18act_and_mul_kernelIDF16_DF16_TnPFfRKT_EXadL_ZNS_11silu_kernelIDF16_EEfS3_EELi16ELb1ELi3EEEvPT0_PS2_if,@function
_ZN5aiter18act_and_mul_kernelIDF16_DF16_TnPFfRKT_EXadL_ZNS_11silu_kernelIDF16_EEfS3_EELi16ELb1ELi3EEEvPT0_PS2_if: ; @_ZN5aiter18act_and_mul_kernelIDF16_DF16_TnPFfRKT_EXadL_ZNS_11silu_kernelIDF16_EEfS3_EELi16ELb1ELi3EEEvPT0_PS2_if
; %bb.0:
	s_load_dwordx2 s[16:17], s[0:1], 0x10
	v_lshlrev_b32_e32 v16, 4, v0
	s_waitcnt lgkmcnt(0)
	v_cmp_gt_i32_e32 vcc, s16, v16
	s_and_saveexec_b64 s[4:5], vcc
	s_cbranch_execz .LBB17_3
; %bb.1:
	s_load_dwordx4 s[12:15], s[0:1], 0x0
	s_ashr_i32 s19, s16, 31
	s_mul_hi_u32 s3, s16, s2
	s_mul_i32 s4, s19, s2
	s_add_i32 s3, s3, s4
	s_mul_i32 s2, s16, s2
	s_lshl_b64 s[10:11], s[2:3], 1
	s_lshl_b64 s[2:3], s[2:3], 2
	s_mov_b32 s18, s16
	s_waitcnt lgkmcnt(0)
	s_add_u32 s4, s14, s2
	s_addc_u32 s5, s15, s3
	s_lshl_b64 s[2:3], s[18:19], 1
	s_add_u32 s8, s4, s2
	s_addc_u32 s2, s5, s3
	s_add_i32 s3, s16, 1
	s_lshr_b32 s6, s3, 31
	s_add_i32 s3, s3, s6
	s_lshl_b32 s3, s3, 1
	s_and_b32 s6, s3, -4
	s_and_b32 s5, s5, 0xffff
	s_and_b32 s9, s2, 0xffff
	s_add_u32 s12, s12, s10
	s_addc_u32 s2, s13, s11
	s_and_b32 s13, s2, 0xffff
	s_mov_b32 s7, 0x20000
	s_add_u32 s0, s0, 24
	s_mov_b32 s10, s17
	v_mov_b32_e32 v17, 0
	s_addc_u32 s1, s1, 0
	s_mov_b64 s[2:3], 0
	s_mov_b32 s21, 0
	v_max_f32_e64 v18, s17, s17
	s_mov_b32 s16, 0xbfb8aa3b
	s_mov_b32 s22, 0xb2a5705f
	;; [unrolled: 1-line block ×4, first 2 shown]
	v_mov_b32_e32 v19, 0x7f800000
	v_max_f32_e64 v20, s10, s10
	v_max_f32_e64 v21, s17, s17
	s_mov_b32 s10, s6
	s_mov_b32 s11, s7
	;; [unrolled: 1-line block ×4, first 2 shown]
.LBB17_2:                               ; =>This Inner Loop Header: Depth=1
	v_lshlrev_b32_e32 v22, 1, v16
	buffer_load_dwordx4 v[8:11], v22, s[4:7], 0 offen sc0 nt
	buffer_load_dwordx4 v[0:3], v22, s[4:7], 16 offen sc0 nt
	;; [unrolled: 1-line block ×4, first 2 shown]
	s_waitcnt vmcnt(3)
	v_cvt_f32_f16_e32 v24, v8
	v_cvt_f32_f16_sdwa v8, v8 dst_sel:DWORD dst_unused:UNUSED_PAD src0_sel:WORD_1
	s_waitcnt vmcnt(1)
	v_cvt_f32_f16_e32 v23, v12
	v_cvt_f32_f16_sdwa v12, v12 dst_sel:DWORD dst_unused:UNUSED_PAD src0_sel:WORD_1
	v_min_f32_e32 v24, v24, v18
	v_cvt_f16_f32_e32 v24, v24
	v_min_f32_e32 v8, v8, v18
	v_cvt_f16_f32_e32 v8, v8
	v_cvt_f32_f16_e32 v25, v24
	v_mul_f32_e32 v26, 0xbfb8aa3b, v25
	v_fma_mix_f32 v27, v24, s16, -v26 op_sel_hi:[1,0,0]
	v_cmp_nlt_f32_e32 vcc, s23, v25
	v_fma_mix_f32 v24, v24, s22, v27 op_sel_hi:[1,0,0]
	v_rndne_f32_e32 v27, v26
	v_sub_f32_e32 v26, v26, v27
	v_add_f32_e32 v24, v26, v24
	v_exp_f32_e32 v24, v24
	v_cvt_i32_f32_e32 v26, v27
	v_med3_f32 v27, -s17, v12, s17
	v_cvt_f32_f16_e32 v12, v8
	v_ldexp_f32 v24, v24, v26
	v_cndmask_b32_e32 v24, 0, v24, vcc
	v_cmp_ngt_f32_e32 vcc, s24, v25
	v_med3_f32 v26, -s17, v23, s17
	v_mul_f32_e32 v23, 0xbfb8aa3b, v12
	v_cndmask_b32_e32 v24, v19, v24, vcc
	v_add_f32_e32 v24, 1.0, v24
	v_rcp_f32_e32 v24, v24
	v_cmp_nlt_f32_e32 vcc, s23, v12
	v_mul_f32_e32 v24, v24, v25
	v_fma_mix_f32 v25, v8, s16, -v23 op_sel_hi:[1,0,0]
	s_nop 0
	v_fma_mix_f32 v8, v8, s22, v25 op_sel_hi:[1,0,0]
	v_rndne_f32_e32 v25, v23
	v_sub_f32_e32 v23, v23, v25
	v_add_f32_e32 v8, v23, v8
	v_exp_f32_e32 v8, v8
	v_cvt_i32_f32_e32 v23, v25
	v_ldexp_f32 v8, v8, v23
	v_cndmask_b32_e32 v8, 0, v8, vcc
	v_cmp_ngt_f32_e32 vcc, s24, v12
	v_cvt_f32_f16_e32 v23, v13
	v_cvt_f32_f16_sdwa v13, v13 dst_sel:DWORD dst_unused:UNUSED_PAD src0_sel:WORD_1
	v_cndmask_b32_e32 v8, v19, v8, vcc
	v_add_f32_e32 v8, 1.0, v8
	v_rcp_f32_e32 v8, v8
	s_nop 0
	v_mul_f32_e32 v25, v8, v12
	;;#ASMSTART
	v_pk_mul_f32 v[24:25], v[24:25], v[26:27]
	;;#ASMEND
	s_nop 0
	v_cvt_f16_f32_e32 v12, v25
	v_med3_f32 v25, -s17, v13, s17
	v_cvt_f32_f16_sdwa v13, v9 dst_sel:DWORD dst_unused:UNUSED_PAD src0_sel:WORD_1
	v_cvt_f32_f16_e32 v9, v9
	v_cvt_f16_f32_e32 v8, v24
	v_med3_f32 v24, -s17, v23, s17
	v_min_f32_e32 v13, v13, v21
	v_min_f32_e32 v9, v9, v20
	v_cvt_f16_f32_e32 v9, v9
	v_cvt_f16_f32_e32 v13, v13
	v_cvt_f32_f16_e32 v26, v9
	v_cvt_f32_f16_e32 v27, v13
	v_mul_f32_e32 v23, 0xbfb8aa3b, v26
	v_fma_mix_f32 v28, v9, s16, -v23 op_sel_hi:[1,0,0]
	v_cmp_nlt_f32_e32 vcc, s23, v26
	v_fma_mix_f32 v9, v9, s22, v28 op_sel_hi:[1,0,0]
	v_rndne_f32_e32 v28, v23
	v_sub_f32_e32 v23, v23, v28
	v_add_f32_e32 v9, v23, v9
	v_exp_f32_e32 v9, v9
	v_cvt_i32_f32_e32 v23, v28
	v_ldexp_f32 v9, v9, v23
	v_cndmask_b32_e32 v9, 0, v9, vcc
	v_cmp_ngt_f32_e32 vcc, s24, v26
	s_nop 1
	v_cndmask_b32_e32 v9, v19, v9, vcc
	v_add_f32_e32 v9, 1.0, v9
	v_rcp_f32_e32 v28, v9
	v_mul_f32_e32 v9, 0xbfb8aa3b, v27
	v_fma_mix_f32 v23, v13, s16, -v9 op_sel_hi:[1,0,0]
	v_cmp_nlt_f32_e32 vcc, s23, v27
	v_fma_mix_f32 v13, v13, s22, v23 op_sel_hi:[1,0,0]
	v_rndne_f32_e32 v23, v9
	v_sub_f32_e32 v9, v9, v23
	v_add_f32_e32 v9, v9, v13
	v_exp_f32_e32 v9, v9
	v_cvt_i32_f32_e32 v13, v23
	v_cvt_f32_f16_e32 v23, v14
	v_cvt_f32_f16_sdwa v14, v14 dst_sel:DWORD dst_unused:UNUSED_PAD src0_sel:WORD_1
	v_ldexp_f32 v9, v9, v13
	v_cndmask_b32_e32 v9, 0, v9, vcc
	v_cmp_ngt_f32_e32 vcc, s24, v27
	s_nop 1
	v_cndmask_b32_e32 v9, v19, v9, vcc
	v_add_f32_e32 v9, 1.0, v9
	v_rcp_f32_e32 v29, v9
	s_nop 0
	v_pk_mul_f32 v[26:27], v[28:29], v[26:27]
	s_nop 0
	;;#ASMSTART
	v_pk_mul_f32 v[24:25], v[26:27], v[24:25]
	;;#ASMEND
	s_nop 0
	v_cvt_f16_f32_e32 v13, v25
	v_med3_f32 v25, -s17, v14, s17
	v_cvt_f32_f16_sdwa v14, v10 dst_sel:DWORD dst_unused:UNUSED_PAD src0_sel:WORD_1
	v_cvt_f32_f16_e32 v10, v10
	v_cvt_f16_f32_e32 v9, v24
	v_med3_f32 v24, -s17, v23, s17
	v_min_f32_e32 v14, v14, v21
	v_min_f32_e32 v10, v10, v20
	v_cvt_f16_f32_e32 v10, v10
	v_cvt_f16_f32_e32 v14, v14
	v_cvt_f32_f16_e32 v26, v10
	v_cvt_f32_f16_e32 v27, v14
	v_mul_f32_e32 v23, 0xbfb8aa3b, v26
	v_fma_mix_f32 v28, v10, s16, -v23 op_sel_hi:[1,0,0]
	v_cmp_nlt_f32_e32 vcc, s23, v26
	v_fma_mix_f32 v10, v10, s22, v28 op_sel_hi:[1,0,0]
	v_rndne_f32_e32 v28, v23
	v_sub_f32_e32 v23, v23, v28
	v_add_f32_e32 v10, v23, v10
	v_exp_f32_e32 v10, v10
	v_cvt_i32_f32_e32 v23, v28
	v_ldexp_f32 v10, v10, v23
	v_cndmask_b32_e32 v10, 0, v10, vcc
	v_cmp_ngt_f32_e32 vcc, s24, v26
	s_nop 1
	v_cndmask_b32_e32 v10, v19, v10, vcc
	v_add_f32_e32 v10, 1.0, v10
	v_rcp_f32_e32 v28, v10
	v_mul_f32_e32 v10, 0xbfb8aa3b, v27
	v_fma_mix_f32 v23, v14, s16, -v10 op_sel_hi:[1,0,0]
	v_cmp_nlt_f32_e32 vcc, s23, v27
	v_fma_mix_f32 v14, v14, s22, v23 op_sel_hi:[1,0,0]
	v_rndne_f32_e32 v23, v10
	v_sub_f32_e32 v10, v10, v23
	v_add_f32_e32 v10, v10, v14
	v_exp_f32_e32 v10, v10
	v_cvt_i32_f32_e32 v14, v23
	v_cvt_f32_f16_e32 v23, v15
	v_cvt_f32_f16_sdwa v15, v15 dst_sel:DWORD dst_unused:UNUSED_PAD src0_sel:WORD_1
	v_ldexp_f32 v10, v10, v14
	v_cndmask_b32_e32 v10, 0, v10, vcc
	v_cmp_ngt_f32_e32 vcc, s24, v27
	s_nop 1
	v_cndmask_b32_e32 v10, v19, v10, vcc
	v_add_f32_e32 v10, 1.0, v10
	v_rcp_f32_e32 v29, v10
	s_nop 0
	v_pk_mul_f32 v[26:27], v[28:29], v[26:27]
	s_nop 0
	;;#ASMSTART
	v_pk_mul_f32 v[24:25], v[26:27], v[24:25]
	;;#ASMEND
	s_nop 0
	v_cvt_f16_f32_e32 v14, v25
	v_med3_f32 v25, -s17, v15, s17
	v_cvt_f32_f16_sdwa v15, v11 dst_sel:DWORD dst_unused:UNUSED_PAD src0_sel:WORD_1
	v_cvt_f32_f16_e32 v11, v11
	v_cvt_f16_f32_e32 v10, v24
	v_med3_f32 v24, -s17, v23, s17
	v_min_f32_e32 v15, v15, v21
	v_min_f32_e32 v11, v11, v20
	v_cvt_f16_f32_e32 v11, v11
	v_cvt_f16_f32_e32 v15, v15
	v_cvt_f32_f16_e32 v26, v11
	v_cvt_f32_f16_e32 v27, v15
	v_mul_f32_e32 v23, 0xbfb8aa3b, v26
	v_fma_mix_f32 v28, v11, s16, -v23 op_sel_hi:[1,0,0]
	v_cmp_nlt_f32_e32 vcc, s23, v26
	v_fma_mix_f32 v11, v11, s22, v28 op_sel_hi:[1,0,0]
	v_rndne_f32_e32 v28, v23
	v_sub_f32_e32 v23, v23, v28
	v_add_f32_e32 v11, v23, v11
	v_exp_f32_e32 v11, v11
	v_cvt_i32_f32_e32 v23, v28
	v_ldexp_f32 v11, v11, v23
	v_cndmask_b32_e32 v11, 0, v11, vcc
	v_cmp_ngt_f32_e32 vcc, s24, v26
	s_nop 1
	v_cndmask_b32_e32 v11, v19, v11, vcc
	v_add_f32_e32 v11, 1.0, v11
	v_rcp_f32_e32 v28, v11
	v_mul_f32_e32 v11, 0xbfb8aa3b, v27
	v_fma_mix_f32 v23, v15, s16, -v11 op_sel_hi:[1,0,0]
	v_cmp_nlt_f32_e32 vcc, s23, v27
	v_fma_mix_f32 v15, v15, s22, v23 op_sel_hi:[1,0,0]
	v_rndne_f32_e32 v23, v11
	v_sub_f32_e32 v11, v11, v23
	v_add_f32_e32 v11, v11, v15
	v_exp_f32_e32 v11, v11
	v_cvt_i32_f32_e32 v15, v23
	s_waitcnt vmcnt(0)
	v_cvt_f32_f16_e32 v23, v4
	v_cvt_f32_f16_sdwa v4, v4 dst_sel:DWORD dst_unused:UNUSED_PAD src0_sel:WORD_1
	v_ldexp_f32 v11, v11, v15
	v_cndmask_b32_e32 v11, 0, v11, vcc
	v_cmp_ngt_f32_e32 vcc, s24, v27
	s_nop 1
	v_cndmask_b32_e32 v11, v19, v11, vcc
	v_add_f32_e32 v11, 1.0, v11
	v_rcp_f32_e32 v29, v11
	s_nop 0
	v_pk_mul_f32 v[26:27], v[28:29], v[26:27]
	s_nop 0
	;;#ASMSTART
	v_pk_mul_f32 v[24:25], v[26:27], v[24:25]
	;;#ASMEND
	s_nop 0
	v_cvt_f16_f32_e32 v11, v24
	v_cvt_f32_f16_e32 v24, v0
	v_cvt_f16_f32_e32 v15, v25
	v_cvt_f32_f16_sdwa v0, v0 dst_sel:DWORD dst_unused:UNUSED_PAD src0_sel:WORD_1
	v_min_f32_e32 v24, v24, v18
	v_cvt_f16_f32_e32 v24, v24
	v_min_f32_e32 v0, v0, v18
	v_cvt_f16_f32_e32 v0, v0
	v_cvt_f32_f16_e32 v25, v24
	v_mul_f32_e32 v26, 0xbfb8aa3b, v25
	v_fma_mix_f32 v27, v24, s16, -v26 op_sel_hi:[1,0,0]
	v_cmp_nlt_f32_e32 vcc, s23, v25
	v_fma_mix_f32 v24, v24, s22, v27 op_sel_hi:[1,0,0]
	v_rndne_f32_e32 v27, v26
	v_sub_f32_e32 v26, v26, v27
	v_add_f32_e32 v24, v26, v24
	v_exp_f32_e32 v24, v24
	v_cvt_i32_f32_e32 v26, v27
	v_med3_f32 v27, -s17, v4, s17
	v_cvt_f32_f16_e32 v4, v0
	v_ldexp_f32 v24, v24, v26
	v_cndmask_b32_e32 v24, 0, v24, vcc
	v_cmp_ngt_f32_e32 vcc, s24, v25
	v_med3_f32 v26, -s17, v23, s17
	v_mul_f32_e32 v23, 0xbfb8aa3b, v4
	v_cndmask_b32_e32 v24, v19, v24, vcc
	v_add_f32_e32 v24, 1.0, v24
	v_rcp_f32_e32 v24, v24
	v_cmp_nlt_f32_e32 vcc, s23, v4
	v_mul_f32_e32 v24, v24, v25
	v_fma_mix_f32 v25, v0, s16, -v23 op_sel_hi:[1,0,0]
	s_nop 0
	v_fma_mix_f32 v0, v0, s22, v25 op_sel_hi:[1,0,0]
	v_rndne_f32_e32 v25, v23
	v_sub_f32_e32 v23, v23, v25
	v_add_f32_e32 v0, v23, v0
	v_exp_f32_e32 v0, v0
	v_cvt_i32_f32_e32 v23, v25
	v_ldexp_f32 v0, v0, v23
	v_cndmask_b32_e32 v0, 0, v0, vcc
	v_cmp_ngt_f32_e32 vcc, s24, v4
	s_nop 1
	v_cndmask_b32_e32 v0, v19, v0, vcc
	v_add_f32_e32 v0, 1.0, v0
	v_rcp_f32_e32 v0, v0
	s_nop 0
	v_mul_f32_e32 v25, v0, v4
	v_cvt_f32_f16_e32 v0, v5
	;;#ASMSTART
	v_pk_mul_f32 v[24:25], v[24:25], v[26:27]
	;;#ASMEND
	v_med3_f32 v4, -s17, v0, s17
	v_cvt_f32_f16_sdwa v0, v5 dst_sel:DWORD dst_unused:UNUSED_PAD src0_sel:WORD_1
	v_cvt_f16_f32_e32 v23, v24
	v_cvt_f16_f32_e32 v24, v25
	v_med3_f32 v5, -s17, v0, s17
	v_cvt_f32_f16_sdwa v0, v1 dst_sel:DWORD dst_unused:UNUSED_PAD src0_sel:WORD_1
	v_cvt_f32_f16_e32 v1, v1
	v_min_f32_e32 v0, v0, v21
	v_min_f32_e32 v1, v1, v20
	v_cvt_f16_f32_e32 v26, v1
	v_cvt_f16_f32_e32 v25, v0
	v_cvt_f32_f16_e32 v0, v26
	v_cvt_f32_f16_e32 v1, v25
	v_mul_f32_e32 v27, 0xbfb8aa3b, v0
	v_fma_mix_f32 v28, v26, s16, -v27 op_sel_hi:[1,0,0]
	v_cmp_nlt_f32_e32 vcc, s23, v0
	v_fma_mix_f32 v26, v26, s22, v28 op_sel_hi:[1,0,0]
	v_rndne_f32_e32 v28, v27
	v_sub_f32_e32 v27, v27, v28
	v_add_f32_e32 v26, v27, v26
	v_exp_f32_e32 v26, v26
	v_cvt_i32_f32_e32 v27, v28
	v_ldexp_f32 v26, v26, v27
	v_mul_f32_e32 v27, 0xbfb8aa3b, v1
	v_fma_mix_f32 v28, v25, s16, -v27 op_sel_hi:[1,0,0]
	v_cndmask_b32_e32 v26, 0, v26, vcc
	v_fma_mix_f32 v25, v25, s22, v28 op_sel_hi:[1,0,0]
	v_rndne_f32_e32 v28, v27
	v_sub_f32_e32 v27, v27, v28
	v_add_f32_e32 v25, v27, v25
	v_exp_f32_e32 v25, v25
	v_cvt_i32_f32_e32 v27, v28
	v_cmp_ngt_f32_e32 vcc, s24, v0
	v_ldexp_f32 v25, v25, v27
	s_nop 0
	v_cndmask_b32_e32 v26, v19, v26, vcc
	v_cmp_nlt_f32_e32 vcc, s23, v1
	v_add_f32_e32 v26, 1.0, v26
	v_rcp_f32_e32 v26, v26
	v_cndmask_b32_e32 v25, 0, v25, vcc
	v_cmp_ngt_f32_e32 vcc, s24, v1
	s_nop 1
	v_cndmask_b32_e32 v25, v19, v25, vcc
	v_add_f32_e32 v25, 1.0, v25
	v_rcp_f32_e32 v27, v25
	s_nop 0
	v_pk_mul_f32 v[0:1], v[26:27], v[0:1]
	s_nop 0
	;;#ASMSTART
	v_pk_mul_f32 v[0:1], v[0:1], v[4:5]
	;;#ASMEND
	v_cvt_f32_f16_sdwa v4, v2 dst_sel:DWORD dst_unused:UNUSED_PAD src0_sel:WORD_1
	v_cvt_f32_f16_e32 v2, v2
	v_cvt_f16_f32_e32 v25, v0
	v_cvt_f16_f32_e32 v26, v1
	v_min_f32_e32 v4, v4, v21
	v_min_f32_e32 v2, v2, v20
	v_cvt_f16_f32_e32 v2, v2
	v_cvt_f32_f16_e32 v0, v6
	v_cvt_f32_f16_sdwa v1, v6 dst_sel:DWORD dst_unused:UNUSED_PAD src0_sel:WORD_1
	v_cvt_f16_f32_e32 v6, v4
	v_cvt_f32_f16_e32 v4, v2
	v_med3_f32 v0, -s17, v0, s17
	v_med3_f32 v1, -s17, v1, s17
	v_cvt_f32_f16_e32 v5, v6
	v_mul_f32_e32 v27, 0xbfb8aa3b, v4
	v_fma_mix_f32 v28, v2, s16, -v27 op_sel_hi:[1,0,0]
	v_cmp_nlt_f32_e32 vcc, s23, v4
	v_fma_mix_f32 v2, v2, s22, v28 op_sel_hi:[1,0,0]
	v_rndne_f32_e32 v28, v27
	v_sub_f32_e32 v27, v27, v28
	v_add_f32_e32 v2, v27, v2
	v_exp_f32_e32 v2, v2
	v_cvt_i32_f32_e32 v27, v28
	v_ldexp_f32 v2, v2, v27
	v_cndmask_b32_e32 v2, 0, v2, vcc
	v_cmp_ngt_f32_e32 vcc, s24, v4
	s_nop 1
	v_cndmask_b32_e32 v2, v19, v2, vcc
	v_add_f32_e32 v2, 1.0, v2
	v_rcp_f32_e32 v28, v2
	v_mul_f32_e32 v2, 0xbfb8aa3b, v5
	v_fma_mix_f32 v27, v6, s16, -v2 op_sel_hi:[1,0,0]
	v_cmp_nlt_f32_e32 vcc, s23, v5
	v_fma_mix_f32 v6, v6, s22, v27 op_sel_hi:[1,0,0]
	v_rndne_f32_e32 v27, v2
	v_sub_f32_e32 v2, v2, v27
	v_add_f32_e32 v2, v2, v6
	v_exp_f32_e32 v2, v2
	v_cvt_i32_f32_e32 v6, v27
	v_ldexp_f32 v2, v2, v6
	v_cndmask_b32_e32 v2, 0, v2, vcc
	v_cmp_ngt_f32_e32 vcc, s24, v5
	s_nop 1
	v_cndmask_b32_e32 v2, v19, v2, vcc
	v_add_f32_e32 v2, 1.0, v2
	v_rcp_f32_e32 v29, v2
	v_cvt_f32_f16_sdwa v2, v3 dst_sel:DWORD dst_unused:UNUSED_PAD src0_sel:WORD_1
	v_cvt_f32_f16_e32 v3, v3
	v_pk_mul_f32 v[4:5], v[28:29], v[4:5]
	s_nop 0
	;;#ASMSTART
	v_pk_mul_f32 v[0:1], v[4:5], v[0:1]
	;;#ASMEND
	v_min_f32_e32 v3, v3, v20
	v_cvt_f16_f32_e32 v4, v3
	v_min_f32_e32 v2, v2, v21
	v_cvt_f16_f32_e32 v5, v2
	v_cvt_f16_f32_e32 v6, v0
	v_cvt_f32_f16_e32 v2, v4
	v_cvt_f16_f32_e32 v27, v1
	v_cvt_f32_f16_e32 v0, v7
	v_cvt_f32_f16_sdwa v1, v7 dst_sel:DWORD dst_unused:UNUSED_PAD src0_sel:WORD_1
	v_mul_f32_e32 v7, 0xbfb8aa3b, v2
	v_fma_mix_f32 v28, v4, s16, -v7 op_sel_hi:[1,0,0]
	v_cvt_f32_f16_e32 v3, v5
	v_fma_mix_f32 v4, v4, s22, v28 op_sel_hi:[1,0,0]
	v_rndne_f32_e32 v28, v7
	v_sub_f32_e32 v7, v7, v28
	v_add_f32_e32 v4, v7, v4
	v_exp_f32_e32 v4, v4
	v_cvt_i32_f32_e32 v7, v28
	v_cmp_nlt_f32_e32 vcc, s23, v2
	v_med3_f32 v0, -s17, v0, s17
	v_med3_f32 v1, -s17, v1, s17
	v_ldexp_f32 v4, v4, v7
	v_mul_f32_e32 v7, 0xbfb8aa3b, v3
	v_fma_mix_f32 v28, v5, s16, -v7 op_sel_hi:[1,0,0]
	v_cndmask_b32_e32 v4, 0, v4, vcc
	v_fma_mix_f32 v5, v5, s22, v28 op_sel_hi:[1,0,0]
	v_rndne_f32_e32 v28, v7
	v_sub_f32_e32 v7, v7, v28
	v_add_f32_e32 v5, v7, v5
	v_exp_f32_e32 v5, v5
	v_cvt_i32_f32_e32 v7, v28
	v_cmp_ngt_f32_e32 vcc, s24, v2
	v_ldexp_f32 v5, v5, v7
	s_nop 0
	v_cndmask_b32_e32 v4, v19, v4, vcc
	v_cmp_nlt_f32_e32 vcc, s23, v3
	v_add_f32_e32 v4, 1.0, v4
	v_rcp_f32_e32 v4, v4
	v_cndmask_b32_e32 v5, 0, v5, vcc
	v_cmp_ngt_f32_e32 vcc, s24, v3
	s_nop 1
	v_cndmask_b32_e32 v5, v19, v5, vcc
	v_add_f32_e32 v5, 1.0, v5
	v_rcp_f32_e32 v5, v5
	s_nop 0
	v_pk_mul_f32 v[2:3], v[4:5], v[2:3]
	s_nop 0
	;;#ASMSTART
	v_pk_mul_f32 v[0:1], v[2:3], v[0:1]
	;;#ASMEND
	s_load_dword s20, s[0:1], 0xc
	v_cvt_f16_f32_e32 v4, v0
	v_cvt_f16_f32_e32 v5, v1
	v_pack_b32_f16 v0, v8, v12
	v_pack_b32_f16 v1, v9, v13
	s_waitcnt lgkmcnt(0)
	s_and_b32 s20, s20, 0xffff
	s_lshl_b32 s20, s20, 4
	v_lshl_add_u64 v[16:17], s[20:21], 0, v[16:17]
	v_pack_b32_f16 v2, v10, v14
	v_pack_b32_f16 v3, v11, v15
	v_cmp_le_i64_e32 vcc, s[18:19], v[16:17]
	buffer_store_dwordx4 v[0:3], v22, s[12:15], 0 offen
	s_or_b64 s[2:3], vcc, s[2:3]
	s_nop 0
	v_pack_b32_f16 v0, v23, v24
	v_pack_b32_f16 v1, v25, v26
	;; [unrolled: 1-line block ×4, first 2 shown]
	buffer_store_dwordx4 v[0:3], v22, s[12:15], 16 offen
	s_andn2_b64 exec, exec, s[2:3]
	s_cbranch_execnz .LBB17_2
.LBB17_3:
	s_endpgm
	.section	.rodata,"a",@progbits
	.p2align	6, 0x0
	.amdhsa_kernel _ZN5aiter18act_and_mul_kernelIDF16_DF16_TnPFfRKT_EXadL_ZNS_11silu_kernelIDF16_EEfS3_EELi16ELb1ELi3EEEvPT0_PS2_if
		.amdhsa_group_segment_fixed_size 0
		.amdhsa_private_segment_fixed_size 0
		.amdhsa_kernarg_size 280
		.amdhsa_user_sgpr_count 2
		.amdhsa_user_sgpr_dispatch_ptr 0
		.amdhsa_user_sgpr_queue_ptr 0
		.amdhsa_user_sgpr_kernarg_segment_ptr 1
		.amdhsa_user_sgpr_dispatch_id 0
		.amdhsa_user_sgpr_kernarg_preload_length 0
		.amdhsa_user_sgpr_kernarg_preload_offset 0
		.amdhsa_user_sgpr_private_segment_size 0
		.amdhsa_uses_dynamic_stack 0
		.amdhsa_enable_private_segment 0
		.amdhsa_system_sgpr_workgroup_id_x 1
		.amdhsa_system_sgpr_workgroup_id_y 0
		.amdhsa_system_sgpr_workgroup_id_z 0
		.amdhsa_system_sgpr_workgroup_info 0
		.amdhsa_system_vgpr_workitem_id 0
		.amdhsa_next_free_vgpr 30
		.amdhsa_next_free_sgpr 25
		.amdhsa_accum_offset 32
		.amdhsa_reserve_vcc 1
		.amdhsa_float_round_mode_32 0
		.amdhsa_float_round_mode_16_64 0
		.amdhsa_float_denorm_mode_32 3
		.amdhsa_float_denorm_mode_16_64 3
		.amdhsa_dx10_clamp 1
		.amdhsa_ieee_mode 1
		.amdhsa_fp16_overflow 0
		.amdhsa_tg_split 0
		.amdhsa_exception_fp_ieee_invalid_op 0
		.amdhsa_exception_fp_denorm_src 0
		.amdhsa_exception_fp_ieee_div_zero 0
		.amdhsa_exception_fp_ieee_overflow 0
		.amdhsa_exception_fp_ieee_underflow 0
		.amdhsa_exception_fp_ieee_inexact 0
		.amdhsa_exception_int_div_zero 0
	.end_amdhsa_kernel
	.section	.text._ZN5aiter18act_and_mul_kernelIDF16_DF16_TnPFfRKT_EXadL_ZNS_11silu_kernelIDF16_EEfS3_EELi16ELb1ELi3EEEvPT0_PS2_if,"axG",@progbits,_ZN5aiter18act_and_mul_kernelIDF16_DF16_TnPFfRKT_EXadL_ZNS_11silu_kernelIDF16_EEfS3_EELi16ELb1ELi3EEEvPT0_PS2_if,comdat
.Lfunc_end17:
	.size	_ZN5aiter18act_and_mul_kernelIDF16_DF16_TnPFfRKT_EXadL_ZNS_11silu_kernelIDF16_EEfS3_EELi16ELb1ELi3EEEvPT0_PS2_if, .Lfunc_end17-_ZN5aiter18act_and_mul_kernelIDF16_DF16_TnPFfRKT_EXadL_ZNS_11silu_kernelIDF16_EEfS3_EELi16ELb1ELi3EEEvPT0_PS2_if
                                        ; -- End function
	.section	.AMDGPU.csdata,"",@progbits
; Kernel info:
; codeLenInByte = 2488
; NumSgprs: 31
; NumVgprs: 30
; NumAgprs: 0
; TotalNumVgprs: 30
; ScratchSize: 0
; MemoryBound: 0
; FloatMode: 240
; IeeeMode: 1
; LDSByteSize: 0 bytes/workgroup (compile time only)
; SGPRBlocks: 3
; VGPRBlocks: 3
; NumSGPRsForWavesPerEU: 31
; NumVGPRsForWavesPerEU: 30
; AccumOffset: 32
; Occupancy: 8
; WaveLimiterHint : 0
; COMPUTE_PGM_RSRC2:SCRATCH_EN: 0
; COMPUTE_PGM_RSRC2:USER_SGPR: 2
; COMPUTE_PGM_RSRC2:TRAP_HANDLER: 0
; COMPUTE_PGM_RSRC2:TGID_X_EN: 1
; COMPUTE_PGM_RSRC2:TGID_Y_EN: 0
; COMPUTE_PGM_RSRC2:TGID_Z_EN: 0
; COMPUTE_PGM_RSRC2:TIDIG_COMP_CNT: 0
; COMPUTE_PGM_RSRC3_GFX90A:ACCUM_OFFSET: 7
; COMPUTE_PGM_RSRC3_GFX90A:TG_SPLIT: 0
	.section	.text._ZN5aiter18act_and_mul_kernelIDF16_DF16_TnPFfRKT_EXadL_ZNS_11silu_kernelIDF16_EEfS3_EELi8ELb1ELi3EEEvPT0_PS2_if,"axG",@progbits,_ZN5aiter18act_and_mul_kernelIDF16_DF16_TnPFfRKT_EXadL_ZNS_11silu_kernelIDF16_EEfS3_EELi8ELb1ELi3EEEvPT0_PS2_if,comdat
	.protected	_ZN5aiter18act_and_mul_kernelIDF16_DF16_TnPFfRKT_EXadL_ZNS_11silu_kernelIDF16_EEfS3_EELi8ELb1ELi3EEEvPT0_PS2_if ; -- Begin function _ZN5aiter18act_and_mul_kernelIDF16_DF16_TnPFfRKT_EXadL_ZNS_11silu_kernelIDF16_EEfS3_EELi8ELb1ELi3EEEvPT0_PS2_if
	.globl	_ZN5aiter18act_and_mul_kernelIDF16_DF16_TnPFfRKT_EXadL_ZNS_11silu_kernelIDF16_EEfS3_EELi8ELb1ELi3EEEvPT0_PS2_if
	.p2align	8
	.type	_ZN5aiter18act_and_mul_kernelIDF16_DF16_TnPFfRKT_EXadL_ZNS_11silu_kernelIDF16_EEfS3_EELi8ELb1ELi3EEEvPT0_PS2_if,@function
_ZN5aiter18act_and_mul_kernelIDF16_DF16_TnPFfRKT_EXadL_ZNS_11silu_kernelIDF16_EEfS3_EELi8ELb1ELi3EEEvPT0_PS2_if: ; @_ZN5aiter18act_and_mul_kernelIDF16_DF16_TnPFfRKT_EXadL_ZNS_11silu_kernelIDF16_EEfS3_EELi8ELb1ELi3EEEvPT0_PS2_if
; %bb.0:
	s_load_dwordx2 s[14:15], s[0:1], 0x10
	v_lshlrev_b32_e32 v8, 3, v0
	s_waitcnt lgkmcnt(0)
	v_cmp_gt_i32_e32 vcc, s14, v8
	s_and_saveexec_b64 s[4:5], vcc
	s_cbranch_execz .LBB18_3
; %bb.1:
	s_load_dwordx4 s[4:7], s[0:1], 0x0
	s_ashr_i32 s29, s14, 31
	s_mul_hi_u32 s3, s14, s2
	s_mul_i32 s8, s29, s2
	s_add_i32 s3, s3, s8
	s_mul_i32 s2, s14, s2
	s_lshl_b64 s[8:9], s[2:3], 1
	s_lshl_b64 s[2:3], s[2:3], 2
	s_mov_b32 s28, s14
	s_waitcnt lgkmcnt(0)
	s_add_u32 s16, s6, s2
	s_addc_u32 s6, s7, s3
	s_lshl_b64 s[2:3], s[28:29], 1
	s_add_u32 s20, s16, s2
	s_addc_u32 s2, s6, s3
	s_add_i32 s3, s14, 1
	s_lshr_b32 s7, s3, 31
	s_add_i32 s3, s3, s7
	s_lshl_b32 s3, s3, 1
	s_and_b32 s18, s3, -4
	s_and_b32 s17, s6, 0xffff
	s_and_b32 s21, s2, 0xffff
	s_add_u32 s24, s4, s8
	s_addc_u32 s2, s5, s9
	s_and_b32 s25, s2, 0xffff
	s_mov_b32 s19, 0x20000
	s_add_u32 s30, s0, 24
	s_mov_b32 s0, s15
	v_mov_b32_e32 v9, 0
	s_addc_u32 s31, s1, 0
	s_mov_b64 s[34:35], 0
	s_mov_b32 s37, 0
	v_max_f32_e64 v16, s15, s15
	s_mov_b32 s14, 0xbfb8aa3b
	s_mov_b32 s33, 0xb2a5705f
	;; [unrolled: 1-line block ×4, first 2 shown]
	v_mov_b32_e32 v17, 0x7f800000
	v_max_f32_e64 v18, s0, s0
	v_max_f32_e64 v19, s15, s15
	s_mov_b32 s22, s18
	s_mov_b32 s23, s19
	;; [unrolled: 1-line block ×4, first 2 shown]
.LBB18_2:                               ; =>This Inner Loop Header: Depth=1
	v_lshlrev_b32_e32 v20, 1, v8
	buffer_load_dwordx4 v[4:7], v20, s[20:23], 0 offen sc0 nt
	buffer_load_dwordx4 v[0:3], v20, s[16:19], 0 offen sc0 nt
	s_waitcnt vmcnt(1)
	v_cvt_f32_f16_e32 v10, v4
	s_waitcnt vmcnt(0)
	v_cvt_f32_f16_e32 v11, v0
	v_cvt_f32_f16_sdwa v4, v4 dst_sel:DWORD dst_unused:UNUSED_PAD src0_sel:WORD_1
	v_cvt_f32_f16_sdwa v12, v0 dst_sel:DWORD dst_unused:UNUSED_PAD src0_sel:WORD_1
	v_cvt_f32_f16_e32 v13, v5
	v_cvt_f32_f16_sdwa v14, v1 dst_sel:DWORD dst_unused:UNUSED_PAD src0_sel:WORD_1
	v_cvt_f32_f16_e32 v15, v1
	v_cvt_f32_f16_e32 v21, v6
	v_cvt_f32_f16_sdwa v22, v2 dst_sel:DWORD dst_unused:UNUSED_PAD src0_sel:WORD_1
	v_cvt_f32_f16_e32 v23, v2
	v_cvt_f32_f16_sdwa v25, v3 dst_sel:DWORD dst_unused:UNUSED_PAD src0_sel:WORD_1
	;; [unrolled: 2-line block ×3, first 2 shown]
	v_cvt_f32_f16_sdwa v6, v6 dst_sel:DWORD dst_unused:UNUSED_PAD src0_sel:WORD_1
	v_cvt_f32_f16_e32 v24, v7
	v_min_f32_e32 v11, v11, v16
	v_med3_f32 v0, -s15, v10, s15
	v_min_f32_e32 v10, v12, v16
	v_med3_f32 v1, -s15, v4, s15
	v_med3_f32 v2, -s15, v13, s15
	v_min_f32_e32 v12, v15, v18
	v_min_f32_e32 v13, v14, v19
	v_med3_f32 v4, -s15, v21, s15
	v_min_f32_e32 v14, v23, v18
	v_min_f32_e32 v15, v22, v19
	;; [unrolled: 1-line block ×4, first 2 shown]
	v_med3_f32 v3, -s15, v5, s15
	v_med3_f32 v5, -s15, v6, s15
	;; [unrolled: 1-line block ×3, first 2 shown]
	v_cvt_f16_f32_e32 v23, v11
	v_cvt_f16_f32_e32 v24, v10
	;; [unrolled: 1-line block ×8, first 2 shown]
	v_cvt_f32_f16_e32 v29, v23
	v_cvt_f32_f16_e32 v30, v24
	;; [unrolled: 1-line block ×8, first 2 shown]
	v_mul_f32_e32 v31, 0xbfb8aa3b, v29
	v_mul_f32_e32 v32, 0xbfb8aa3b, v30
	;; [unrolled: 1-line block ×8, first 2 shown]
	v_fma_mix_f32 v39, v23, s14, -v31 op_sel_hi:[1,0,0]
	v_rndne_f32_e32 v40, v31
	v_fma_mix_f32 v41, v24, s14, -v32 op_sel_hi:[1,0,0]
	v_rndne_f32_e32 v42, v32
	;; [unrolled: 2-line block ×8, first 2 shown]
	v_fma_mix_f32 v23, v23, s33, v39 op_sel_hi:[1,0,0]
	v_sub_f32_e32 v31, v31, v40
	v_fma_mix_f32 v24, v24, s33, v41 op_sel_hi:[1,0,0]
	v_sub_f32_e32 v32, v32, v42
	;; [unrolled: 2-line block ×8, first 2 shown]
	v_add_f32_e32 v23, v31, v23
	v_add_f32_e32 v24, v32, v24
	;; [unrolled: 1-line block ×8, first 2 shown]
	v_cvt_i32_f32_e32 v39, v40
	v_cvt_i32_f32_e32 v40, v42
	;; [unrolled: 1-line block ×8, first 2 shown]
	v_exp_f32_e32 v23, v23
	v_exp_f32_e32 v24, v24
	;; [unrolled: 1-line block ×8, first 2 shown]
	v_ldexp_f32 v23, v23, v39
	v_ldexp_f32 v24, v24, v40
	v_cmp_nlt_f32_e32 vcc, s38, v30
	v_ldexp_f32 v26, v26, v41
	v_cmp_nlt_f32_e64 s[0:1], s38, v12
	v_ldexp_f32 v25, v25, v42
	v_cmp_nlt_f32_e64 s[2:3], s38, v13
	;; [unrolled: 2-line block ×6, first 2 shown]
	v_cmp_nlt_f32_e64 s[12:13], s38, v29
	v_cndmask_b32_e32 v24, 0, v24, vcc
	v_cmp_ngt_f32_e32 vcc, s39, v30
	v_cndmask_b32_e64 v23, 0, v23, s[12:13]
	v_cndmask_b32_e64 v26, 0, v26, s[0:1]
	v_cmp_ngt_f32_e64 s[0:1], s39, v12
	v_cndmask_b32_e64 v25, 0, v25, s[2:3]
	v_cmp_ngt_f32_e64 s[2:3], s39, v13
	;; [unrolled: 2-line block ×6, first 2 shown]
	v_cmp_ngt_f32_e64 s[12:13], s39, v29
	v_cndmask_b32_e32 v24, v17, v24, vcc
	v_cndmask_b32_e64 v26, v17, v26, s[0:1]
	v_cndmask_b32_e64 v23, v17, v23, s[12:13]
	;; [unrolled: 1-line block ×7, first 2 shown]
	v_cvt_f32_f16_sdwa v7, v7 dst_sel:DWORD dst_unused:UNUSED_PAD src0_sel:WORD_1
	v_add_f32_e32 v23, 1.0, v23
	v_add_f32_e32 v24, 1.0, v24
	;; [unrolled: 1-line block ×8, first 2 shown]
	v_rcp_f32_e32 v32, v23
	v_rcp_f32_e32 v33, v24
	;; [unrolled: 1-line block ×8, first 2 shown]
	v_med3_f32 v7, -s15, v7, s15
	v_mul_f32_e32 v28, v32, v29
	v_mul_f32_e32 v29, v33, v30
	v_pk_mul_f32 v[12:13], v[22:23], v[12:13]
	v_pk_mul_f32 v[14:15], v[24:25], v[14:15]
	;; [unrolled: 1-line block ×3, first 2 shown]
	;;#ASMSTART
	v_pk_mul_f32 v[0:1], v[28:29], v[0:1]
	;;#ASMEND
	;;#ASMSTART
	v_pk_mul_f32 v[2:3], v[12:13], v[2:3]
	;;#ASMEND
	;; [unrolled: 3-line block ×3, first 2 shown]
	s_nop 0
	;;#ASMSTART
	v_pk_mul_f32 v[6:7], v[10:11], v[6:7]
	;;#ASMEND
	s_load_dword s0, s[30:31], 0xc
	v_cvt_f16_f32_e32 v0, v0
	v_cvt_f16_f32_e32 v1, v1
	;; [unrolled: 1-line block ×8, first 2 shown]
	s_waitcnt lgkmcnt(0)
	s_and_b32 s0, s0, 0xffff
	s_lshl_b32 s36, s0, 3
	v_lshl_add_u64 v[8:9], s[36:37], 0, v[8:9]
	v_cmp_le_i64_e32 vcc, s[28:29], v[8:9]
	v_pack_b32_f16 v0, v0, v1
	v_pack_b32_f16 v1, v2, v3
	;; [unrolled: 1-line block ×4, first 2 shown]
	s_or_b64 s[34:35], vcc, s[34:35]
	buffer_store_dwordx4 v[0:3], v20, s[24:27], 0 offen
	s_andn2_b64 exec, exec, s[34:35]
	s_cbranch_execnz .LBB18_2
.LBB18_3:
	s_endpgm
	.section	.rodata,"a",@progbits
	.p2align	6, 0x0
	.amdhsa_kernel _ZN5aiter18act_and_mul_kernelIDF16_DF16_TnPFfRKT_EXadL_ZNS_11silu_kernelIDF16_EEfS3_EELi8ELb1ELi3EEEvPT0_PS2_if
		.amdhsa_group_segment_fixed_size 0
		.amdhsa_private_segment_fixed_size 0
		.amdhsa_kernarg_size 280
		.amdhsa_user_sgpr_count 2
		.amdhsa_user_sgpr_dispatch_ptr 0
		.amdhsa_user_sgpr_queue_ptr 0
		.amdhsa_user_sgpr_kernarg_segment_ptr 1
		.amdhsa_user_sgpr_dispatch_id 0
		.amdhsa_user_sgpr_kernarg_preload_length 0
		.amdhsa_user_sgpr_kernarg_preload_offset 0
		.amdhsa_user_sgpr_private_segment_size 0
		.amdhsa_uses_dynamic_stack 0
		.amdhsa_enable_private_segment 0
		.amdhsa_system_sgpr_workgroup_id_x 1
		.amdhsa_system_sgpr_workgroup_id_y 0
		.amdhsa_system_sgpr_workgroup_id_z 0
		.amdhsa_system_sgpr_workgroup_info 0
		.amdhsa_system_vgpr_workitem_id 0
		.amdhsa_next_free_vgpr 55
		.amdhsa_next_free_sgpr 40
		.amdhsa_accum_offset 56
		.amdhsa_reserve_vcc 1
		.amdhsa_float_round_mode_32 0
		.amdhsa_float_round_mode_16_64 0
		.amdhsa_float_denorm_mode_32 3
		.amdhsa_float_denorm_mode_16_64 3
		.amdhsa_dx10_clamp 1
		.amdhsa_ieee_mode 1
		.amdhsa_fp16_overflow 0
		.amdhsa_tg_split 0
		.amdhsa_exception_fp_ieee_invalid_op 0
		.amdhsa_exception_fp_denorm_src 0
		.amdhsa_exception_fp_ieee_div_zero 0
		.amdhsa_exception_fp_ieee_overflow 0
		.amdhsa_exception_fp_ieee_underflow 0
		.amdhsa_exception_fp_ieee_inexact 0
		.amdhsa_exception_int_div_zero 0
	.end_amdhsa_kernel
	.section	.text._ZN5aiter18act_and_mul_kernelIDF16_DF16_TnPFfRKT_EXadL_ZNS_11silu_kernelIDF16_EEfS3_EELi8ELb1ELi3EEEvPT0_PS2_if,"axG",@progbits,_ZN5aiter18act_and_mul_kernelIDF16_DF16_TnPFfRKT_EXadL_ZNS_11silu_kernelIDF16_EEfS3_EELi8ELb1ELi3EEEvPT0_PS2_if,comdat
.Lfunc_end18:
	.size	_ZN5aiter18act_and_mul_kernelIDF16_DF16_TnPFfRKT_EXadL_ZNS_11silu_kernelIDF16_EEfS3_EELi8ELb1ELi3EEEvPT0_PS2_if, .Lfunc_end18-_ZN5aiter18act_and_mul_kernelIDF16_DF16_TnPFfRKT_EXadL_ZNS_11silu_kernelIDF16_EEfS3_EELi8ELb1ELi3EEEvPT0_PS2_if
                                        ; -- End function
	.section	.AMDGPU.csdata,"",@progbits
; Kernel info:
; codeLenInByte = 1452
; NumSgprs: 46
; NumVgprs: 55
; NumAgprs: 0
; TotalNumVgprs: 55
; ScratchSize: 0
; MemoryBound: 0
; FloatMode: 240
; IeeeMode: 1
; LDSByteSize: 0 bytes/workgroup (compile time only)
; SGPRBlocks: 5
; VGPRBlocks: 6
; NumSGPRsForWavesPerEU: 46
; NumVGPRsForWavesPerEU: 55
; AccumOffset: 56
; Occupancy: 8
; WaveLimiterHint : 0
; COMPUTE_PGM_RSRC2:SCRATCH_EN: 0
; COMPUTE_PGM_RSRC2:USER_SGPR: 2
; COMPUTE_PGM_RSRC2:TRAP_HANDLER: 0
; COMPUTE_PGM_RSRC2:TGID_X_EN: 1
; COMPUTE_PGM_RSRC2:TGID_Y_EN: 0
; COMPUTE_PGM_RSRC2:TGID_Z_EN: 0
; COMPUTE_PGM_RSRC2:TIDIG_COMP_CNT: 0
; COMPUTE_PGM_RSRC3_GFX90A:ACCUM_OFFSET: 13
; COMPUTE_PGM_RSRC3_GFX90A:TG_SPLIT: 0
	.section	.text._ZN5aiter18act_and_mul_kernelIDF16_DF16_TnPFfRKT_EXadL_ZNS_11silu_kernelIDF16_EEfS3_EELi4ELb1ELi3EEEvPT0_PS2_if,"axG",@progbits,_ZN5aiter18act_and_mul_kernelIDF16_DF16_TnPFfRKT_EXadL_ZNS_11silu_kernelIDF16_EEfS3_EELi4ELb1ELi3EEEvPT0_PS2_if,comdat
	.protected	_ZN5aiter18act_and_mul_kernelIDF16_DF16_TnPFfRKT_EXadL_ZNS_11silu_kernelIDF16_EEfS3_EELi4ELb1ELi3EEEvPT0_PS2_if ; -- Begin function _ZN5aiter18act_and_mul_kernelIDF16_DF16_TnPFfRKT_EXadL_ZNS_11silu_kernelIDF16_EEfS3_EELi4ELb1ELi3EEEvPT0_PS2_if
	.globl	_ZN5aiter18act_and_mul_kernelIDF16_DF16_TnPFfRKT_EXadL_ZNS_11silu_kernelIDF16_EEfS3_EELi4ELb1ELi3EEEvPT0_PS2_if
	.p2align	8
	.type	_ZN5aiter18act_and_mul_kernelIDF16_DF16_TnPFfRKT_EXadL_ZNS_11silu_kernelIDF16_EEfS3_EELi4ELb1ELi3EEEvPT0_PS2_if,@function
_ZN5aiter18act_and_mul_kernelIDF16_DF16_TnPFfRKT_EXadL_ZNS_11silu_kernelIDF16_EEfS3_EELi4ELb1ELi3EEEvPT0_PS2_if: ; @_ZN5aiter18act_and_mul_kernelIDF16_DF16_TnPFfRKT_EXadL_ZNS_11silu_kernelIDF16_EEfS3_EELi4ELb1ELi3EEEvPT0_PS2_if
; %bb.0:
	s_load_dwordx2 s[6:7], s[0:1], 0x10
	v_lshlrev_b32_e32 v0, 2, v0
	s_waitcnt lgkmcnt(0)
	v_cmp_gt_i32_e32 vcc, s6, v0
	s_and_saveexec_b64 s[4:5], vcc
	s_cbranch_execz .LBB19_3
; %bb.1:
	s_load_dwordx4 s[16:19], s[0:1], 0x0
	s_ashr_i32 s21, s6, 31
	s_mul_hi_u32 s3, s6, s2
	s_mul_i32 s4, s21, s2
	s_add_i32 s3, s3, s4
	s_mul_i32 s2, s6, s2
	s_lshl_b64 s[4:5], s[2:3], 1
	s_lshl_b64 s[2:3], s[2:3], 2
	s_mov_b32 s20, s6
	s_waitcnt lgkmcnt(0)
	s_add_u32 s8, s18, s2
	s_addc_u32 s9, s19, s3
	s_lshl_b64 s[2:3], s[20:21], 1
	s_add_u32 s12, s8, s2
	s_addc_u32 s2, s9, s3
	s_add_i32 s3, s6, 1
	s_lshr_b32 s6, s3, 31
	s_add_i32 s3, s3, s6
	s_lshl_b32 s3, s3, 1
	s_and_b32 s10, s3, -4
	s_and_b32 s9, s9, 0xffff
	s_and_b32 s13, s2, 0xffff
	s_add_u32 s16, s16, s4
	s_addc_u32 s2, s17, s5
	s_and_b32 s17, s2, 0xffff
	s_mov_b32 s11, 0x20000
	s_add_u32 s22, s0, 24
	s_mov_b32 s0, s7
	v_mov_b32_e32 v1, 0
	s_addc_u32 s23, s1, 0
	s_mov_b64 s[24:25], 0
	s_mov_b32 s27, 0
	v_max_f32_e64 v2, s7, s7
	s_mov_b32 s6, 0xbfb8aa3b
	s_mov_b32 s28, 0xb2a5705f
	;; [unrolled: 1-line block ×4, first 2 shown]
	v_mov_b32_e32 v3, 0x7f800000
	v_max_f32_e64 v4, s0, s0
	v_max_f32_e64 v5, s7, s7
	s_mov_b32 s14, s10
	s_mov_b32 s15, s11
	;; [unrolled: 1-line block ×4, first 2 shown]
.LBB19_2:                               ; =>This Inner Loop Header: Depth=1
	v_lshlrev_b32_e32 v16, 1, v0
	buffer_load_dwordx2 v[6:7], v16, s[8:11], 0 offen sc0 nt
	buffer_load_dwordx2 v[8:9], v16, s[12:15], 0 offen sc0 nt
	s_waitcnt vmcnt(1)
	v_cvt_f32_f16_e32 v11, v6
	s_waitcnt vmcnt(0)
	v_cvt_f32_f16_e32 v10, v8
	v_cvt_f32_f16_sdwa v8, v8 dst_sel:DWORD dst_unused:UNUSED_PAD src0_sel:WORD_1
	v_cvt_f32_f16_sdwa v12, v6 dst_sel:DWORD dst_unused:UNUSED_PAD src0_sel:WORD_1
	v_cvt_f32_f16_e32 v13, v9
	v_cvt_f32_f16_sdwa v14, v7 dst_sel:DWORD dst_unused:UNUSED_PAD src0_sel:WORD_1
	v_cvt_f32_f16_e32 v15, v7
	v_min_f32_e32 v11, v11, v2
	v_med3_f32 v6, -s7, v10, s7
	v_min_f32_e32 v10, v12, v2
	v_med3_f32 v7, -s7, v8, s7
	v_med3_f32 v8, -s7, v13, s7
	v_min_f32_e32 v12, v15, v4
	v_min_f32_e32 v13, v14, v5
	v_cvt_f16_f32_e32 v14, v11
	v_cvt_f16_f32_e32 v15, v10
	;; [unrolled: 1-line block ×4, first 2 shown]
	v_cvt_f32_f16_e32 v17, v14
	v_cvt_f32_f16_e32 v18, v15
	;; [unrolled: 1-line block ×4, first 2 shown]
	v_mul_f32_e32 v19, 0xbfb8aa3b, v17
	v_mul_f32_e32 v20, 0xbfb8aa3b, v18
	;; [unrolled: 1-line block ×4, first 2 shown]
	v_fma_mix_f32 v23, v14, s6, -v19 op_sel_hi:[1,0,0]
	v_rndne_f32_e32 v24, v19
	v_fma_mix_f32 v25, v15, s6, -v20 op_sel_hi:[1,0,0]
	v_rndne_f32_e32 v26, v20
	;; [unrolled: 2-line block ×4, first 2 shown]
	v_fma_mix_f32 v14, v14, s28, v23 op_sel_hi:[1,0,0]
	v_sub_f32_e32 v19, v19, v24
	v_fma_mix_f32 v15, v15, s28, v25 op_sel_hi:[1,0,0]
	v_sub_f32_e32 v20, v20, v26
	v_fma_mix_f32 v12, v12, s28, v27 op_sel_hi:[1,0,0]
	v_sub_f32_e32 v21, v21, v28
	v_fma_mix_f32 v13, v13, s28, v29 op_sel_hi:[1,0,0]
	v_sub_f32_e32 v22, v22, v30
	v_add_f32_e32 v14, v19, v14
	v_add_f32_e32 v15, v20, v15
	v_add_f32_e32 v12, v21, v12
	v_add_f32_e32 v13, v22, v13
	v_cvt_i32_f32_e32 v23, v24
	v_cvt_i32_f32_e32 v24, v26
	;; [unrolled: 1-line block ×4, first 2 shown]
	v_exp_f32_e32 v14, v14
	v_exp_f32_e32 v15, v15
	;; [unrolled: 1-line block ×4, first 2 shown]
	v_ldexp_f32 v14, v14, v23
	v_ldexp_f32 v15, v15, v24
	v_cmp_nlt_f32_e32 vcc, s29, v18
	v_ldexp_f32 v12, v12, v25
	v_cmp_nlt_f32_e64 s[0:1], s29, v10
	v_ldexp_f32 v13, v13, v26
	v_cmp_nlt_f32_e64 s[2:3], s29, v11
	v_cmp_nlt_f32_e64 s[4:5], s29, v17
	v_cndmask_b32_e32 v15, 0, v15, vcc
	v_cmp_ngt_f32_e32 vcc, s30, v18
	v_cndmask_b32_e64 v14, 0, v14, s[4:5]
	v_cndmask_b32_e64 v12, 0, v12, s[0:1]
	v_cmp_ngt_f32_e64 s[0:1], s30, v10
	v_cndmask_b32_e64 v13, 0, v13, s[2:3]
	v_cmp_ngt_f32_e64 s[2:3], s30, v11
	v_cmp_ngt_f32_e64 s[4:5], s30, v17
	v_cndmask_b32_e32 v15, v3, v15, vcc
	v_cndmask_b32_e64 v12, v3, v12, s[0:1]
	v_cndmask_b32_e64 v14, v3, v14, s[4:5]
	;; [unrolled: 1-line block ×3, first 2 shown]
	v_cvt_f32_f16_sdwa v9, v9 dst_sel:DWORD dst_unused:UNUSED_PAD src0_sel:WORD_1
	v_add_f32_e32 v14, 1.0, v14
	v_add_f32_e32 v15, 1.0, v15
	;; [unrolled: 1-line block ×4, first 2 shown]
	v_rcp_f32_e32 v14, v14
	v_rcp_f32_e32 v15, v15
	v_rcp_f32_e32 v12, v12
	v_rcp_f32_e32 v13, v13
	v_med3_f32 v9, -s7, v9, s7
	v_mul_f32_e32 v14, v14, v17
	v_mul_f32_e32 v15, v15, v18
	v_pk_mul_f32 v[10:11], v[12:13], v[10:11]
	;;#ASMSTART
	v_pk_mul_f32 v[6:7], v[14:15], v[6:7]
	;;#ASMEND
	s_nop 0
	;;#ASMSTART
	v_pk_mul_f32 v[8:9], v[10:11], v[8:9]
	;;#ASMEND
	s_load_dword s0, s[22:23], 0xc
	v_cvt_f16_f32_e32 v6, v6
	v_cvt_f16_f32_e32 v7, v7
	;; [unrolled: 1-line block ×4, first 2 shown]
	s_waitcnt lgkmcnt(0)
	s_and_b32 s0, s0, 0xffff
	s_lshl_b32 s26, s0, 2
	v_lshl_add_u64 v[0:1], s[26:27], 0, v[0:1]
	v_cmp_le_i64_e32 vcc, s[20:21], v[0:1]
	v_pack_b32_f16 v6, v6, v7
	v_pack_b32_f16 v7, v8, v9
	s_or_b64 s[24:25], vcc, s[24:25]
	buffer_store_dwordx2 v[6:7], v16, s[16:19], 0 offen
	s_andn2_b64 exec, exec, s[24:25]
	s_cbranch_execnz .LBB19_2
.LBB19_3:
	s_endpgm
	.section	.rodata,"a",@progbits
	.p2align	6, 0x0
	.amdhsa_kernel _ZN5aiter18act_and_mul_kernelIDF16_DF16_TnPFfRKT_EXadL_ZNS_11silu_kernelIDF16_EEfS3_EELi4ELb1ELi3EEEvPT0_PS2_if
		.amdhsa_group_segment_fixed_size 0
		.amdhsa_private_segment_fixed_size 0
		.amdhsa_kernarg_size 280
		.amdhsa_user_sgpr_count 2
		.amdhsa_user_sgpr_dispatch_ptr 0
		.amdhsa_user_sgpr_queue_ptr 0
		.amdhsa_user_sgpr_kernarg_segment_ptr 1
		.amdhsa_user_sgpr_dispatch_id 0
		.amdhsa_user_sgpr_kernarg_preload_length 0
		.amdhsa_user_sgpr_kernarg_preload_offset 0
		.amdhsa_user_sgpr_private_segment_size 0
		.amdhsa_uses_dynamic_stack 0
		.amdhsa_enable_private_segment 0
		.amdhsa_system_sgpr_workgroup_id_x 1
		.amdhsa_system_sgpr_workgroup_id_y 0
		.amdhsa_system_sgpr_workgroup_id_z 0
		.amdhsa_system_sgpr_workgroup_info 0
		.amdhsa_system_vgpr_workitem_id 0
		.amdhsa_next_free_vgpr 31
		.amdhsa_next_free_sgpr 31
		.amdhsa_accum_offset 32
		.amdhsa_reserve_vcc 1
		.amdhsa_float_round_mode_32 0
		.amdhsa_float_round_mode_16_64 0
		.amdhsa_float_denorm_mode_32 3
		.amdhsa_float_denorm_mode_16_64 3
		.amdhsa_dx10_clamp 1
		.amdhsa_ieee_mode 1
		.amdhsa_fp16_overflow 0
		.amdhsa_tg_split 0
		.amdhsa_exception_fp_ieee_invalid_op 0
		.amdhsa_exception_fp_denorm_src 0
		.amdhsa_exception_fp_ieee_div_zero 0
		.amdhsa_exception_fp_ieee_overflow 0
		.amdhsa_exception_fp_ieee_underflow 0
		.amdhsa_exception_fp_ieee_inexact 0
		.amdhsa_exception_int_div_zero 0
	.end_amdhsa_kernel
	.section	.text._ZN5aiter18act_and_mul_kernelIDF16_DF16_TnPFfRKT_EXadL_ZNS_11silu_kernelIDF16_EEfS3_EELi4ELb1ELi3EEEvPT0_PS2_if,"axG",@progbits,_ZN5aiter18act_and_mul_kernelIDF16_DF16_TnPFfRKT_EXadL_ZNS_11silu_kernelIDF16_EEfS3_EELi4ELb1ELi3EEEvPT0_PS2_if,comdat
.Lfunc_end19:
	.size	_ZN5aiter18act_and_mul_kernelIDF16_DF16_TnPFfRKT_EXadL_ZNS_11silu_kernelIDF16_EEfS3_EELi4ELb1ELi3EEEvPT0_PS2_if, .Lfunc_end19-_ZN5aiter18act_and_mul_kernelIDF16_DF16_TnPFfRKT_EXadL_ZNS_11silu_kernelIDF16_EEfS3_EELi4ELb1ELi3EEEvPT0_PS2_if
                                        ; -- End function
	.section	.AMDGPU.csdata,"",@progbits
; Kernel info:
; codeLenInByte = 892
; NumSgprs: 37
; NumVgprs: 31
; NumAgprs: 0
; TotalNumVgprs: 31
; ScratchSize: 0
; MemoryBound: 0
; FloatMode: 240
; IeeeMode: 1
; LDSByteSize: 0 bytes/workgroup (compile time only)
; SGPRBlocks: 4
; VGPRBlocks: 3
; NumSGPRsForWavesPerEU: 37
; NumVGPRsForWavesPerEU: 31
; AccumOffset: 32
; Occupancy: 8
; WaveLimiterHint : 0
; COMPUTE_PGM_RSRC2:SCRATCH_EN: 0
; COMPUTE_PGM_RSRC2:USER_SGPR: 2
; COMPUTE_PGM_RSRC2:TRAP_HANDLER: 0
; COMPUTE_PGM_RSRC2:TGID_X_EN: 1
; COMPUTE_PGM_RSRC2:TGID_Y_EN: 0
; COMPUTE_PGM_RSRC2:TGID_Z_EN: 0
; COMPUTE_PGM_RSRC2:TIDIG_COMP_CNT: 0
; COMPUTE_PGM_RSRC3_GFX90A:ACCUM_OFFSET: 7
; COMPUTE_PGM_RSRC3_GFX90A:TG_SPLIT: 0
	.section	.text._ZN5aiter18act_and_mul_kernelIDF16_DF16_TnPFfRKT_EXadL_ZNS_11silu_kernelIDF16_EEfS3_EELi2ELb1ELi3EEEvPT0_PS2_if,"axG",@progbits,_ZN5aiter18act_and_mul_kernelIDF16_DF16_TnPFfRKT_EXadL_ZNS_11silu_kernelIDF16_EEfS3_EELi2ELb1ELi3EEEvPT0_PS2_if,comdat
	.protected	_ZN5aiter18act_and_mul_kernelIDF16_DF16_TnPFfRKT_EXadL_ZNS_11silu_kernelIDF16_EEfS3_EELi2ELb1ELi3EEEvPT0_PS2_if ; -- Begin function _ZN5aiter18act_and_mul_kernelIDF16_DF16_TnPFfRKT_EXadL_ZNS_11silu_kernelIDF16_EEfS3_EELi2ELb1ELi3EEEvPT0_PS2_if
	.globl	_ZN5aiter18act_and_mul_kernelIDF16_DF16_TnPFfRKT_EXadL_ZNS_11silu_kernelIDF16_EEfS3_EELi2ELb1ELi3EEEvPT0_PS2_if
	.p2align	8
	.type	_ZN5aiter18act_and_mul_kernelIDF16_DF16_TnPFfRKT_EXadL_ZNS_11silu_kernelIDF16_EEfS3_EELi2ELb1ELi3EEEvPT0_PS2_if,@function
_ZN5aiter18act_and_mul_kernelIDF16_DF16_TnPFfRKT_EXadL_ZNS_11silu_kernelIDF16_EEfS3_EELi2ELb1ELi3EEEvPT0_PS2_if: ; @_ZN5aiter18act_and_mul_kernelIDF16_DF16_TnPFfRKT_EXadL_ZNS_11silu_kernelIDF16_EEfS3_EELi2ELb1ELi3EEEvPT0_PS2_if
; %bb.0:
	s_load_dwordx2 s[16:17], s[0:1], 0x10
	v_lshlrev_b32_e32 v0, 1, v0
	s_waitcnt lgkmcnt(0)
	v_cmp_gt_i32_e32 vcc, s16, v0
	s_and_saveexec_b64 s[4:5], vcc
	s_cbranch_execz .LBB20_3
; %bb.1:
	s_load_dwordx4 s[12:15], s[0:1], 0x0
	s_ashr_i32 s19, s16, 31
	s_mul_hi_u32 s3, s16, s2
	s_mul_i32 s4, s19, s2
	s_add_i32 s3, s3, s4
	s_mul_i32 s2, s16, s2
	s_lshl_b64 s[10:11], s[2:3], 1
	s_lshl_b64 s[2:3], s[2:3], 2
	s_mov_b32 s18, s16
	s_waitcnt lgkmcnt(0)
	s_add_u32 s4, s14, s2
	s_addc_u32 s5, s15, s3
	s_lshl_b64 s[2:3], s[18:19], 1
	s_add_u32 s8, s4, s2
	s_addc_u32 s2, s5, s3
	s_add_i32 s3, s16, 1
	s_lshr_b32 s6, s3, 31
	s_add_i32 s3, s3, s6
	s_lshl_b32 s3, s3, 1
	s_and_b32 s6, s3, -4
	s_and_b32 s5, s5, 0xffff
	s_and_b32 s9, s2, 0xffff
	s_add_u32 s12, s12, s10
	s_addc_u32 s2, s13, s11
	s_and_b32 s13, s2, 0xffff
	s_mov_b32 s7, 0x20000
	s_add_u32 s2, s0, 24
	s_mov_b32 s0, s17
	v_mov_b32_e32 v1, 0
	s_addc_u32 s3, s1, 0
	s_mov_b64 s[20:21], 0
	s_mov_b32 s23, 0
	v_max_f32_e64 v2, s0, s0
	v_max_f32_e64 v3, s17, s17
	s_mov_b32 s16, 0xbfb8aa3b
	s_mov_b32 s24, 0xb2a5705f
	;; [unrolled: 1-line block ×4, first 2 shown]
	v_mov_b32_e32 v4, 0x7f800000
	s_mov_b32 s10, s6
	s_mov_b32 s11, s7
	s_mov_b32 s14, s6
	s_mov_b32 s15, s7
.LBB20_2:                               ; =>This Inner Loop Header: Depth=1
	v_lshlrev_b32_e32 v5, 1, v0
	buffer_load_dword v6, v5, s[4:7], 0 offen sc0 nt
	buffer_load_dword v7, v5, s[8:11], 0 offen sc0 nt
	s_waitcnt vmcnt(1)
	v_cvt_f32_f16_e32 v9, v6
	s_waitcnt vmcnt(0)
	v_cvt_f32_f16_sdwa v8, v7 dst_sel:DWORD dst_unused:UNUSED_PAD src0_sel:WORD_1
	v_cvt_f32_f16_sdwa v6, v6 dst_sel:DWORD dst_unused:UNUSED_PAD src0_sel:WORD_1
	v_cvt_f32_f16_e32 v10, v7
	v_med3_f32 v7, -s17, v8, s17
	v_min_f32_e32 v8, v9, v2
	v_min_f32_e32 v9, v6, v3
	v_med3_f32 v6, -s17, v10, s17
	v_cvt_f16_f32_e32 v10, v9
	v_cvt_f16_f32_e32 v11, v8
	v_cvt_f32_f16_e32 v9, v10
	v_cvt_f32_f16_e32 v8, v11
	v_mul_f32_e32 v12, 0xbfb8aa3b, v9
	v_mul_f32_e32 v13, 0xbfb8aa3b, v8
	v_fma_mix_f32 v14, v10, s16, -v12 op_sel_hi:[1,0,0]
	v_rndne_f32_e32 v15, v12
	v_fma_mix_f32 v16, v11, s16, -v13 op_sel_hi:[1,0,0]
	v_rndne_f32_e32 v17, v13
	v_fma_mix_f32 v10, v10, s24, v14 op_sel_hi:[1,0,0]
	v_sub_f32_e32 v12, v12, v15
	v_fma_mix_f32 v11, v11, s24, v16 op_sel_hi:[1,0,0]
	v_sub_f32_e32 v13, v13, v17
	v_add_f32_e32 v10, v12, v10
	v_add_f32_e32 v11, v13, v11
	v_cvt_i32_f32_e32 v14, v15
	v_cvt_i32_f32_e32 v15, v17
	v_exp_f32_e32 v10, v10
	v_exp_f32_e32 v11, v11
	v_cmp_nlt_f32_e32 vcc, s25, v8
	v_cmp_nlt_f32_e64 s[0:1], s25, v9
	v_ldexp_f32 v10, v10, v14
	v_ldexp_f32 v11, v11, v15
	v_cndmask_b32_e64 v10, 0, v10, s[0:1]
	v_cndmask_b32_e32 v11, 0, v11, vcc
	v_cmp_ngt_f32_e32 vcc, s26, v8
	v_cmp_ngt_f32_e64 s[0:1], s26, v9
	s_nop 0
	v_cndmask_b32_e32 v11, v4, v11, vcc
	v_cndmask_b32_e64 v10, v4, v10, s[0:1]
	v_add_f32_e32 v10, 1.0, v10
	v_add_f32_e32 v12, 1.0, v11
	v_rcp_f32_e32 v11, v10
	v_rcp_f32_e32 v10, v12
	s_nop 0
	v_pk_mul_f32 v[8:9], v[10:11], v[8:9]
	s_nop 0
	;;#ASMSTART
	v_pk_mul_f32 v[6:7], v[8:9], v[6:7]
	;;#ASMEND
	s_load_dword s0, s[2:3], 0xc
	v_cvt_f16_f32_e32 v6, v6
	v_cvt_f16_f32_e32 v7, v7
	s_waitcnt lgkmcnt(0)
	s_and_b32 s0, s0, 0xffff
	s_lshl_b32 s22, s0, 1
	v_lshl_add_u64 v[0:1], s[22:23], 0, v[0:1]
	v_cmp_le_i64_e32 vcc, s[18:19], v[0:1]
	v_pack_b32_f16 v6, v6, v7
	s_or_b64 s[20:21], vcc, s[20:21]
	buffer_store_dword v6, v5, s[12:15], 0 offen
	s_andn2_b64 exec, exec, s[20:21]
	s_cbranch_execnz .LBB20_2
.LBB20_3:
	s_endpgm
	.section	.rodata,"a",@progbits
	.p2align	6, 0x0
	.amdhsa_kernel _ZN5aiter18act_and_mul_kernelIDF16_DF16_TnPFfRKT_EXadL_ZNS_11silu_kernelIDF16_EEfS3_EELi2ELb1ELi3EEEvPT0_PS2_if
		.amdhsa_group_segment_fixed_size 0
		.amdhsa_private_segment_fixed_size 0
		.amdhsa_kernarg_size 280
		.amdhsa_user_sgpr_count 2
		.amdhsa_user_sgpr_dispatch_ptr 0
		.amdhsa_user_sgpr_queue_ptr 0
		.amdhsa_user_sgpr_kernarg_segment_ptr 1
		.amdhsa_user_sgpr_dispatch_id 0
		.amdhsa_user_sgpr_kernarg_preload_length 0
		.amdhsa_user_sgpr_kernarg_preload_offset 0
		.amdhsa_user_sgpr_private_segment_size 0
		.amdhsa_uses_dynamic_stack 0
		.amdhsa_enable_private_segment 0
		.amdhsa_system_sgpr_workgroup_id_x 1
		.amdhsa_system_sgpr_workgroup_id_y 0
		.amdhsa_system_sgpr_workgroup_id_z 0
		.amdhsa_system_sgpr_workgroup_info 0
		.amdhsa_system_vgpr_workitem_id 0
		.amdhsa_next_free_vgpr 18
		.amdhsa_next_free_sgpr 27
		.amdhsa_accum_offset 20
		.amdhsa_reserve_vcc 1
		.amdhsa_float_round_mode_32 0
		.amdhsa_float_round_mode_16_64 0
		.amdhsa_float_denorm_mode_32 3
		.amdhsa_float_denorm_mode_16_64 3
		.amdhsa_dx10_clamp 1
		.amdhsa_ieee_mode 1
		.amdhsa_fp16_overflow 0
		.amdhsa_tg_split 0
		.amdhsa_exception_fp_ieee_invalid_op 0
		.amdhsa_exception_fp_denorm_src 0
		.amdhsa_exception_fp_ieee_div_zero 0
		.amdhsa_exception_fp_ieee_overflow 0
		.amdhsa_exception_fp_ieee_underflow 0
		.amdhsa_exception_fp_ieee_inexact 0
		.amdhsa_exception_int_div_zero 0
	.end_amdhsa_kernel
	.section	.text._ZN5aiter18act_and_mul_kernelIDF16_DF16_TnPFfRKT_EXadL_ZNS_11silu_kernelIDF16_EEfS3_EELi2ELb1ELi3EEEvPT0_PS2_if,"axG",@progbits,_ZN5aiter18act_and_mul_kernelIDF16_DF16_TnPFfRKT_EXadL_ZNS_11silu_kernelIDF16_EEfS3_EELi2ELb1ELi3EEEvPT0_PS2_if,comdat
.Lfunc_end20:
	.size	_ZN5aiter18act_and_mul_kernelIDF16_DF16_TnPFfRKT_EXadL_ZNS_11silu_kernelIDF16_EEfS3_EELi2ELb1ELi3EEEvPT0_PS2_if, .Lfunc_end20-_ZN5aiter18act_and_mul_kernelIDF16_DF16_TnPFfRKT_EXadL_ZNS_11silu_kernelIDF16_EEfS3_EELi2ELb1ELi3EEEvPT0_PS2_if
                                        ; -- End function
	.section	.AMDGPU.csdata,"",@progbits
; Kernel info:
; codeLenInByte = 612
; NumSgprs: 33
; NumVgprs: 18
; NumAgprs: 0
; TotalNumVgprs: 18
; ScratchSize: 0
; MemoryBound: 0
; FloatMode: 240
; IeeeMode: 1
; LDSByteSize: 0 bytes/workgroup (compile time only)
; SGPRBlocks: 4
; VGPRBlocks: 2
; NumSGPRsForWavesPerEU: 33
; NumVGPRsForWavesPerEU: 18
; AccumOffset: 20
; Occupancy: 8
; WaveLimiterHint : 0
; COMPUTE_PGM_RSRC2:SCRATCH_EN: 0
; COMPUTE_PGM_RSRC2:USER_SGPR: 2
; COMPUTE_PGM_RSRC2:TRAP_HANDLER: 0
; COMPUTE_PGM_RSRC2:TGID_X_EN: 1
; COMPUTE_PGM_RSRC2:TGID_Y_EN: 0
; COMPUTE_PGM_RSRC2:TGID_Z_EN: 0
; COMPUTE_PGM_RSRC2:TIDIG_COMP_CNT: 0
; COMPUTE_PGM_RSRC3_GFX90A:ACCUM_OFFSET: 4
; COMPUTE_PGM_RSRC3_GFX90A:TG_SPLIT: 0
	.section	.text._ZN5aiter18act_and_mul_kernelIDF16_DF16_TnPFfRKT_EXadL_ZNS_11silu_kernelIDF16_EEfS3_EELi1ELb1ELi3EEEvPT0_PS2_if,"axG",@progbits,_ZN5aiter18act_and_mul_kernelIDF16_DF16_TnPFfRKT_EXadL_ZNS_11silu_kernelIDF16_EEfS3_EELi1ELb1ELi3EEEvPT0_PS2_if,comdat
	.protected	_ZN5aiter18act_and_mul_kernelIDF16_DF16_TnPFfRKT_EXadL_ZNS_11silu_kernelIDF16_EEfS3_EELi1ELb1ELi3EEEvPT0_PS2_if ; -- Begin function _ZN5aiter18act_and_mul_kernelIDF16_DF16_TnPFfRKT_EXadL_ZNS_11silu_kernelIDF16_EEfS3_EELi1ELb1ELi3EEEvPT0_PS2_if
	.globl	_ZN5aiter18act_and_mul_kernelIDF16_DF16_TnPFfRKT_EXadL_ZNS_11silu_kernelIDF16_EEfS3_EELi1ELb1ELi3EEEvPT0_PS2_if
	.p2align	8
	.type	_ZN5aiter18act_and_mul_kernelIDF16_DF16_TnPFfRKT_EXadL_ZNS_11silu_kernelIDF16_EEfS3_EELi1ELb1ELi3EEEvPT0_PS2_if,@function
_ZN5aiter18act_and_mul_kernelIDF16_DF16_TnPFfRKT_EXadL_ZNS_11silu_kernelIDF16_EEfS3_EELi1ELb1ELi3EEEvPT0_PS2_if: ; @_ZN5aiter18act_and_mul_kernelIDF16_DF16_TnPFfRKT_EXadL_ZNS_11silu_kernelIDF16_EEfS3_EELi1ELb1ELi3EEEvPT0_PS2_if
; %bb.0:
	s_load_dwordx2 s[12:13], s[0:1], 0x10
	s_waitcnt lgkmcnt(0)
	v_cmp_gt_i32_e32 vcc, s12, v0
	s_and_saveexec_b64 s[4:5], vcc
	s_cbranch_execz .LBB21_3
; %bb.1:
	s_load_dwordx4 s[8:11], s[0:1], 0x0
	s_load_dword s14, s[0:1], 0x24
	s_mov_b32 s18, s13
	s_ashr_i32 s13, s12, 31
	s_mul_hi_u32 s3, s12, s2
	s_mul_i32 s4, s13, s2
	s_add_i32 s3, s3, s4
	s_mul_i32 s2, s12, s2
	s_lshl_b64 s[6:7], s[2:3], 1
	s_lshl_b64 s[2:3], s[2:3], 2
	s_waitcnt lgkmcnt(0)
	s_add_u32 s0, s10, s2
	s_addc_u32 s1, s11, s3
	s_lshl_b64 s[2:3], s[12:13], 1
	s_add_u32 s4, s0, s2
	s_addc_u32 s5, s1, s3
	s_add_i32 s2, s12, 1
	s_lshr_b32 s3, s2, 31
	s_add_i32 s2, s2, s3
	s_lshl_b32 s2, s2, 1
	s_and_b32 s2, s2, -4
	s_and_b32 s1, s1, 0xffff
	s_and_b32 s5, s5, 0xffff
	s_add_u32 s8, s8, s6
	s_mov_b32 s3, 0x20000
	s_addc_u32 s6, s9, s7
	s_and_b32 s14, s14, 0xffff
	s_and_b32 s9, s6, 0xffff
	s_mov_b32 s15, 0
	v_mov_b32_e32 v1, 0
	v_lshlrev_b32_e32 v2, 1, v0
	s_lshl_b32 s19, s14, 1
	s_mov_b64 s[16:17], 0
	s_mov_b32 s6, s2
	s_mov_b32 s7, s3
	v_max_f32_e64 v3, s18, s18
	s_mov_b32 s20, 0xbfb8aa3b
	s_mov_b32 s21, 0xb2a5705f
	;; [unrolled: 1-line block ×4, first 2 shown]
	v_mov_b32_e32 v4, 0x7f800000
	s_mov_b32 s10, s2
	s_mov_b32 s11, s3
.LBB21_2:                               ; =>This Inner Loop Header: Depth=1
	buffer_load_ushort v5, v2, s[0:3], 0 offen sc0 nt
	buffer_load_ushort v6, v2, s[4:7], 0 offen sc0 nt
	v_lshl_add_u64 v[0:1], v[0:1], 0, s[14:15]
	s_waitcnt vmcnt(1)
	v_cvt_f32_f16_e32 v5, v5
	s_waitcnt vmcnt(0)
	v_cvt_f32_f16_e32 v6, v6
	v_min_f32_e32 v5, v5, v3
	v_cvt_f16_f32_e32 v5, v5
	v_med3_f32 v6, -s18, v6, s18
	v_cvt_f32_f16_e32 v7, v5
	v_mul_f32_e32 v8, 0xbfb8aa3b, v7
	v_fma_mix_f32 v9, v5, s20, -v8 op_sel_hi:[1,0,0]
	v_rndne_f32_e32 v10, v8
	v_fma_mix_f32 v5, v5, s21, v9 op_sel_hi:[1,0,0]
	v_sub_f32_e32 v8, v8, v10
	v_add_f32_e32 v5, v8, v5
	v_cvt_i32_f32_e32 v9, v10
	v_exp_f32_e32 v5, v5
	v_cmp_nlt_f32_e32 vcc, s22, v7
	v_ldexp_f32 v5, v5, v9
	s_nop 0
	v_cndmask_b32_e32 v5, 0, v5, vcc
	v_cmp_ngt_f32_e32 vcc, s23, v7
	s_nop 1
	v_cndmask_b32_e32 v5, v4, v5, vcc
	v_add_f32_e32 v5, 1.0, v5
	v_rcp_f32_e32 v5, v5
	v_cmp_le_i64_e32 vcc, s[12:13], v[0:1]
	s_or_b64 s[16:17], vcc, s[16:17]
	v_mul_f32_e32 v5, v5, v7
	v_fma_mixlo_f16 v5, v6, v5, 0
	buffer_store_short v5, v2, s[8:11], 0 offen
	v_add_u32_e32 v2, s19, v2
	s_andn2_b64 exec, exec, s[16:17]
	s_cbranch_execnz .LBB21_2
.LBB21_3:
	s_endpgm
	.section	.rodata,"a",@progbits
	.p2align	6, 0x0
	.amdhsa_kernel _ZN5aiter18act_and_mul_kernelIDF16_DF16_TnPFfRKT_EXadL_ZNS_11silu_kernelIDF16_EEfS3_EELi1ELb1ELi3EEEvPT0_PS2_if
		.amdhsa_group_segment_fixed_size 0
		.amdhsa_private_segment_fixed_size 0
		.amdhsa_kernarg_size 280
		.amdhsa_user_sgpr_count 2
		.amdhsa_user_sgpr_dispatch_ptr 0
		.amdhsa_user_sgpr_queue_ptr 0
		.amdhsa_user_sgpr_kernarg_segment_ptr 1
		.amdhsa_user_sgpr_dispatch_id 0
		.amdhsa_user_sgpr_kernarg_preload_length 0
		.amdhsa_user_sgpr_kernarg_preload_offset 0
		.amdhsa_user_sgpr_private_segment_size 0
		.amdhsa_uses_dynamic_stack 0
		.amdhsa_enable_private_segment 0
		.amdhsa_system_sgpr_workgroup_id_x 1
		.amdhsa_system_sgpr_workgroup_id_y 0
		.amdhsa_system_sgpr_workgroup_id_z 0
		.amdhsa_system_sgpr_workgroup_info 0
		.amdhsa_system_vgpr_workitem_id 0
		.amdhsa_next_free_vgpr 11
		.amdhsa_next_free_sgpr 24
		.amdhsa_accum_offset 12
		.amdhsa_reserve_vcc 1
		.amdhsa_float_round_mode_32 0
		.amdhsa_float_round_mode_16_64 0
		.amdhsa_float_denorm_mode_32 3
		.amdhsa_float_denorm_mode_16_64 3
		.amdhsa_dx10_clamp 1
		.amdhsa_ieee_mode 1
		.amdhsa_fp16_overflow 0
		.amdhsa_tg_split 0
		.amdhsa_exception_fp_ieee_invalid_op 0
		.amdhsa_exception_fp_denorm_src 0
		.amdhsa_exception_fp_ieee_div_zero 0
		.amdhsa_exception_fp_ieee_overflow 0
		.amdhsa_exception_fp_ieee_underflow 0
		.amdhsa_exception_fp_ieee_inexact 0
		.amdhsa_exception_int_div_zero 0
	.end_amdhsa_kernel
	.section	.text._ZN5aiter18act_and_mul_kernelIDF16_DF16_TnPFfRKT_EXadL_ZNS_11silu_kernelIDF16_EEfS3_EELi1ELb1ELi3EEEvPT0_PS2_if,"axG",@progbits,_ZN5aiter18act_and_mul_kernelIDF16_DF16_TnPFfRKT_EXadL_ZNS_11silu_kernelIDF16_EEfS3_EELi1ELb1ELi3EEEvPT0_PS2_if,comdat
.Lfunc_end21:
	.size	_ZN5aiter18act_and_mul_kernelIDF16_DF16_TnPFfRKT_EXadL_ZNS_11silu_kernelIDF16_EEfS3_EELi1ELb1ELi3EEEvPT0_PS2_if, .Lfunc_end21-_ZN5aiter18act_and_mul_kernelIDF16_DF16_TnPFfRKT_EXadL_ZNS_11silu_kernelIDF16_EEfS3_EELi1ELb1ELi3EEEvPT0_PS2_if
                                        ; -- End function
	.section	.AMDGPU.csdata,"",@progbits
; Kernel info:
; codeLenInByte = 436
; NumSgprs: 30
; NumVgprs: 11
; NumAgprs: 0
; TotalNumVgprs: 11
; ScratchSize: 0
; MemoryBound: 0
; FloatMode: 240
; IeeeMode: 1
; LDSByteSize: 0 bytes/workgroup (compile time only)
; SGPRBlocks: 3
; VGPRBlocks: 1
; NumSGPRsForWavesPerEU: 30
; NumVGPRsForWavesPerEU: 11
; AccumOffset: 12
; Occupancy: 8
; WaveLimiterHint : 0
; COMPUTE_PGM_RSRC2:SCRATCH_EN: 0
; COMPUTE_PGM_RSRC2:USER_SGPR: 2
; COMPUTE_PGM_RSRC2:TRAP_HANDLER: 0
; COMPUTE_PGM_RSRC2:TGID_X_EN: 1
; COMPUTE_PGM_RSRC2:TGID_Y_EN: 0
; COMPUTE_PGM_RSRC2:TGID_Z_EN: 0
; COMPUTE_PGM_RSRC2:TIDIG_COMP_CNT: 0
; COMPUTE_PGM_RSRC3_GFX90A:ACCUM_OFFSET: 2
; COMPUTE_PGM_RSRC3_GFX90A:TG_SPLIT: 0
	.section	.text._ZN5aiter18act_and_mul_kernelIttTnPFfRKT_EXadL_ZNS_11silu_kernelItEEfS3_EELi32ELb1ELi3EEEvPT0_PS2_if,"axG",@progbits,_ZN5aiter18act_and_mul_kernelIttTnPFfRKT_EXadL_ZNS_11silu_kernelItEEfS3_EELi32ELb1ELi3EEEvPT0_PS2_if,comdat
	.protected	_ZN5aiter18act_and_mul_kernelIttTnPFfRKT_EXadL_ZNS_11silu_kernelItEEfS3_EELi32ELb1ELi3EEEvPT0_PS2_if ; -- Begin function _ZN5aiter18act_and_mul_kernelIttTnPFfRKT_EXadL_ZNS_11silu_kernelItEEfS3_EELi32ELb1ELi3EEEvPT0_PS2_if
	.globl	_ZN5aiter18act_and_mul_kernelIttTnPFfRKT_EXadL_ZNS_11silu_kernelItEEfS3_EELi32ELb1ELi3EEEvPT0_PS2_if
	.p2align	8
	.type	_ZN5aiter18act_and_mul_kernelIttTnPFfRKT_EXadL_ZNS_11silu_kernelItEEfS3_EELi32ELb1ELi3EEEvPT0_PS2_if,@function
_ZN5aiter18act_and_mul_kernelIttTnPFfRKT_EXadL_ZNS_11silu_kernelItEEfS3_EELi32ELb1ELi3EEEvPT0_PS2_if: ; @_ZN5aiter18act_and_mul_kernelIttTnPFfRKT_EXadL_ZNS_11silu_kernelItEEfS3_EELi32ELb1ELi3EEEvPT0_PS2_if
; %bb.0:
	s_load_dwordx2 s[16:17], s[0:1], 0x10
	v_lshlrev_b32_e32 v32, 5, v0
	s_waitcnt lgkmcnt(0)
	v_cmp_gt_i32_e32 vcc, s16, v32
	s_and_saveexec_b64 s[4:5], vcc
	s_cbranch_execz .LBB22_3
; %bb.1:
	s_load_dwordx4 s[12:15], s[0:1], 0x0
	s_ashr_i32 s19, s16, 31
	s_mul_hi_u32 s3, s16, s2
	s_mul_i32 s4, s19, s2
	s_add_i32 s3, s3, s4
	s_mul_i32 s2, s16, s2
	s_lshl_b64 s[10:11], s[2:3], 1
	s_lshl_b64 s[2:3], s[2:3], 2
	s_mov_b32 s18, s16
	s_waitcnt lgkmcnt(0)
	s_add_u32 s4, s14, s2
	s_addc_u32 s5, s15, s3
	s_lshl_b64 s[2:3], s[18:19], 1
	s_add_u32 s8, s4, s2
	s_addc_u32 s2, s5, s3
	s_add_i32 s3, s16, 1
	s_lshr_b32 s6, s3, 31
	s_add_i32 s3, s3, s6
	s_lshl_b32 s3, s3, 1
	s_and_b32 s6, s3, -4
	s_and_b32 s5, s5, 0xffff
	s_and_b32 s9, s2, 0xffff
	s_add_u32 s12, s12, s10
	s_addc_u32 s2, s13, s11
	s_and_b32 s13, s2, 0xffff
	s_mov_b32 s7, 0x20000
	s_add_u32 s0, s0, 24
	s_mov_b32 s10, s17
	v_mov_b32_e32 v33, 0
	s_addc_u32 s1, s1, 0
	s_mov_b64 s[2:3], 0
	s_mov_b32 s21, 0
	v_max_f32_e64 v36, s10, s10
	v_max_f32_e64 v37, s17, s17
	s_mov_b32 s16, 0xbfb8aa3b
	s_mov_b32 s22, 0x42ce8ed0
	;; [unrolled: 1-line block ×3, first 2 shown]
	v_mov_b32_e32 v38, 0x7f800000
	s_mov_b32 s24, 0x7060302
	s_mov_b32 s10, s6
	;; [unrolled: 1-line block ×5, first 2 shown]
.LBB22_2:                               ; =>This Inner Loop Header: Depth=1
	v_lshlrev_b32_e32 v39, 1, v32
	buffer_load_dwordx4 v[24:27], v39, s[4:7], 0 offen sc0 nt
	buffer_load_dwordx4 v[16:19], v39, s[4:7], 16 offen sc0 nt
	;; [unrolled: 1-line block ×8, first 2 shown]
	s_waitcnt vmcnt(3)
	v_lshlrev_b32_e32 v34, 16, v28
	v_and_b32_e32 v28, 0xffff0000, v28
	v_med3_f32 v35, -s17, v28, s17
	v_and_b32_e32 v28, 0xffff0000, v24
	v_lshlrev_b32_e32 v24, 16, v24
	v_max_f32_e32 v24, v24, v24
	v_min_f32_e32 v24, v24, v36
	v_max_f32_e32 v28, v28, v28
	v_and_b32_e32 v40, 0xffff0000, v24
	v_min_f32_e32 v28, v28, v37
	v_mul_f32_e32 v24, 0xbfb8aa3b, v40
	v_and_b32_e32 v41, 0xffff0000, v28
	v_fma_f32 v28, v40, s16, -v24
	v_rndne_f32_e32 v42, v24
	v_fmac_f32_e32 v28, 0xb2a5705f, v40
	v_sub_f32_e32 v24, v24, v42
	v_add_f32_e32 v24, v24, v28
	v_exp_f32_e32 v24, v24
	v_cvt_i32_f32_e32 v28, v42
	v_cmp_nlt_f32_e32 vcc, s22, v40
	v_med3_f32 v34, -s17, v34, s17
	v_ldexp_f32 v24, v24, v28
	v_cndmask_b32_e32 v24, 0, v24, vcc
	v_cmp_ngt_f32_e32 vcc, s23, v40
	s_nop 1
	v_cndmask_b32_e32 v24, v38, v24, vcc
	v_add_f32_e32 v24, 1.0, v24
	v_rcp_f32_e32 v42, v24
	v_mul_f32_e32 v24, 0xbfb8aa3b, v41
	v_fma_f32 v28, v41, s16, -v24
	v_rndne_f32_e32 v43, v24
	v_fmac_f32_e32 v28, 0xb2a5705f, v41
	v_sub_f32_e32 v24, v24, v43
	v_add_f32_e32 v24, v24, v28
	v_exp_f32_e32 v24, v24
	v_cvt_i32_f32_e32 v28, v43
	v_cmp_nlt_f32_e32 vcc, s22, v41
	v_ldexp_f32 v24, v24, v28
	s_nop 0
	v_cndmask_b32_e32 v24, 0, v24, vcc
	v_cmp_ngt_f32_e32 vcc, s23, v41
	s_nop 1
	v_cndmask_b32_e32 v24, v38, v24, vcc
	v_add_f32_e32 v24, 1.0, v24
	v_rcp_f32_e32 v43, v24
	v_lshlrev_b32_e32 v24, 16, v29
	v_med3_f32 v28, -s17, v24, s17
	v_and_b32_e32 v24, 0xffff0000, v29
	v_med3_f32 v29, -s17, v24, s17
	v_and_b32_e32 v24, 0xffff0000, v25
	v_lshlrev_b32_e32 v25, 16, v25
	v_pk_mul_f32 v[40:41], v[42:43], v[40:41]
	v_max_f32_e32 v25, v25, v25
	v_max_f32_e32 v24, v24, v24
	;;#ASMSTART
	v_pk_mul_f32 v[34:35], v[40:41], v[34:35]
	;;#ASMEND
	v_min_f32_e32 v40, v25, v36
	v_min_f32_e32 v24, v24, v37
	v_and_b32_e32 v25, 0xffff0000, v24
	v_and_b32_e32 v24, 0xffff0000, v40
	v_mul_f32_e32 v40, 0xbfb8aa3b, v24
	v_fma_f32 v41, v24, s16, -v40
	v_rndne_f32_e32 v42, v40
	v_fmac_f32_e32 v41, 0xb2a5705f, v24
	v_sub_f32_e32 v40, v40, v42
	v_add_f32_e32 v40, v40, v41
	v_exp_f32_e32 v40, v40
	v_cvt_i32_f32_e32 v41, v42
	v_cmp_nlt_f32_e32 vcc, s22, v24
	v_ldexp_f32 v40, v40, v41
	v_mul_f32_e32 v41, 0xbfb8aa3b, v25
	v_fma_f32 v42, v25, s16, -v41
	v_rndne_f32_e32 v43, v41
	v_fmac_f32_e32 v42, 0xb2a5705f, v25
	v_sub_f32_e32 v41, v41, v43
	v_add_f32_e32 v41, v41, v42
	v_exp_f32_e32 v41, v41
	v_cvt_i32_f32_e32 v42, v43
	v_cndmask_b32_e32 v40, 0, v40, vcc
	v_cmp_ngt_f32_e32 vcc, s23, v24
	v_ldexp_f32 v41, v41, v42
	s_nop 0
	v_cndmask_b32_e32 v40, v38, v40, vcc
	v_cmp_nlt_f32_e32 vcc, s22, v25
	v_add_f32_e32 v40, 1.0, v40
	v_rcp_f32_e32 v40, v40
	v_cndmask_b32_e32 v41, 0, v41, vcc
	v_cmp_ngt_f32_e32 vcc, s23, v25
	s_nop 1
	v_cndmask_b32_e32 v41, v38, v41, vcc
	v_add_f32_e32 v41, 1.0, v41
	v_rcp_f32_e32 v41, v41
	s_nop 0
	v_pk_mul_f32 v[24:25], v[40:41], v[24:25]
	s_nop 0
	;;#ASMSTART
	v_pk_mul_f32 v[24:25], v[24:25], v[28:29]
	;;#ASMEND
	v_lshlrev_b32_e32 v28, 16, v30
	v_and_b32_e32 v29, 0xffff0000, v30
	v_and_b32_e32 v30, 0xffff0000, v26
	v_lshlrev_b32_e32 v26, 16, v26
	v_max_f32_e32 v26, v26, v26
	v_min_f32_e32 v26, v26, v36
	v_max_f32_e32 v30, v30, v30
	v_and_b32_e32 v40, 0xffff0000, v26
	v_min_f32_e32 v30, v30, v37
	v_mul_f32_e32 v26, 0xbfb8aa3b, v40
	v_and_b32_e32 v41, 0xffff0000, v30
	v_fma_f32 v30, v40, s16, -v26
	v_rndne_f32_e32 v42, v26
	v_fmac_f32_e32 v30, 0xb2a5705f, v40
	v_sub_f32_e32 v26, v26, v42
	v_add_f32_e32 v26, v26, v30
	v_exp_f32_e32 v26, v26
	v_cvt_i32_f32_e32 v30, v42
	v_cmp_nlt_f32_e32 vcc, s22, v40
	v_med3_f32 v28, -s17, v28, s17
	v_med3_f32 v29, -s17, v29, s17
	v_ldexp_f32 v26, v26, v30
	v_cndmask_b32_e32 v26, 0, v26, vcc
	v_cmp_ngt_f32_e32 vcc, s23, v40
	s_nop 1
	v_cndmask_b32_e32 v26, v38, v26, vcc
	v_add_f32_e32 v26, 1.0, v26
	v_rcp_f32_e32 v42, v26
	v_mul_f32_e32 v26, 0xbfb8aa3b, v41
	v_fma_f32 v30, v41, s16, -v26
	v_rndne_f32_e32 v43, v26
	v_fmac_f32_e32 v30, 0xb2a5705f, v41
	v_sub_f32_e32 v26, v26, v43
	v_add_f32_e32 v26, v26, v30
	v_exp_f32_e32 v26, v26
	v_cvt_i32_f32_e32 v30, v43
	v_cmp_nlt_f32_e32 vcc, s22, v41
	v_ldexp_f32 v26, v26, v30
	s_nop 0
	v_cndmask_b32_e32 v26, 0, v26, vcc
	v_cmp_ngt_f32_e32 vcc, s23, v41
	s_nop 1
	v_cndmask_b32_e32 v26, v38, v26, vcc
	v_add_f32_e32 v26, 1.0, v26
	v_rcp_f32_e32 v43, v26
	v_lshlrev_b32_e32 v26, 16, v31
	v_med3_f32 v30, -s17, v26, s17
	v_and_b32_e32 v26, 0xffff0000, v31
	v_med3_f32 v31, -s17, v26, s17
	v_and_b32_e32 v26, 0xffff0000, v27
	v_lshlrev_b32_e32 v27, 16, v27
	v_pk_mul_f32 v[40:41], v[42:43], v[40:41]
	v_max_f32_e32 v27, v27, v27
	v_max_f32_e32 v26, v26, v26
	;;#ASMSTART
	v_pk_mul_f32 v[28:29], v[40:41], v[28:29]
	;;#ASMEND
	v_min_f32_e32 v40, v27, v36
	v_min_f32_e32 v26, v26, v37
	v_and_b32_e32 v27, 0xffff0000, v26
	v_and_b32_e32 v26, 0xffff0000, v40
	v_mul_f32_e32 v40, 0xbfb8aa3b, v26
	v_fma_f32 v41, v26, s16, -v40
	v_rndne_f32_e32 v42, v40
	v_fmac_f32_e32 v41, 0xb2a5705f, v26
	v_sub_f32_e32 v40, v40, v42
	v_add_f32_e32 v40, v40, v41
	v_exp_f32_e32 v40, v40
	v_cvt_i32_f32_e32 v41, v42
	v_cmp_nlt_f32_e32 vcc, s22, v26
	v_ldexp_f32 v40, v40, v41
	v_mul_f32_e32 v41, 0xbfb8aa3b, v27
	v_fma_f32 v42, v27, s16, -v41
	v_rndne_f32_e32 v43, v41
	v_fmac_f32_e32 v42, 0xb2a5705f, v27
	v_sub_f32_e32 v41, v41, v43
	v_add_f32_e32 v41, v41, v42
	v_exp_f32_e32 v41, v41
	v_cvt_i32_f32_e32 v42, v43
	v_cndmask_b32_e32 v40, 0, v40, vcc
	v_cmp_ngt_f32_e32 vcc, s23, v26
	v_ldexp_f32 v41, v41, v42
	s_nop 0
	v_cndmask_b32_e32 v40, v38, v40, vcc
	v_cmp_nlt_f32_e32 vcc, s22, v27
	v_add_f32_e32 v40, 1.0, v40
	v_rcp_f32_e32 v40, v40
	v_cndmask_b32_e32 v41, 0, v41, vcc
	v_cmp_ngt_f32_e32 vcc, s23, v27
	s_nop 1
	v_cndmask_b32_e32 v41, v38, v41, vcc
	v_add_f32_e32 v41, 1.0, v41
	v_rcp_f32_e32 v41, v41
	s_nop 0
	v_pk_mul_f32 v[26:27], v[40:41], v[26:27]
	s_nop 0
	;;#ASMSTART
	v_pk_mul_f32 v[26:27], v[26:27], v[30:31]
	;;#ASMEND
	s_waitcnt vmcnt(2)
	v_lshlrev_b32_e32 v30, 16, v20
	v_and_b32_e32 v20, 0xffff0000, v20
	v_med3_f32 v31, -s17, v20, s17
	v_and_b32_e32 v20, 0xffff0000, v16
	v_lshlrev_b32_e32 v16, 16, v16
	v_max_f32_e32 v16, v16, v16
	v_min_f32_e32 v16, v16, v36
	v_max_f32_e32 v20, v20, v20
	v_and_b32_e32 v40, 0xffff0000, v16
	v_min_f32_e32 v20, v20, v37
	v_mul_f32_e32 v16, 0xbfb8aa3b, v40
	v_and_b32_e32 v41, 0xffff0000, v20
	v_fma_f32 v20, v40, s16, -v16
	v_rndne_f32_e32 v42, v16
	v_fmac_f32_e32 v20, 0xb2a5705f, v40
	v_sub_f32_e32 v16, v16, v42
	v_add_f32_e32 v16, v16, v20
	v_exp_f32_e32 v16, v16
	v_cvt_i32_f32_e32 v20, v42
	v_cmp_nlt_f32_e32 vcc, s22, v40
	v_med3_f32 v30, -s17, v30, s17
	v_ldexp_f32 v16, v16, v20
	v_cndmask_b32_e32 v16, 0, v16, vcc
	v_cmp_ngt_f32_e32 vcc, s23, v40
	s_nop 1
	v_cndmask_b32_e32 v16, v38, v16, vcc
	v_add_f32_e32 v16, 1.0, v16
	v_rcp_f32_e32 v42, v16
	v_mul_f32_e32 v16, 0xbfb8aa3b, v41
	v_fma_f32 v20, v41, s16, -v16
	v_rndne_f32_e32 v43, v16
	v_fmac_f32_e32 v20, 0xb2a5705f, v41
	v_sub_f32_e32 v16, v16, v43
	v_add_f32_e32 v16, v16, v20
	v_exp_f32_e32 v16, v16
	v_cvt_i32_f32_e32 v20, v43
	v_cmp_nlt_f32_e32 vcc, s22, v41
	v_ldexp_f32 v16, v16, v20
	s_nop 0
	v_cndmask_b32_e32 v16, 0, v16, vcc
	v_cmp_ngt_f32_e32 vcc, s23, v41
	s_nop 1
	v_cndmask_b32_e32 v16, v38, v16, vcc
	v_add_f32_e32 v16, 1.0, v16
	v_rcp_f32_e32 v43, v16
	v_lshlrev_b32_e32 v16, 16, v21
	v_med3_f32 v20, -s17, v16, s17
	v_and_b32_e32 v16, 0xffff0000, v21
	v_med3_f32 v21, -s17, v16, s17
	v_and_b32_e32 v16, 0xffff0000, v17
	v_lshlrev_b32_e32 v17, 16, v17
	v_pk_mul_f32 v[40:41], v[42:43], v[40:41]
	v_max_f32_e32 v17, v17, v17
	v_max_f32_e32 v16, v16, v16
	;;#ASMSTART
	v_pk_mul_f32 v[30:31], v[40:41], v[30:31]
	;;#ASMEND
	v_min_f32_e32 v40, v17, v36
	v_min_f32_e32 v16, v16, v37
	v_and_b32_e32 v17, 0xffff0000, v16
	v_and_b32_e32 v16, 0xffff0000, v40
	v_mul_f32_e32 v40, 0xbfb8aa3b, v16
	v_fma_f32 v41, v16, s16, -v40
	v_rndne_f32_e32 v42, v40
	v_fmac_f32_e32 v41, 0xb2a5705f, v16
	v_sub_f32_e32 v40, v40, v42
	v_add_f32_e32 v40, v40, v41
	v_exp_f32_e32 v40, v40
	v_cvt_i32_f32_e32 v41, v42
	v_cmp_nlt_f32_e32 vcc, s22, v16
	v_ldexp_f32 v40, v40, v41
	v_mul_f32_e32 v41, 0xbfb8aa3b, v17
	v_fma_f32 v42, v17, s16, -v41
	v_rndne_f32_e32 v43, v41
	v_fmac_f32_e32 v42, 0xb2a5705f, v17
	v_sub_f32_e32 v41, v41, v43
	v_add_f32_e32 v41, v41, v42
	v_exp_f32_e32 v41, v41
	v_cvt_i32_f32_e32 v42, v43
	v_cndmask_b32_e32 v40, 0, v40, vcc
	v_cmp_ngt_f32_e32 vcc, s23, v16
	v_ldexp_f32 v41, v41, v42
	s_nop 0
	v_cndmask_b32_e32 v40, v38, v40, vcc
	v_cmp_nlt_f32_e32 vcc, s22, v17
	v_add_f32_e32 v40, 1.0, v40
	v_rcp_f32_e32 v40, v40
	v_cndmask_b32_e32 v41, 0, v41, vcc
	v_cmp_ngt_f32_e32 vcc, s23, v17
	s_nop 1
	v_cndmask_b32_e32 v41, v38, v41, vcc
	v_add_f32_e32 v41, 1.0, v41
	v_rcp_f32_e32 v41, v41
	s_nop 0
	v_pk_mul_f32 v[16:17], v[40:41], v[16:17]
	s_nop 0
	;;#ASMSTART
	v_pk_mul_f32 v[16:17], v[16:17], v[20:21]
	;;#ASMEND
	v_lshlrev_b32_e32 v20, 16, v22
	v_and_b32_e32 v21, 0xffff0000, v22
	v_and_b32_e32 v22, 0xffff0000, v18
	v_lshlrev_b32_e32 v18, 16, v18
	v_max_f32_e32 v18, v18, v18
	v_min_f32_e32 v18, v18, v36
	v_max_f32_e32 v22, v22, v22
	v_and_b32_e32 v40, 0xffff0000, v18
	v_min_f32_e32 v22, v22, v37
	v_mul_f32_e32 v18, 0xbfb8aa3b, v40
	v_and_b32_e32 v41, 0xffff0000, v22
	v_fma_f32 v22, v40, s16, -v18
	v_rndne_f32_e32 v42, v18
	v_fmac_f32_e32 v22, 0xb2a5705f, v40
	v_sub_f32_e32 v18, v18, v42
	v_add_f32_e32 v18, v18, v22
	v_exp_f32_e32 v18, v18
	v_cvt_i32_f32_e32 v22, v42
	v_cmp_nlt_f32_e32 vcc, s22, v40
	v_med3_f32 v20, -s17, v20, s17
	v_med3_f32 v21, -s17, v21, s17
	v_ldexp_f32 v18, v18, v22
	v_cndmask_b32_e32 v18, 0, v18, vcc
	v_cmp_ngt_f32_e32 vcc, s23, v40
	s_nop 1
	v_cndmask_b32_e32 v18, v38, v18, vcc
	v_add_f32_e32 v18, 1.0, v18
	v_rcp_f32_e32 v42, v18
	v_mul_f32_e32 v18, 0xbfb8aa3b, v41
	v_fma_f32 v22, v41, s16, -v18
	v_rndne_f32_e32 v43, v18
	v_fmac_f32_e32 v22, 0xb2a5705f, v41
	v_sub_f32_e32 v18, v18, v43
	v_add_f32_e32 v18, v18, v22
	v_exp_f32_e32 v18, v18
	v_cvt_i32_f32_e32 v22, v43
	v_cmp_nlt_f32_e32 vcc, s22, v41
	v_ldexp_f32 v18, v18, v22
	s_nop 0
	v_cndmask_b32_e32 v18, 0, v18, vcc
	v_cmp_ngt_f32_e32 vcc, s23, v41
	s_nop 1
	v_cndmask_b32_e32 v18, v38, v18, vcc
	v_add_f32_e32 v18, 1.0, v18
	v_rcp_f32_e32 v43, v18
	v_lshlrev_b32_e32 v18, 16, v23
	v_med3_f32 v22, -s17, v18, s17
	v_and_b32_e32 v18, 0xffff0000, v23
	v_med3_f32 v23, -s17, v18, s17
	v_and_b32_e32 v18, 0xffff0000, v19
	v_lshlrev_b32_e32 v19, 16, v19
	v_pk_mul_f32 v[40:41], v[42:43], v[40:41]
	v_max_f32_e32 v19, v19, v19
	v_max_f32_e32 v18, v18, v18
	;;#ASMSTART
	v_pk_mul_f32 v[20:21], v[40:41], v[20:21]
	;;#ASMEND
	v_min_f32_e32 v40, v19, v36
	v_min_f32_e32 v18, v18, v37
	v_and_b32_e32 v19, 0xffff0000, v18
	v_and_b32_e32 v18, 0xffff0000, v40
	v_mul_f32_e32 v40, 0xbfb8aa3b, v18
	v_fma_f32 v41, v18, s16, -v40
	v_rndne_f32_e32 v42, v40
	v_fmac_f32_e32 v41, 0xb2a5705f, v18
	v_sub_f32_e32 v40, v40, v42
	v_add_f32_e32 v40, v40, v41
	v_exp_f32_e32 v40, v40
	v_cvt_i32_f32_e32 v41, v42
	v_cmp_nlt_f32_e32 vcc, s22, v18
	v_ldexp_f32 v40, v40, v41
	v_mul_f32_e32 v41, 0xbfb8aa3b, v19
	v_fma_f32 v42, v19, s16, -v41
	v_rndne_f32_e32 v43, v41
	v_fmac_f32_e32 v42, 0xb2a5705f, v19
	v_sub_f32_e32 v41, v41, v43
	v_add_f32_e32 v41, v41, v42
	v_exp_f32_e32 v41, v41
	v_cvt_i32_f32_e32 v42, v43
	v_cndmask_b32_e32 v40, 0, v40, vcc
	v_cmp_ngt_f32_e32 vcc, s23, v18
	v_ldexp_f32 v41, v41, v42
	s_nop 0
	v_cndmask_b32_e32 v40, v38, v40, vcc
	v_cmp_nlt_f32_e32 vcc, s22, v19
	v_add_f32_e32 v40, 1.0, v40
	v_rcp_f32_e32 v40, v40
	v_cndmask_b32_e32 v41, 0, v41, vcc
	v_cmp_ngt_f32_e32 vcc, s23, v19
	s_nop 1
	v_cndmask_b32_e32 v41, v38, v41, vcc
	v_add_f32_e32 v41, 1.0, v41
	v_rcp_f32_e32 v41, v41
	s_nop 0
	v_pk_mul_f32 v[18:19], v[40:41], v[18:19]
	s_nop 0
	;;#ASMSTART
	v_pk_mul_f32 v[18:19], v[18:19], v[22:23]
	;;#ASMEND
	s_waitcnt vmcnt(1)
	v_lshlrev_b32_e32 v22, 16, v12
	v_and_b32_e32 v12, 0xffff0000, v12
	v_med3_f32 v23, -s17, v12, s17
	v_and_b32_e32 v12, 0xffff0000, v8
	v_lshlrev_b32_e32 v8, 16, v8
	v_max_f32_e32 v8, v8, v8
	v_min_f32_e32 v8, v8, v36
	v_max_f32_e32 v12, v12, v12
	v_and_b32_e32 v40, 0xffff0000, v8
	v_min_f32_e32 v12, v12, v37
	v_mul_f32_e32 v8, 0xbfb8aa3b, v40
	v_and_b32_e32 v41, 0xffff0000, v12
	v_fma_f32 v12, v40, s16, -v8
	v_rndne_f32_e32 v42, v8
	v_fmac_f32_e32 v12, 0xb2a5705f, v40
	v_sub_f32_e32 v8, v8, v42
	v_add_f32_e32 v8, v8, v12
	v_exp_f32_e32 v8, v8
	v_cvt_i32_f32_e32 v12, v42
	v_cmp_nlt_f32_e32 vcc, s22, v40
	v_med3_f32 v22, -s17, v22, s17
	v_ldexp_f32 v8, v8, v12
	v_cndmask_b32_e32 v8, 0, v8, vcc
	v_cmp_ngt_f32_e32 vcc, s23, v40
	s_nop 1
	v_cndmask_b32_e32 v8, v38, v8, vcc
	v_add_f32_e32 v8, 1.0, v8
	v_rcp_f32_e32 v42, v8
	v_mul_f32_e32 v8, 0xbfb8aa3b, v41
	v_fma_f32 v12, v41, s16, -v8
	v_rndne_f32_e32 v43, v8
	v_fmac_f32_e32 v12, 0xb2a5705f, v41
	v_sub_f32_e32 v8, v8, v43
	v_add_f32_e32 v8, v8, v12
	v_exp_f32_e32 v8, v8
	v_cvt_i32_f32_e32 v12, v43
	v_cmp_nlt_f32_e32 vcc, s22, v41
	v_ldexp_f32 v8, v8, v12
	s_nop 0
	v_cndmask_b32_e32 v8, 0, v8, vcc
	v_cmp_ngt_f32_e32 vcc, s23, v41
	s_nop 1
	v_cndmask_b32_e32 v8, v38, v8, vcc
	v_add_f32_e32 v8, 1.0, v8
	v_rcp_f32_e32 v43, v8
	v_lshlrev_b32_e32 v8, 16, v13
	v_med3_f32 v12, -s17, v8, s17
	v_and_b32_e32 v8, 0xffff0000, v13
	v_med3_f32 v13, -s17, v8, s17
	v_and_b32_e32 v8, 0xffff0000, v9
	v_lshlrev_b32_e32 v9, 16, v9
	v_pk_mul_f32 v[40:41], v[42:43], v[40:41]
	v_max_f32_e32 v9, v9, v9
	v_max_f32_e32 v8, v8, v8
	;;#ASMSTART
	v_pk_mul_f32 v[22:23], v[40:41], v[22:23]
	;;#ASMEND
	v_min_f32_e32 v40, v9, v36
	v_min_f32_e32 v8, v8, v37
	v_and_b32_e32 v9, 0xffff0000, v8
	v_and_b32_e32 v8, 0xffff0000, v40
	v_mul_f32_e32 v40, 0xbfb8aa3b, v8
	v_fma_f32 v41, v8, s16, -v40
	v_rndne_f32_e32 v42, v40
	v_fmac_f32_e32 v41, 0xb2a5705f, v8
	v_sub_f32_e32 v40, v40, v42
	v_add_f32_e32 v40, v40, v41
	v_exp_f32_e32 v40, v40
	v_cvt_i32_f32_e32 v41, v42
	v_cmp_nlt_f32_e32 vcc, s22, v8
	v_ldexp_f32 v40, v40, v41
	v_mul_f32_e32 v41, 0xbfb8aa3b, v9
	v_fma_f32 v42, v9, s16, -v41
	v_rndne_f32_e32 v43, v41
	v_fmac_f32_e32 v42, 0xb2a5705f, v9
	v_sub_f32_e32 v41, v41, v43
	v_add_f32_e32 v41, v41, v42
	v_exp_f32_e32 v41, v41
	v_cvt_i32_f32_e32 v42, v43
	v_cndmask_b32_e32 v40, 0, v40, vcc
	v_cmp_ngt_f32_e32 vcc, s23, v8
	v_ldexp_f32 v41, v41, v42
	s_nop 0
	v_cndmask_b32_e32 v40, v38, v40, vcc
	v_cmp_nlt_f32_e32 vcc, s22, v9
	v_add_f32_e32 v40, 1.0, v40
	v_rcp_f32_e32 v40, v40
	v_cndmask_b32_e32 v41, 0, v41, vcc
	v_cmp_ngt_f32_e32 vcc, s23, v9
	s_nop 1
	v_cndmask_b32_e32 v41, v38, v41, vcc
	v_add_f32_e32 v41, 1.0, v41
	v_rcp_f32_e32 v41, v41
	s_nop 0
	v_pk_mul_f32 v[8:9], v[40:41], v[8:9]
	s_nop 0
	;;#ASMSTART
	v_pk_mul_f32 v[8:9], v[8:9], v[12:13]
	;;#ASMEND
	v_lshlrev_b32_e32 v12, 16, v14
	v_and_b32_e32 v13, 0xffff0000, v14
	v_and_b32_e32 v14, 0xffff0000, v10
	v_lshlrev_b32_e32 v10, 16, v10
	v_max_f32_e32 v10, v10, v10
	v_min_f32_e32 v10, v10, v36
	v_max_f32_e32 v14, v14, v14
	v_and_b32_e32 v40, 0xffff0000, v10
	v_min_f32_e32 v14, v14, v37
	v_mul_f32_e32 v10, 0xbfb8aa3b, v40
	v_and_b32_e32 v41, 0xffff0000, v14
	v_fma_f32 v14, v40, s16, -v10
	v_rndne_f32_e32 v42, v10
	v_fmac_f32_e32 v14, 0xb2a5705f, v40
	v_sub_f32_e32 v10, v10, v42
	v_add_f32_e32 v10, v10, v14
	v_exp_f32_e32 v10, v10
	v_cvt_i32_f32_e32 v14, v42
	v_cmp_nlt_f32_e32 vcc, s22, v40
	v_med3_f32 v12, -s17, v12, s17
	v_med3_f32 v13, -s17, v13, s17
	v_ldexp_f32 v10, v10, v14
	v_cndmask_b32_e32 v10, 0, v10, vcc
	v_cmp_ngt_f32_e32 vcc, s23, v40
	s_nop 1
	v_cndmask_b32_e32 v10, v38, v10, vcc
	v_add_f32_e32 v10, 1.0, v10
	v_rcp_f32_e32 v42, v10
	v_mul_f32_e32 v10, 0xbfb8aa3b, v41
	v_fma_f32 v14, v41, s16, -v10
	v_rndne_f32_e32 v43, v10
	v_fmac_f32_e32 v14, 0xb2a5705f, v41
	v_sub_f32_e32 v10, v10, v43
	v_add_f32_e32 v10, v10, v14
	v_exp_f32_e32 v10, v10
	v_cvt_i32_f32_e32 v14, v43
	v_cmp_nlt_f32_e32 vcc, s22, v41
	v_ldexp_f32 v10, v10, v14
	s_nop 0
	v_cndmask_b32_e32 v10, 0, v10, vcc
	v_cmp_ngt_f32_e32 vcc, s23, v41
	s_nop 1
	v_cndmask_b32_e32 v10, v38, v10, vcc
	v_add_f32_e32 v10, 1.0, v10
	v_rcp_f32_e32 v43, v10
	v_lshlrev_b32_e32 v10, 16, v15
	v_med3_f32 v14, -s17, v10, s17
	v_and_b32_e32 v10, 0xffff0000, v15
	v_med3_f32 v15, -s17, v10, s17
	v_and_b32_e32 v10, 0xffff0000, v11
	v_lshlrev_b32_e32 v11, 16, v11
	v_pk_mul_f32 v[40:41], v[42:43], v[40:41]
	v_max_f32_e32 v11, v11, v11
	v_max_f32_e32 v10, v10, v10
	;;#ASMSTART
	v_pk_mul_f32 v[12:13], v[40:41], v[12:13]
	;;#ASMEND
	v_min_f32_e32 v40, v11, v36
	v_min_f32_e32 v10, v10, v37
	v_and_b32_e32 v11, 0xffff0000, v10
	v_and_b32_e32 v10, 0xffff0000, v40
	v_mul_f32_e32 v40, 0xbfb8aa3b, v10
	v_fma_f32 v41, v10, s16, -v40
	v_rndne_f32_e32 v42, v40
	v_fmac_f32_e32 v41, 0xb2a5705f, v10
	v_sub_f32_e32 v40, v40, v42
	v_add_f32_e32 v40, v40, v41
	v_exp_f32_e32 v40, v40
	v_cvt_i32_f32_e32 v41, v42
	v_cmp_nlt_f32_e32 vcc, s22, v10
	v_ldexp_f32 v40, v40, v41
	v_mul_f32_e32 v41, 0xbfb8aa3b, v11
	v_fma_f32 v42, v11, s16, -v41
	v_rndne_f32_e32 v43, v41
	v_fmac_f32_e32 v42, 0xb2a5705f, v11
	v_sub_f32_e32 v41, v41, v43
	v_add_f32_e32 v41, v41, v42
	v_exp_f32_e32 v41, v41
	v_cvt_i32_f32_e32 v42, v43
	v_cndmask_b32_e32 v40, 0, v40, vcc
	v_cmp_ngt_f32_e32 vcc, s23, v10
	v_ldexp_f32 v41, v41, v42
	s_nop 0
	v_cndmask_b32_e32 v40, v38, v40, vcc
	v_cmp_nlt_f32_e32 vcc, s22, v11
	v_add_f32_e32 v40, 1.0, v40
	v_rcp_f32_e32 v40, v40
	v_cndmask_b32_e32 v41, 0, v41, vcc
	v_cmp_ngt_f32_e32 vcc, s23, v11
	s_nop 1
	v_cndmask_b32_e32 v41, v38, v41, vcc
	v_add_f32_e32 v41, 1.0, v41
	v_rcp_f32_e32 v41, v41
	s_nop 0
	v_pk_mul_f32 v[10:11], v[40:41], v[10:11]
	s_nop 0
	;;#ASMSTART
	v_pk_mul_f32 v[10:11], v[10:11], v[14:15]
	;;#ASMEND
	s_waitcnt vmcnt(0)
	v_lshlrev_b32_e32 v14, 16, v4
	v_and_b32_e32 v4, 0xffff0000, v4
	v_med3_f32 v15, -s17, v4, s17
	v_and_b32_e32 v4, 0xffff0000, v0
	v_lshlrev_b32_e32 v0, 16, v0
	v_max_f32_e32 v0, v0, v0
	v_min_f32_e32 v0, v0, v36
	v_max_f32_e32 v4, v4, v4
	v_and_b32_e32 v40, 0xffff0000, v0
	v_min_f32_e32 v4, v4, v37
	v_mul_f32_e32 v0, 0xbfb8aa3b, v40
	v_and_b32_e32 v41, 0xffff0000, v4
	v_fma_f32 v4, v40, s16, -v0
	v_rndne_f32_e32 v42, v0
	v_fmac_f32_e32 v4, 0xb2a5705f, v40
	v_sub_f32_e32 v0, v0, v42
	v_add_f32_e32 v0, v0, v4
	v_exp_f32_e32 v0, v0
	v_cvt_i32_f32_e32 v4, v42
	v_cmp_nlt_f32_e32 vcc, s22, v40
	v_med3_f32 v14, -s17, v14, s17
	v_ldexp_f32 v0, v0, v4
	v_cndmask_b32_e32 v0, 0, v0, vcc
	v_cmp_ngt_f32_e32 vcc, s23, v40
	s_nop 1
	v_cndmask_b32_e32 v0, v38, v0, vcc
	v_add_f32_e32 v0, 1.0, v0
	v_rcp_f32_e32 v42, v0
	v_mul_f32_e32 v0, 0xbfb8aa3b, v41
	v_fma_f32 v4, v41, s16, -v0
	v_rndne_f32_e32 v43, v0
	v_fmac_f32_e32 v4, 0xb2a5705f, v41
	v_sub_f32_e32 v0, v0, v43
	v_add_f32_e32 v0, v0, v4
	v_exp_f32_e32 v0, v0
	v_cvt_i32_f32_e32 v4, v43
	v_cmp_nlt_f32_e32 vcc, s22, v41
	v_ldexp_f32 v0, v0, v4
	s_nop 0
	v_cndmask_b32_e32 v0, 0, v0, vcc
	v_cmp_ngt_f32_e32 vcc, s23, v41
	s_nop 1
	v_cndmask_b32_e32 v0, v38, v0, vcc
	v_add_f32_e32 v0, 1.0, v0
	v_rcp_f32_e32 v43, v0
	v_lshlrev_b32_e32 v0, 16, v5
	v_med3_f32 v4, -s17, v0, s17
	v_and_b32_e32 v0, 0xffff0000, v5
	v_med3_f32 v5, -s17, v0, s17
	v_and_b32_e32 v0, 0xffff0000, v1
	v_lshlrev_b32_e32 v1, 16, v1
	v_pk_mul_f32 v[40:41], v[42:43], v[40:41]
	v_max_f32_e32 v1, v1, v1
	v_max_f32_e32 v0, v0, v0
	;;#ASMSTART
	v_pk_mul_f32 v[14:15], v[40:41], v[14:15]
	;;#ASMEND
	v_min_f32_e32 v40, v1, v36
	v_min_f32_e32 v0, v0, v37
	v_and_b32_e32 v1, 0xffff0000, v0
	v_and_b32_e32 v0, 0xffff0000, v40
	v_mul_f32_e32 v40, 0xbfb8aa3b, v0
	v_fma_f32 v41, v0, s16, -v40
	v_rndne_f32_e32 v42, v40
	v_fmac_f32_e32 v41, 0xb2a5705f, v0
	v_sub_f32_e32 v40, v40, v42
	v_add_f32_e32 v40, v40, v41
	v_exp_f32_e32 v40, v40
	v_cvt_i32_f32_e32 v41, v42
	v_cmp_nlt_f32_e32 vcc, s22, v0
	v_ldexp_f32 v40, v40, v41
	v_mul_f32_e32 v41, 0xbfb8aa3b, v1
	v_fma_f32 v42, v1, s16, -v41
	v_rndne_f32_e32 v43, v41
	v_fmac_f32_e32 v42, 0xb2a5705f, v1
	v_sub_f32_e32 v41, v41, v43
	v_add_f32_e32 v41, v41, v42
	v_exp_f32_e32 v41, v41
	v_cvt_i32_f32_e32 v42, v43
	v_cndmask_b32_e32 v40, 0, v40, vcc
	v_cmp_ngt_f32_e32 vcc, s23, v0
	v_ldexp_f32 v41, v41, v42
	s_nop 0
	v_cndmask_b32_e32 v40, v38, v40, vcc
	v_cmp_nlt_f32_e32 vcc, s22, v1
	v_add_f32_e32 v40, 1.0, v40
	v_rcp_f32_e32 v40, v40
	v_cndmask_b32_e32 v41, 0, v41, vcc
	v_cmp_ngt_f32_e32 vcc, s23, v1
	s_nop 1
	v_cndmask_b32_e32 v41, v38, v41, vcc
	v_add_f32_e32 v41, 1.0, v41
	v_rcp_f32_e32 v41, v41
	s_nop 0
	v_pk_mul_f32 v[0:1], v[40:41], v[0:1]
	s_nop 0
	;;#ASMSTART
	v_pk_mul_f32 v[0:1], v[0:1], v[4:5]
	;;#ASMEND
	v_lshlrev_b32_e32 v4, 16, v6
	v_and_b32_e32 v5, 0xffff0000, v6
	v_and_b32_e32 v6, 0xffff0000, v2
	v_lshlrev_b32_e32 v2, 16, v2
	v_max_f32_e32 v2, v2, v2
	v_min_f32_e32 v2, v2, v36
	v_max_f32_e32 v6, v6, v6
	v_and_b32_e32 v40, 0xffff0000, v2
	v_min_f32_e32 v6, v6, v37
	v_mul_f32_e32 v2, 0xbfb8aa3b, v40
	v_and_b32_e32 v41, 0xffff0000, v6
	v_fma_f32 v6, v40, s16, -v2
	v_rndne_f32_e32 v42, v2
	v_fmac_f32_e32 v6, 0xb2a5705f, v40
	v_sub_f32_e32 v2, v2, v42
	v_add_f32_e32 v2, v2, v6
	v_exp_f32_e32 v2, v2
	v_cvt_i32_f32_e32 v6, v42
	v_cmp_nlt_f32_e32 vcc, s22, v40
	v_med3_f32 v4, -s17, v4, s17
	v_med3_f32 v5, -s17, v5, s17
	v_ldexp_f32 v2, v2, v6
	v_cndmask_b32_e32 v2, 0, v2, vcc
	v_cmp_ngt_f32_e32 vcc, s23, v40
	s_nop 1
	v_cndmask_b32_e32 v2, v38, v2, vcc
	v_add_f32_e32 v2, 1.0, v2
	v_rcp_f32_e32 v42, v2
	v_mul_f32_e32 v2, 0xbfb8aa3b, v41
	v_fma_f32 v6, v41, s16, -v2
	v_rndne_f32_e32 v43, v2
	v_fmac_f32_e32 v6, 0xb2a5705f, v41
	v_sub_f32_e32 v2, v2, v43
	v_add_f32_e32 v2, v2, v6
	v_exp_f32_e32 v2, v2
	v_cvt_i32_f32_e32 v6, v43
	v_cmp_nlt_f32_e32 vcc, s22, v41
	v_ldexp_f32 v2, v2, v6
	s_nop 0
	v_cndmask_b32_e32 v2, 0, v2, vcc
	v_cmp_ngt_f32_e32 vcc, s23, v41
	s_nop 1
	v_cndmask_b32_e32 v2, v38, v2, vcc
	v_add_f32_e32 v2, 1.0, v2
	v_rcp_f32_e32 v43, v2
	v_lshlrev_b32_e32 v2, 16, v7
	v_med3_f32 v6, -s17, v2, s17
	v_and_b32_e32 v2, 0xffff0000, v7
	v_med3_f32 v7, -s17, v2, s17
	v_and_b32_e32 v2, 0xffff0000, v3
	v_lshlrev_b32_e32 v3, 16, v3
	v_pk_mul_f32 v[40:41], v[42:43], v[40:41]
	v_max_f32_e32 v3, v3, v3
	v_max_f32_e32 v2, v2, v2
	;;#ASMSTART
	v_pk_mul_f32 v[4:5], v[40:41], v[4:5]
	;;#ASMEND
	v_min_f32_e32 v40, v3, v36
	v_min_f32_e32 v2, v2, v37
	v_and_b32_e32 v3, 0xffff0000, v2
	v_and_b32_e32 v2, 0xffff0000, v40
	v_mul_f32_e32 v40, 0xbfb8aa3b, v2
	v_fma_f32 v41, v2, s16, -v40
	v_rndne_f32_e32 v42, v40
	v_fmac_f32_e32 v41, 0xb2a5705f, v2
	v_sub_f32_e32 v40, v40, v42
	v_add_f32_e32 v40, v40, v41
	v_exp_f32_e32 v40, v40
	v_cvt_i32_f32_e32 v41, v42
	v_cmp_nlt_f32_e32 vcc, s22, v2
	v_perm_b32 v4, v5, v4, s24
	v_ldexp_f32 v40, v40, v41
	v_mul_f32_e32 v41, 0xbfb8aa3b, v3
	v_fma_f32 v42, v3, s16, -v41
	v_rndne_f32_e32 v43, v41
	v_fmac_f32_e32 v42, 0xb2a5705f, v3
	v_sub_f32_e32 v41, v41, v43
	v_add_f32_e32 v41, v41, v42
	v_exp_f32_e32 v41, v41
	v_cvt_i32_f32_e32 v42, v43
	v_cndmask_b32_e32 v40, 0, v40, vcc
	v_cmp_ngt_f32_e32 vcc, s23, v2
	v_perm_b32 v43, v27, v26, s24
	v_ldexp_f32 v41, v41, v42
	v_cndmask_b32_e32 v40, v38, v40, vcc
	v_cmp_nlt_f32_e32 vcc, s22, v3
	v_add_f32_e32 v40, 1.0, v40
	v_rcp_f32_e32 v40, v40
	v_cndmask_b32_e32 v41, 0, v41, vcc
	v_cmp_ngt_f32_e32 vcc, s23, v3
	v_perm_b32 v42, v29, v28, s24
	v_perm_b32 v26, v21, v20, s24
	v_cndmask_b32_e32 v41, v38, v41, vcc
	v_add_f32_e32 v41, 1.0, v41
	v_rcp_f32_e32 v41, v41
	v_perm_b32 v27, v19, v18, s24
	v_pk_mul_f32 v[2:3], v[40:41], v[2:3]
	s_nop 0
	;;#ASMSTART
	v_pk_mul_f32 v[44:45], v[2:3], v[6:7]
	;;#ASMEND
	s_load_dword s20, s[0:1], 0xc
	v_perm_b32 v40, v35, v34, s24
	v_perm_b32 v41, v25, v24, s24
	;; [unrolled: 1-line block ×4, first 2 shown]
	s_waitcnt lgkmcnt(0)
	s_and_b32 s20, s20, 0xffff
	s_lshl_b32 s20, s20, 5
	v_lshl_add_u64 v[32:33], s[20:21], 0, v[32:33]
	v_cmp_le_i64_e32 vcc, s[18:19], v[32:33]
	v_perm_b32 v6, v23, v22, s24
	v_perm_b32 v7, v9, v8, s24
	;; [unrolled: 1-line block ×7, first 2 shown]
	s_or_b64 s[2:3], vcc, s[2:3]
	buffer_store_dwordx4 v[40:43], v39, s[12:15], 0 offen
	buffer_store_dwordx4 v[24:27], v39, s[12:15], 16 offen
	;; [unrolled: 1-line block ×4, first 2 shown]
	s_andn2_b64 exec, exec, s[2:3]
	s_cbranch_execnz .LBB22_2
.LBB22_3:
	s_endpgm
	.section	.rodata,"a",@progbits
	.p2align	6, 0x0
	.amdhsa_kernel _ZN5aiter18act_and_mul_kernelIttTnPFfRKT_EXadL_ZNS_11silu_kernelItEEfS3_EELi32ELb1ELi3EEEvPT0_PS2_if
		.amdhsa_group_segment_fixed_size 0
		.amdhsa_private_segment_fixed_size 0
		.amdhsa_kernarg_size 280
		.amdhsa_user_sgpr_count 2
		.amdhsa_user_sgpr_dispatch_ptr 0
		.amdhsa_user_sgpr_queue_ptr 0
		.amdhsa_user_sgpr_kernarg_segment_ptr 1
		.amdhsa_user_sgpr_dispatch_id 0
		.amdhsa_user_sgpr_kernarg_preload_length 0
		.amdhsa_user_sgpr_kernarg_preload_offset 0
		.amdhsa_user_sgpr_private_segment_size 0
		.amdhsa_uses_dynamic_stack 0
		.amdhsa_enable_private_segment 0
		.amdhsa_system_sgpr_workgroup_id_x 1
		.amdhsa_system_sgpr_workgroup_id_y 0
		.amdhsa_system_sgpr_workgroup_id_z 0
		.amdhsa_system_sgpr_workgroup_info 0
		.amdhsa_system_vgpr_workitem_id 0
		.amdhsa_next_free_vgpr 46
		.amdhsa_next_free_sgpr 25
		.amdhsa_accum_offset 48
		.amdhsa_reserve_vcc 1
		.amdhsa_float_round_mode_32 0
		.amdhsa_float_round_mode_16_64 0
		.amdhsa_float_denorm_mode_32 3
		.amdhsa_float_denorm_mode_16_64 3
		.amdhsa_dx10_clamp 1
		.amdhsa_ieee_mode 1
		.amdhsa_fp16_overflow 0
		.amdhsa_tg_split 0
		.amdhsa_exception_fp_ieee_invalid_op 0
		.amdhsa_exception_fp_denorm_src 0
		.amdhsa_exception_fp_ieee_div_zero 0
		.amdhsa_exception_fp_ieee_overflow 0
		.amdhsa_exception_fp_ieee_underflow 0
		.amdhsa_exception_fp_ieee_inexact 0
		.amdhsa_exception_int_div_zero 0
	.end_amdhsa_kernel
	.section	.text._ZN5aiter18act_and_mul_kernelIttTnPFfRKT_EXadL_ZNS_11silu_kernelItEEfS3_EELi32ELb1ELi3EEEvPT0_PS2_if,"axG",@progbits,_ZN5aiter18act_and_mul_kernelIttTnPFfRKT_EXadL_ZNS_11silu_kernelItEEfS3_EELi32ELb1ELi3EEEvPT0_PS2_if,comdat
.Lfunc_end22:
	.size	_ZN5aiter18act_and_mul_kernelIttTnPFfRKT_EXadL_ZNS_11silu_kernelItEEfS3_EELi32ELb1ELi3EEEvPT0_PS2_if, .Lfunc_end22-_ZN5aiter18act_and_mul_kernelIttTnPFfRKT_EXadL_ZNS_11silu_kernelItEEfS3_EELi32ELb1ELi3EEEvPT0_PS2_if
                                        ; -- End function
	.section	.AMDGPU.csdata,"",@progbits
; Kernel info:
; codeLenInByte = 4596
; NumSgprs: 31
; NumVgprs: 46
; NumAgprs: 0
; TotalNumVgprs: 46
; ScratchSize: 0
; MemoryBound: 0
; FloatMode: 240
; IeeeMode: 1
; LDSByteSize: 0 bytes/workgroup (compile time only)
; SGPRBlocks: 3
; VGPRBlocks: 5
; NumSGPRsForWavesPerEU: 31
; NumVGPRsForWavesPerEU: 46
; AccumOffset: 48
; Occupancy: 8
; WaveLimiterHint : 0
; COMPUTE_PGM_RSRC2:SCRATCH_EN: 0
; COMPUTE_PGM_RSRC2:USER_SGPR: 2
; COMPUTE_PGM_RSRC2:TRAP_HANDLER: 0
; COMPUTE_PGM_RSRC2:TGID_X_EN: 1
; COMPUTE_PGM_RSRC2:TGID_Y_EN: 0
; COMPUTE_PGM_RSRC2:TGID_Z_EN: 0
; COMPUTE_PGM_RSRC2:TIDIG_COMP_CNT: 0
; COMPUTE_PGM_RSRC3_GFX90A:ACCUM_OFFSET: 11
; COMPUTE_PGM_RSRC3_GFX90A:TG_SPLIT: 0
	.section	.text._ZN5aiter18act_and_mul_kernelIttTnPFfRKT_EXadL_ZNS_11silu_kernelItEEfS3_EELi16ELb1ELi3EEEvPT0_PS2_if,"axG",@progbits,_ZN5aiter18act_and_mul_kernelIttTnPFfRKT_EXadL_ZNS_11silu_kernelItEEfS3_EELi16ELb1ELi3EEEvPT0_PS2_if,comdat
	.protected	_ZN5aiter18act_and_mul_kernelIttTnPFfRKT_EXadL_ZNS_11silu_kernelItEEfS3_EELi16ELb1ELi3EEEvPT0_PS2_if ; -- Begin function _ZN5aiter18act_and_mul_kernelIttTnPFfRKT_EXadL_ZNS_11silu_kernelItEEfS3_EELi16ELb1ELi3EEEvPT0_PS2_if
	.globl	_ZN5aiter18act_and_mul_kernelIttTnPFfRKT_EXadL_ZNS_11silu_kernelItEEfS3_EELi16ELb1ELi3EEEvPT0_PS2_if
	.p2align	8
	.type	_ZN5aiter18act_and_mul_kernelIttTnPFfRKT_EXadL_ZNS_11silu_kernelItEEfS3_EELi16ELb1ELi3EEEvPT0_PS2_if,@function
_ZN5aiter18act_and_mul_kernelIttTnPFfRKT_EXadL_ZNS_11silu_kernelItEEfS3_EELi16ELb1ELi3EEEvPT0_PS2_if: ; @_ZN5aiter18act_and_mul_kernelIttTnPFfRKT_EXadL_ZNS_11silu_kernelItEEfS3_EELi16ELb1ELi3EEEvPT0_PS2_if
; %bb.0:
	s_load_dwordx2 s[16:17], s[0:1], 0x10
	v_lshlrev_b32_e32 v16, 4, v0
	s_waitcnt lgkmcnt(0)
	v_cmp_gt_i32_e32 vcc, s16, v16
	s_and_saveexec_b64 s[4:5], vcc
	s_cbranch_execz .LBB23_3
; %bb.1:
	s_load_dwordx4 s[12:15], s[0:1], 0x0
	s_ashr_i32 s19, s16, 31
	s_mul_hi_u32 s3, s16, s2
	s_mul_i32 s4, s19, s2
	s_add_i32 s3, s3, s4
	s_mul_i32 s2, s16, s2
	s_lshl_b64 s[10:11], s[2:3], 1
	s_lshl_b64 s[2:3], s[2:3], 2
	s_mov_b32 s18, s16
	s_waitcnt lgkmcnt(0)
	s_add_u32 s4, s14, s2
	s_addc_u32 s5, s15, s3
	s_lshl_b64 s[2:3], s[18:19], 1
	s_add_u32 s8, s4, s2
	s_addc_u32 s2, s5, s3
	s_add_i32 s3, s16, 1
	s_lshr_b32 s6, s3, 31
	s_add_i32 s3, s3, s6
	s_lshl_b32 s3, s3, 1
	s_and_b32 s6, s3, -4
	s_and_b32 s5, s5, 0xffff
	s_and_b32 s9, s2, 0xffff
	s_add_u32 s12, s12, s10
	s_addc_u32 s2, s13, s11
	s_and_b32 s13, s2, 0xffff
	s_mov_b32 s7, 0x20000
	s_add_u32 s0, s0, 24
	s_mov_b32 s10, s17
	v_mov_b32_e32 v17, 0
	s_addc_u32 s1, s1, 0
	s_mov_b64 s[2:3], 0
	s_mov_b32 s21, 0
	v_max_f32_e64 v22, s10, s10
	v_max_f32_e64 v23, s17, s17
	s_mov_b32 s16, 0xbfb8aa3b
	s_mov_b32 s22, 0x42ce8ed0
	;; [unrolled: 1-line block ×3, first 2 shown]
	v_mov_b32_e32 v24, 0x7f800000
	s_mov_b32 s24, 0x7060302
	s_mov_b32 s10, s6
	;; [unrolled: 1-line block ×5, first 2 shown]
.LBB23_2:                               ; =>This Inner Loop Header: Depth=1
	v_lshlrev_b32_e32 v25, 1, v16
	buffer_load_dwordx4 v[8:11], v25, s[4:7], 0 offen sc0 nt
	buffer_load_dwordx4 v[0:3], v25, s[4:7], 16 offen sc0 nt
	;; [unrolled: 1-line block ×4, first 2 shown]
	s_waitcnt vmcnt(1)
	v_lshlrev_b32_e32 v18, 16, v12
	v_and_b32_e32 v12, 0xffff0000, v12
	v_med3_f32 v19, -s17, v12, s17
	v_and_b32_e32 v12, 0xffff0000, v8
	v_lshlrev_b32_e32 v8, 16, v8
	v_max_f32_e32 v8, v8, v8
	v_min_f32_e32 v8, v8, v22
	v_max_f32_e32 v12, v12, v12
	v_and_b32_e32 v20, 0xffff0000, v8
	v_min_f32_e32 v12, v12, v23
	v_mul_f32_e32 v8, 0xbfb8aa3b, v20
	v_and_b32_e32 v21, 0xffff0000, v12
	v_fma_f32 v12, v20, s16, -v8
	v_rndne_f32_e32 v26, v8
	v_fmac_f32_e32 v12, 0xb2a5705f, v20
	v_sub_f32_e32 v8, v8, v26
	v_add_f32_e32 v8, v8, v12
	v_exp_f32_e32 v8, v8
	v_cvt_i32_f32_e32 v12, v26
	v_cmp_nlt_f32_e32 vcc, s22, v20
	v_med3_f32 v18, -s17, v18, s17
	v_ldexp_f32 v8, v8, v12
	v_cndmask_b32_e32 v8, 0, v8, vcc
	v_cmp_ngt_f32_e32 vcc, s23, v20
	s_nop 1
	v_cndmask_b32_e32 v8, v24, v8, vcc
	v_add_f32_e32 v8, 1.0, v8
	v_rcp_f32_e32 v26, v8
	v_mul_f32_e32 v8, 0xbfb8aa3b, v21
	v_fma_f32 v12, v21, s16, -v8
	v_rndne_f32_e32 v27, v8
	v_fmac_f32_e32 v12, 0xb2a5705f, v21
	v_sub_f32_e32 v8, v8, v27
	v_add_f32_e32 v8, v8, v12
	v_exp_f32_e32 v8, v8
	v_cvt_i32_f32_e32 v12, v27
	v_cmp_nlt_f32_e32 vcc, s22, v21
	v_ldexp_f32 v8, v8, v12
	s_nop 0
	v_cndmask_b32_e32 v8, 0, v8, vcc
	v_cmp_ngt_f32_e32 vcc, s23, v21
	s_nop 1
	v_cndmask_b32_e32 v8, v24, v8, vcc
	v_add_f32_e32 v8, 1.0, v8
	v_rcp_f32_e32 v27, v8
	v_lshlrev_b32_e32 v8, 16, v13
	v_med3_f32 v12, -s17, v8, s17
	v_and_b32_e32 v8, 0xffff0000, v13
	v_med3_f32 v13, -s17, v8, s17
	v_and_b32_e32 v8, 0xffff0000, v9
	v_lshlrev_b32_e32 v9, 16, v9
	v_pk_mul_f32 v[20:21], v[26:27], v[20:21]
	v_max_f32_e32 v9, v9, v9
	v_max_f32_e32 v8, v8, v8
	;;#ASMSTART
	v_pk_mul_f32 v[18:19], v[20:21], v[18:19]
	;;#ASMEND
	v_min_f32_e32 v20, v9, v22
	v_min_f32_e32 v8, v8, v23
	v_and_b32_e32 v9, 0xffff0000, v8
	v_and_b32_e32 v8, 0xffff0000, v20
	v_mul_f32_e32 v20, 0xbfb8aa3b, v8
	v_fma_f32 v21, v8, s16, -v20
	v_rndne_f32_e32 v26, v20
	v_fmac_f32_e32 v21, 0xb2a5705f, v8
	v_sub_f32_e32 v20, v20, v26
	v_add_f32_e32 v20, v20, v21
	v_exp_f32_e32 v20, v20
	v_cvt_i32_f32_e32 v21, v26
	v_cmp_nlt_f32_e32 vcc, s22, v8
	v_ldexp_f32 v20, v20, v21
	v_mul_f32_e32 v21, 0xbfb8aa3b, v9
	v_fma_f32 v26, v9, s16, -v21
	v_rndne_f32_e32 v27, v21
	v_fmac_f32_e32 v26, 0xb2a5705f, v9
	v_sub_f32_e32 v21, v21, v27
	v_add_f32_e32 v21, v21, v26
	v_exp_f32_e32 v21, v21
	v_cvt_i32_f32_e32 v26, v27
	v_cndmask_b32_e32 v20, 0, v20, vcc
	v_cmp_ngt_f32_e32 vcc, s23, v8
	v_ldexp_f32 v21, v21, v26
	s_nop 0
	v_cndmask_b32_e32 v20, v24, v20, vcc
	v_cmp_nlt_f32_e32 vcc, s22, v9
	v_add_f32_e32 v20, 1.0, v20
	v_rcp_f32_e32 v20, v20
	v_cndmask_b32_e32 v21, 0, v21, vcc
	v_cmp_ngt_f32_e32 vcc, s23, v9
	s_nop 1
	v_cndmask_b32_e32 v21, v24, v21, vcc
	v_add_f32_e32 v21, 1.0, v21
	v_rcp_f32_e32 v21, v21
	s_nop 0
	v_pk_mul_f32 v[8:9], v[20:21], v[8:9]
	s_nop 0
	;;#ASMSTART
	v_pk_mul_f32 v[8:9], v[8:9], v[12:13]
	;;#ASMEND
	v_lshlrev_b32_e32 v12, 16, v14
	v_and_b32_e32 v13, 0xffff0000, v14
	v_and_b32_e32 v14, 0xffff0000, v10
	v_lshlrev_b32_e32 v10, 16, v10
	v_max_f32_e32 v10, v10, v10
	v_min_f32_e32 v10, v10, v22
	v_max_f32_e32 v14, v14, v14
	v_and_b32_e32 v20, 0xffff0000, v10
	v_min_f32_e32 v14, v14, v23
	v_mul_f32_e32 v10, 0xbfb8aa3b, v20
	v_and_b32_e32 v21, 0xffff0000, v14
	v_fma_f32 v14, v20, s16, -v10
	v_rndne_f32_e32 v26, v10
	v_fmac_f32_e32 v14, 0xb2a5705f, v20
	v_sub_f32_e32 v10, v10, v26
	v_add_f32_e32 v10, v10, v14
	v_exp_f32_e32 v10, v10
	v_cvt_i32_f32_e32 v14, v26
	v_cmp_nlt_f32_e32 vcc, s22, v20
	v_med3_f32 v12, -s17, v12, s17
	v_med3_f32 v13, -s17, v13, s17
	v_ldexp_f32 v10, v10, v14
	v_cndmask_b32_e32 v10, 0, v10, vcc
	v_cmp_ngt_f32_e32 vcc, s23, v20
	s_nop 1
	v_cndmask_b32_e32 v10, v24, v10, vcc
	v_add_f32_e32 v10, 1.0, v10
	v_rcp_f32_e32 v26, v10
	v_mul_f32_e32 v10, 0xbfb8aa3b, v21
	v_fma_f32 v14, v21, s16, -v10
	v_rndne_f32_e32 v27, v10
	v_fmac_f32_e32 v14, 0xb2a5705f, v21
	v_sub_f32_e32 v10, v10, v27
	v_add_f32_e32 v10, v10, v14
	v_exp_f32_e32 v10, v10
	v_cvt_i32_f32_e32 v14, v27
	v_cmp_nlt_f32_e32 vcc, s22, v21
	v_ldexp_f32 v10, v10, v14
	s_nop 0
	v_cndmask_b32_e32 v10, 0, v10, vcc
	v_cmp_ngt_f32_e32 vcc, s23, v21
	s_nop 1
	v_cndmask_b32_e32 v10, v24, v10, vcc
	v_add_f32_e32 v10, 1.0, v10
	v_rcp_f32_e32 v27, v10
	v_lshlrev_b32_e32 v10, 16, v15
	v_med3_f32 v14, -s17, v10, s17
	v_and_b32_e32 v10, 0xffff0000, v15
	v_med3_f32 v15, -s17, v10, s17
	v_and_b32_e32 v10, 0xffff0000, v11
	v_lshlrev_b32_e32 v11, 16, v11
	v_pk_mul_f32 v[20:21], v[26:27], v[20:21]
	v_max_f32_e32 v11, v11, v11
	v_max_f32_e32 v10, v10, v10
	;;#ASMSTART
	v_pk_mul_f32 v[12:13], v[20:21], v[12:13]
	;;#ASMEND
	v_min_f32_e32 v20, v11, v22
	v_min_f32_e32 v10, v10, v23
	v_and_b32_e32 v11, 0xffff0000, v10
	v_and_b32_e32 v10, 0xffff0000, v20
	v_mul_f32_e32 v20, 0xbfb8aa3b, v10
	v_fma_f32 v21, v10, s16, -v20
	v_rndne_f32_e32 v26, v20
	v_fmac_f32_e32 v21, 0xb2a5705f, v10
	v_sub_f32_e32 v20, v20, v26
	v_add_f32_e32 v20, v20, v21
	v_exp_f32_e32 v20, v20
	v_cvt_i32_f32_e32 v21, v26
	v_cmp_nlt_f32_e32 vcc, s22, v10
	v_ldexp_f32 v20, v20, v21
	v_mul_f32_e32 v21, 0xbfb8aa3b, v11
	v_fma_f32 v26, v11, s16, -v21
	v_rndne_f32_e32 v27, v21
	v_fmac_f32_e32 v26, 0xb2a5705f, v11
	v_sub_f32_e32 v21, v21, v27
	v_add_f32_e32 v21, v21, v26
	v_exp_f32_e32 v21, v21
	v_cvt_i32_f32_e32 v26, v27
	v_cndmask_b32_e32 v20, 0, v20, vcc
	v_cmp_ngt_f32_e32 vcc, s23, v10
	v_ldexp_f32 v21, v21, v26
	s_nop 0
	v_cndmask_b32_e32 v20, v24, v20, vcc
	v_cmp_nlt_f32_e32 vcc, s22, v11
	v_add_f32_e32 v20, 1.0, v20
	v_rcp_f32_e32 v20, v20
	v_cndmask_b32_e32 v21, 0, v21, vcc
	v_cmp_ngt_f32_e32 vcc, s23, v11
	s_nop 1
	v_cndmask_b32_e32 v21, v24, v21, vcc
	v_add_f32_e32 v21, 1.0, v21
	v_rcp_f32_e32 v21, v21
	s_nop 0
	v_pk_mul_f32 v[10:11], v[20:21], v[10:11]
	s_nop 0
	;;#ASMSTART
	v_pk_mul_f32 v[10:11], v[10:11], v[14:15]
	;;#ASMEND
	s_waitcnt vmcnt(0)
	v_lshlrev_b32_e32 v14, 16, v4
	v_and_b32_e32 v4, 0xffff0000, v4
	v_med3_f32 v15, -s17, v4, s17
	v_and_b32_e32 v4, 0xffff0000, v0
	v_lshlrev_b32_e32 v0, 16, v0
	v_max_f32_e32 v0, v0, v0
	v_min_f32_e32 v0, v0, v22
	v_max_f32_e32 v4, v4, v4
	v_and_b32_e32 v20, 0xffff0000, v0
	v_min_f32_e32 v4, v4, v23
	v_mul_f32_e32 v0, 0xbfb8aa3b, v20
	v_and_b32_e32 v21, 0xffff0000, v4
	v_fma_f32 v4, v20, s16, -v0
	v_rndne_f32_e32 v26, v0
	v_fmac_f32_e32 v4, 0xb2a5705f, v20
	v_sub_f32_e32 v0, v0, v26
	v_add_f32_e32 v0, v0, v4
	v_exp_f32_e32 v0, v0
	v_cvt_i32_f32_e32 v4, v26
	v_cmp_nlt_f32_e32 vcc, s22, v20
	v_med3_f32 v14, -s17, v14, s17
	v_ldexp_f32 v0, v0, v4
	v_cndmask_b32_e32 v0, 0, v0, vcc
	v_cmp_ngt_f32_e32 vcc, s23, v20
	s_nop 1
	v_cndmask_b32_e32 v0, v24, v0, vcc
	v_add_f32_e32 v0, 1.0, v0
	v_rcp_f32_e32 v26, v0
	v_mul_f32_e32 v0, 0xbfb8aa3b, v21
	v_fma_f32 v4, v21, s16, -v0
	v_rndne_f32_e32 v27, v0
	v_fmac_f32_e32 v4, 0xb2a5705f, v21
	v_sub_f32_e32 v0, v0, v27
	v_add_f32_e32 v0, v0, v4
	v_exp_f32_e32 v0, v0
	v_cvt_i32_f32_e32 v4, v27
	v_cmp_nlt_f32_e32 vcc, s22, v21
	v_ldexp_f32 v0, v0, v4
	s_nop 0
	v_cndmask_b32_e32 v0, 0, v0, vcc
	v_cmp_ngt_f32_e32 vcc, s23, v21
	s_nop 1
	v_cndmask_b32_e32 v0, v24, v0, vcc
	v_add_f32_e32 v0, 1.0, v0
	v_rcp_f32_e32 v27, v0
	v_lshlrev_b32_e32 v0, 16, v5
	v_med3_f32 v4, -s17, v0, s17
	v_and_b32_e32 v0, 0xffff0000, v5
	v_med3_f32 v5, -s17, v0, s17
	v_and_b32_e32 v0, 0xffff0000, v1
	v_lshlrev_b32_e32 v1, 16, v1
	v_pk_mul_f32 v[20:21], v[26:27], v[20:21]
	v_max_f32_e32 v1, v1, v1
	v_max_f32_e32 v0, v0, v0
	;;#ASMSTART
	v_pk_mul_f32 v[14:15], v[20:21], v[14:15]
	;;#ASMEND
	v_min_f32_e32 v20, v1, v22
	v_min_f32_e32 v0, v0, v23
	v_and_b32_e32 v1, 0xffff0000, v0
	v_and_b32_e32 v0, 0xffff0000, v20
	v_mul_f32_e32 v20, 0xbfb8aa3b, v0
	v_fma_f32 v21, v0, s16, -v20
	v_rndne_f32_e32 v26, v20
	v_fmac_f32_e32 v21, 0xb2a5705f, v0
	v_sub_f32_e32 v20, v20, v26
	v_add_f32_e32 v20, v20, v21
	v_exp_f32_e32 v20, v20
	v_cvt_i32_f32_e32 v21, v26
	v_cmp_nlt_f32_e32 vcc, s22, v0
	v_ldexp_f32 v20, v20, v21
	v_mul_f32_e32 v21, 0xbfb8aa3b, v1
	v_fma_f32 v26, v1, s16, -v21
	v_rndne_f32_e32 v27, v21
	v_fmac_f32_e32 v26, 0xb2a5705f, v1
	v_sub_f32_e32 v21, v21, v27
	v_add_f32_e32 v21, v21, v26
	v_exp_f32_e32 v21, v21
	v_cvt_i32_f32_e32 v26, v27
	v_cndmask_b32_e32 v20, 0, v20, vcc
	v_cmp_ngt_f32_e32 vcc, s23, v0
	v_ldexp_f32 v21, v21, v26
	s_nop 0
	v_cndmask_b32_e32 v20, v24, v20, vcc
	v_cmp_nlt_f32_e32 vcc, s22, v1
	v_add_f32_e32 v20, 1.0, v20
	v_rcp_f32_e32 v20, v20
	v_cndmask_b32_e32 v21, 0, v21, vcc
	v_cmp_ngt_f32_e32 vcc, s23, v1
	s_nop 1
	v_cndmask_b32_e32 v21, v24, v21, vcc
	v_add_f32_e32 v21, 1.0, v21
	v_rcp_f32_e32 v21, v21
	s_nop 0
	v_pk_mul_f32 v[0:1], v[20:21], v[0:1]
	s_nop 0
	;;#ASMSTART
	v_pk_mul_f32 v[0:1], v[0:1], v[4:5]
	;;#ASMEND
	v_lshlrev_b32_e32 v4, 16, v6
	v_and_b32_e32 v5, 0xffff0000, v6
	v_and_b32_e32 v6, 0xffff0000, v2
	v_lshlrev_b32_e32 v2, 16, v2
	v_max_f32_e32 v2, v2, v2
	v_min_f32_e32 v2, v2, v22
	v_max_f32_e32 v6, v6, v6
	v_and_b32_e32 v20, 0xffff0000, v2
	v_min_f32_e32 v6, v6, v23
	v_mul_f32_e32 v2, 0xbfb8aa3b, v20
	v_and_b32_e32 v21, 0xffff0000, v6
	v_fma_f32 v6, v20, s16, -v2
	v_rndne_f32_e32 v26, v2
	v_fmac_f32_e32 v6, 0xb2a5705f, v20
	v_sub_f32_e32 v2, v2, v26
	v_add_f32_e32 v2, v2, v6
	v_exp_f32_e32 v2, v2
	v_cvt_i32_f32_e32 v6, v26
	v_cmp_nlt_f32_e32 vcc, s22, v20
	v_med3_f32 v4, -s17, v4, s17
	v_med3_f32 v5, -s17, v5, s17
	v_ldexp_f32 v2, v2, v6
	v_cndmask_b32_e32 v2, 0, v2, vcc
	v_cmp_ngt_f32_e32 vcc, s23, v20
	s_nop 1
	v_cndmask_b32_e32 v2, v24, v2, vcc
	v_add_f32_e32 v2, 1.0, v2
	v_rcp_f32_e32 v26, v2
	v_mul_f32_e32 v2, 0xbfb8aa3b, v21
	v_fma_f32 v6, v21, s16, -v2
	v_rndne_f32_e32 v27, v2
	v_fmac_f32_e32 v6, 0xb2a5705f, v21
	v_sub_f32_e32 v2, v2, v27
	v_add_f32_e32 v2, v2, v6
	v_exp_f32_e32 v2, v2
	v_cvt_i32_f32_e32 v6, v27
	v_cmp_nlt_f32_e32 vcc, s22, v21
	v_ldexp_f32 v2, v2, v6
	s_nop 0
	v_cndmask_b32_e32 v2, 0, v2, vcc
	v_cmp_ngt_f32_e32 vcc, s23, v21
	s_nop 1
	v_cndmask_b32_e32 v2, v24, v2, vcc
	v_add_f32_e32 v2, 1.0, v2
	v_rcp_f32_e32 v27, v2
	v_lshlrev_b32_e32 v2, 16, v7
	v_med3_f32 v6, -s17, v2, s17
	v_and_b32_e32 v2, 0xffff0000, v7
	v_med3_f32 v7, -s17, v2, s17
	v_and_b32_e32 v2, 0xffff0000, v3
	v_lshlrev_b32_e32 v3, 16, v3
	v_pk_mul_f32 v[20:21], v[26:27], v[20:21]
	v_max_f32_e32 v3, v3, v3
	v_max_f32_e32 v2, v2, v2
	;;#ASMSTART
	v_pk_mul_f32 v[4:5], v[20:21], v[4:5]
	;;#ASMEND
	v_min_f32_e32 v20, v3, v22
	v_min_f32_e32 v2, v2, v23
	v_and_b32_e32 v3, 0xffff0000, v2
	v_and_b32_e32 v2, 0xffff0000, v20
	v_mul_f32_e32 v20, 0xbfb8aa3b, v2
	v_fma_f32 v21, v2, s16, -v20
	v_rndne_f32_e32 v26, v20
	v_fmac_f32_e32 v21, 0xb2a5705f, v2
	v_sub_f32_e32 v20, v20, v26
	v_add_f32_e32 v20, v20, v21
	v_exp_f32_e32 v20, v20
	v_cvt_i32_f32_e32 v21, v26
	v_cmp_nlt_f32_e32 vcc, s22, v2
	v_perm_b32 v4, v5, v4, s24
	v_ldexp_f32 v20, v20, v21
	v_mul_f32_e32 v21, 0xbfb8aa3b, v3
	v_fma_f32 v26, v3, s16, -v21
	v_rndne_f32_e32 v27, v21
	v_fmac_f32_e32 v26, 0xb2a5705f, v3
	v_sub_f32_e32 v21, v21, v27
	v_add_f32_e32 v21, v21, v26
	v_exp_f32_e32 v21, v21
	v_cvt_i32_f32_e32 v26, v27
	v_cndmask_b32_e32 v20, 0, v20, vcc
	v_cmp_ngt_f32_e32 vcc, s23, v2
	v_ldexp_f32 v21, v21, v26
	s_nop 0
	v_cndmask_b32_e32 v20, v24, v20, vcc
	v_cmp_nlt_f32_e32 vcc, s22, v3
	v_add_f32_e32 v20, 1.0, v20
	v_rcp_f32_e32 v20, v20
	v_cndmask_b32_e32 v21, 0, v21, vcc
	v_cmp_ngt_f32_e32 vcc, s23, v3
	s_nop 1
	v_cndmask_b32_e32 v21, v24, v21, vcc
	v_add_f32_e32 v21, 1.0, v21
	v_rcp_f32_e32 v21, v21
	s_nop 0
	v_pk_mul_f32 v[2:3], v[20:21], v[2:3]
	s_nop 0
	;;#ASMSTART
	v_pk_mul_f32 v[20:21], v[2:3], v[6:7]
	;;#ASMEND
	s_load_dword s20, s[0:1], 0xc
	v_perm_b32 v6, v19, v18, s24
	v_perm_b32 v7, v9, v8, s24
	v_perm_b32 v8, v13, v12, s24
	v_perm_b32 v9, v11, v10, s24
	s_waitcnt lgkmcnt(0)
	s_and_b32 s20, s20, 0xffff
	s_lshl_b32 s20, s20, 4
	v_lshl_add_u64 v[16:17], s[20:21], 0, v[16:17]
	v_cmp_le_i64_e32 vcc, s[18:19], v[16:17]
	v_perm_b32 v2, v15, v14, s24
	v_perm_b32 v3, v1, v0, s24
	;; [unrolled: 1-line block ×3, first 2 shown]
	s_or_b64 s[2:3], vcc, s[2:3]
	buffer_store_dwordx4 v[6:9], v25, s[12:15], 0 offen
	buffer_store_dwordx4 v[2:5], v25, s[12:15], 16 offen
	s_andn2_b64 exec, exec, s[2:3]
	s_cbranch_execnz .LBB23_2
.LBB23_3:
	s_endpgm
	.section	.rodata,"a",@progbits
	.p2align	6, 0x0
	.amdhsa_kernel _ZN5aiter18act_and_mul_kernelIttTnPFfRKT_EXadL_ZNS_11silu_kernelItEEfS3_EELi16ELb1ELi3EEEvPT0_PS2_if
		.amdhsa_group_segment_fixed_size 0
		.amdhsa_private_segment_fixed_size 0
		.amdhsa_kernarg_size 280
		.amdhsa_user_sgpr_count 2
		.amdhsa_user_sgpr_dispatch_ptr 0
		.amdhsa_user_sgpr_queue_ptr 0
		.amdhsa_user_sgpr_kernarg_segment_ptr 1
		.amdhsa_user_sgpr_dispatch_id 0
		.amdhsa_user_sgpr_kernarg_preload_length 0
		.amdhsa_user_sgpr_kernarg_preload_offset 0
		.amdhsa_user_sgpr_private_segment_size 0
		.amdhsa_uses_dynamic_stack 0
		.amdhsa_enable_private_segment 0
		.amdhsa_system_sgpr_workgroup_id_x 1
		.amdhsa_system_sgpr_workgroup_id_y 0
		.amdhsa_system_sgpr_workgroup_id_z 0
		.amdhsa_system_sgpr_workgroup_info 0
		.amdhsa_system_vgpr_workitem_id 0
		.amdhsa_next_free_vgpr 28
		.amdhsa_next_free_sgpr 25
		.amdhsa_accum_offset 28
		.amdhsa_reserve_vcc 1
		.amdhsa_float_round_mode_32 0
		.amdhsa_float_round_mode_16_64 0
		.amdhsa_float_denorm_mode_32 3
		.amdhsa_float_denorm_mode_16_64 3
		.amdhsa_dx10_clamp 1
		.amdhsa_ieee_mode 1
		.amdhsa_fp16_overflow 0
		.amdhsa_tg_split 0
		.amdhsa_exception_fp_ieee_invalid_op 0
		.amdhsa_exception_fp_denorm_src 0
		.amdhsa_exception_fp_ieee_div_zero 0
		.amdhsa_exception_fp_ieee_overflow 0
		.amdhsa_exception_fp_ieee_underflow 0
		.amdhsa_exception_fp_ieee_inexact 0
		.amdhsa_exception_int_div_zero 0
	.end_amdhsa_kernel
	.section	.text._ZN5aiter18act_and_mul_kernelIttTnPFfRKT_EXadL_ZNS_11silu_kernelItEEfS3_EELi16ELb1ELi3EEEvPT0_PS2_if,"axG",@progbits,_ZN5aiter18act_and_mul_kernelIttTnPFfRKT_EXadL_ZNS_11silu_kernelItEEfS3_EELi16ELb1ELi3EEEvPT0_PS2_if,comdat
.Lfunc_end23:
	.size	_ZN5aiter18act_and_mul_kernelIttTnPFfRKT_EXadL_ZNS_11silu_kernelItEEfS3_EELi16ELb1ELi3EEEvPT0_PS2_if, .Lfunc_end23-_ZN5aiter18act_and_mul_kernelIttTnPFfRKT_EXadL_ZNS_11silu_kernelItEEfS3_EELi16ELb1ELi3EEEvPT0_PS2_if
                                        ; -- End function
	.section	.AMDGPU.csdata,"",@progbits
; Kernel info:
; codeLenInByte = 2456
; NumSgprs: 31
; NumVgprs: 28
; NumAgprs: 0
; TotalNumVgprs: 28
; ScratchSize: 0
; MemoryBound: 0
; FloatMode: 240
; IeeeMode: 1
; LDSByteSize: 0 bytes/workgroup (compile time only)
; SGPRBlocks: 3
; VGPRBlocks: 3
; NumSGPRsForWavesPerEU: 31
; NumVGPRsForWavesPerEU: 28
; AccumOffset: 28
; Occupancy: 8
; WaveLimiterHint : 0
; COMPUTE_PGM_RSRC2:SCRATCH_EN: 0
; COMPUTE_PGM_RSRC2:USER_SGPR: 2
; COMPUTE_PGM_RSRC2:TRAP_HANDLER: 0
; COMPUTE_PGM_RSRC2:TGID_X_EN: 1
; COMPUTE_PGM_RSRC2:TGID_Y_EN: 0
; COMPUTE_PGM_RSRC2:TGID_Z_EN: 0
; COMPUTE_PGM_RSRC2:TIDIG_COMP_CNT: 0
; COMPUTE_PGM_RSRC3_GFX90A:ACCUM_OFFSET: 6
; COMPUTE_PGM_RSRC3_GFX90A:TG_SPLIT: 0
	.section	.text._ZN5aiter18act_and_mul_kernelIttTnPFfRKT_EXadL_ZNS_11silu_kernelItEEfS3_EELi8ELb1ELi3EEEvPT0_PS2_if,"axG",@progbits,_ZN5aiter18act_and_mul_kernelIttTnPFfRKT_EXadL_ZNS_11silu_kernelItEEfS3_EELi8ELb1ELi3EEEvPT0_PS2_if,comdat
	.protected	_ZN5aiter18act_and_mul_kernelIttTnPFfRKT_EXadL_ZNS_11silu_kernelItEEfS3_EELi8ELb1ELi3EEEvPT0_PS2_if ; -- Begin function _ZN5aiter18act_and_mul_kernelIttTnPFfRKT_EXadL_ZNS_11silu_kernelItEEfS3_EELi8ELb1ELi3EEEvPT0_PS2_if
	.globl	_ZN5aiter18act_and_mul_kernelIttTnPFfRKT_EXadL_ZNS_11silu_kernelItEEfS3_EELi8ELb1ELi3EEEvPT0_PS2_if
	.p2align	8
	.type	_ZN5aiter18act_and_mul_kernelIttTnPFfRKT_EXadL_ZNS_11silu_kernelItEEfS3_EELi8ELb1ELi3EEEvPT0_PS2_if,@function
_ZN5aiter18act_and_mul_kernelIttTnPFfRKT_EXadL_ZNS_11silu_kernelItEEfS3_EELi8ELb1ELi3EEEvPT0_PS2_if: ; @_ZN5aiter18act_and_mul_kernelIttTnPFfRKT_EXadL_ZNS_11silu_kernelItEEfS3_EELi8ELb1ELi3EEEvPT0_PS2_if
; %bb.0:
	s_load_dwordx2 s[14:15], s[0:1], 0x10
	v_lshlrev_b32_e32 v8, 3, v0
	s_waitcnt lgkmcnt(0)
	v_cmp_gt_i32_e32 vcc, s14, v8
	s_and_saveexec_b64 s[4:5], vcc
	s_cbranch_execz .LBB24_3
; %bb.1:
	s_load_dwordx4 s[4:7], s[0:1], 0x0
	s_ashr_i32 s29, s14, 31
	s_mul_hi_u32 s3, s14, s2
	s_mul_i32 s8, s29, s2
	s_add_i32 s3, s3, s8
	s_mul_i32 s2, s14, s2
	s_lshl_b64 s[8:9], s[2:3], 1
	s_lshl_b64 s[2:3], s[2:3], 2
	s_mov_b32 s28, s14
	s_waitcnt lgkmcnt(0)
	s_add_u32 s16, s6, s2
	s_addc_u32 s6, s7, s3
	s_lshl_b64 s[2:3], s[28:29], 1
	s_add_u32 s20, s16, s2
	s_addc_u32 s2, s6, s3
	s_add_i32 s3, s14, 1
	s_lshr_b32 s7, s3, 31
	s_add_i32 s3, s3, s7
	s_lshl_b32 s3, s3, 1
	s_and_b32 s18, s3, -4
	s_and_b32 s17, s6, 0xffff
	s_and_b32 s21, s2, 0xffff
	s_add_u32 s24, s4, s8
	s_addc_u32 s2, s5, s9
	s_and_b32 s25, s2, 0xffff
	s_mov_b32 s19, 0x20000
	s_add_u32 s30, s0, 24
	s_mov_b32 s0, s15
	v_mov_b32_e32 v9, 0
	s_addc_u32 s31, s1, 0
	s_mov_b64 s[34:35], 0
	s_mov_b32 s37, 0
	v_max_f32_e64 v18, s0, s0
	v_max_f32_e64 v19, s15, s15
	s_mov_b32 s14, 0xbfb8aa3b
	s_mov_b32 s33, 0x42ce8ed0
	;; [unrolled: 1-line block ×3, first 2 shown]
	v_mov_b32_e32 v20, 0x7f800000
	s_mov_b32 s39, 0x7060302
	s_mov_b32 s22, s18
	;; [unrolled: 1-line block ×5, first 2 shown]
.LBB24_2:                               ; =>This Inner Loop Header: Depth=1
	v_lshlrev_b32_e32 v21, 1, v8
	buffer_load_dwordx4 v[4:7], v21, s[20:23], 0 offen sc0 nt
	buffer_load_dwordx4 v[0:3], v21, s[16:19], 0 offen sc0 nt
	s_waitcnt vmcnt(1)
	v_lshlrev_b32_e32 v10, 16, v4
	v_and_b32_e32 v4, 0xffff0000, v4
	s_waitcnt vmcnt(0)
	v_and_b32_e32 v11, 0xffff0000, v0
	v_lshlrev_b32_e32 v12, 16, v0
	v_lshlrev_b32_e32 v13, 16, v5
	v_and_b32_e32 v14, 0xffff0000, v1
	v_lshlrev_b32_e32 v15, 16, v1
	v_lshlrev_b32_e32 v16, 16, v6
	v_and_b32_e32 v17, 0xffff0000, v2
	v_lshlrev_b32_e32 v22, 16, v2
	v_and_b32_e32 v24, 0xffff0000, v3
	;; [unrolled: 2-line block ×3, first 2 shown]
	v_and_b32_e32 v6, 0xffff0000, v6
	v_lshlrev_b32_e32 v23, 16, v7
	v_med3_f32 v0, -s15, v10, s15
	v_med3_f32 v1, -s15, v4, s15
	v_max_f32_e32 v10, v12, v12
	v_max_f32_e32 v11, v11, v11
	v_med3_f32 v2, -s15, v13, s15
	v_max_f32_e32 v12, v15, v15
	v_max_f32_e32 v13, v14, v14
	;; [unrolled: 3-line block ×3, first 2 shown]
	v_max_f32_e32 v16, v25, v25
	v_max_f32_e32 v17, v24, v24
	v_med3_f32 v3, -s15, v5, s15
	v_med3_f32 v5, -s15, v6, s15
	;; [unrolled: 1-line block ×3, first 2 shown]
	v_min_f32_e32 v10, v10, v18
	v_min_f32_e32 v11, v11, v19
	;; [unrolled: 1-line block ×8, first 2 shown]
	v_and_b32_e32 v11, 0xffff0000, v11
	v_and_b32_e32 v10, 0xffff0000, v10
	;; [unrolled: 1-line block ×8, first 2 shown]
	v_mul_f32_e32 v22, 0xbfb8aa3b, v10
	v_mul_f32_e32 v23, 0xbfb8aa3b, v11
	v_mul_f32_e32 v24, 0xbfb8aa3b, v14
	v_mul_f32_e32 v25, 0xbfb8aa3b, v15
	v_mul_f32_e32 v26, 0xbfb8aa3b, v16
	v_mul_f32_e32 v27, 0xbfb8aa3b, v17
	v_mul_f32_e32 v28, 0xbfb8aa3b, v12
	v_mul_f32_e32 v29, 0xbfb8aa3b, v13
	v_fma_f32 v30, v10, s14, -v22
	v_rndne_f32_e32 v31, v22
	v_fma_f32 v32, v11, s14, -v23
	v_rndne_f32_e32 v33, v23
	;; [unrolled: 2-line block ×8, first 2 shown]
	v_fmac_f32_e32 v30, 0xb2a5705f, v10
	v_sub_f32_e32 v22, v22, v31
	v_fmac_f32_e32 v32, 0xb2a5705f, v11
	v_sub_f32_e32 v23, v23, v33
	;; [unrolled: 2-line block ×8, first 2 shown]
	v_add_f32_e32 v22, v22, v30
	v_add_f32_e32 v23, v23, v32
	;; [unrolled: 1-line block ×8, first 2 shown]
	v_cvt_i32_f32_e32 v31, v31
	v_cvt_i32_f32_e32 v33, v33
	;; [unrolled: 1-line block ×8, first 2 shown]
	v_exp_f32_e32 v22, v22
	v_exp_f32_e32 v23, v23
	;; [unrolled: 1-line block ×8, first 2 shown]
	v_ldexp_f32 v22, v22, v31
	v_ldexp_f32 v23, v23, v33
	v_cmp_nlt_f32_e32 vcc, s33, v11
	v_ldexp_f32 v24, v24, v35
	v_cmp_nlt_f32_e64 s[0:1], s33, v14
	v_ldexp_f32 v25, v25, v37
	v_cmp_nlt_f32_e64 s[2:3], s33, v15
	;; [unrolled: 2-line block ×6, first 2 shown]
	v_cmp_nlt_f32_e64 s[12:13], s33, v10
	v_cndmask_b32_e32 v23, 0, v23, vcc
	v_cmp_ngt_f32_e32 vcc, s38, v11
	v_cndmask_b32_e64 v22, 0, v22, s[12:13]
	v_cndmask_b32_e64 v24, 0, v24, s[0:1]
	v_cmp_ngt_f32_e64 s[0:1], s38, v14
	v_cndmask_b32_e64 v25, 0, v25, s[2:3]
	v_cmp_ngt_f32_e64 s[2:3], s38, v15
	;; [unrolled: 2-line block ×6, first 2 shown]
	v_cmp_ngt_f32_e64 s[12:13], s38, v10
	v_cndmask_b32_e32 v23, v20, v23, vcc
	v_cndmask_b32_e64 v24, v20, v24, s[0:1]
	v_cndmask_b32_e64 v22, v20, v22, s[12:13]
	;; [unrolled: 1-line block ×7, first 2 shown]
	v_add_f32_e32 v22, 1.0, v22
	v_add_f32_e32 v23, 1.0, v23
	;; [unrolled: 1-line block ×8, first 2 shown]
	v_rcp_f32_e32 v22, v22
	v_rcp_f32_e32 v23, v23
	;; [unrolled: 1-line block ×8, first 2 shown]
	v_and_b32_e32 v7, 0xffff0000, v7
	v_med3_f32 v7, -s15, v7, s15
	v_pk_mul_f32 v[10:11], v[22:23], v[10:11]
	v_pk_mul_f32 v[14:15], v[24:25], v[14:15]
	;; [unrolled: 1-line block ×4, first 2 shown]
	;;#ASMSTART
	v_pk_mul_f32 v[0:1], v[10:11], v[0:1]
	;;#ASMEND
	;;#ASMSTART
	v_pk_mul_f32 v[2:3], v[14:15], v[2:3]
	;;#ASMEND
	;; [unrolled: 3-line block ×3, first 2 shown]
	s_nop 0
	;;#ASMSTART
	v_pk_mul_f32 v[6:7], v[12:13], v[6:7]
	;;#ASMEND
	s_load_dword s0, s[30:31], 0xc
	v_perm_b32 v0, v1, v0, s39
	v_perm_b32 v1, v3, v2, s39
	;; [unrolled: 1-line block ×4, first 2 shown]
	s_waitcnt lgkmcnt(0)
	s_and_b32 s0, s0, 0xffff
	s_lshl_b32 s36, s0, 3
	v_lshl_add_u64 v[8:9], s[36:37], 0, v[8:9]
	v_cmp_le_i64_e32 vcc, s[28:29], v[8:9]
	s_or_b64 s[34:35], vcc, s[34:35]
	buffer_store_dwordx4 v[0:3], v21, s[24:27], 0 offen
	s_andn2_b64 exec, exec, s[34:35]
	s_cbranch_execnz .LBB24_2
.LBB24_3:
	s_endpgm
	.section	.rodata,"a",@progbits
	.p2align	6, 0x0
	.amdhsa_kernel _ZN5aiter18act_and_mul_kernelIttTnPFfRKT_EXadL_ZNS_11silu_kernelItEEfS3_EELi8ELb1ELi3EEEvPT0_PS2_if
		.amdhsa_group_segment_fixed_size 0
		.amdhsa_private_segment_fixed_size 0
		.amdhsa_kernarg_size 280
		.amdhsa_user_sgpr_count 2
		.amdhsa_user_sgpr_dispatch_ptr 0
		.amdhsa_user_sgpr_queue_ptr 0
		.amdhsa_user_sgpr_kernarg_segment_ptr 1
		.amdhsa_user_sgpr_dispatch_id 0
		.amdhsa_user_sgpr_kernarg_preload_length 0
		.amdhsa_user_sgpr_kernarg_preload_offset 0
		.amdhsa_user_sgpr_private_segment_size 0
		.amdhsa_uses_dynamic_stack 0
		.amdhsa_enable_private_segment 0
		.amdhsa_system_sgpr_workgroup_id_x 1
		.amdhsa_system_sgpr_workgroup_id_y 0
		.amdhsa_system_sgpr_workgroup_id_z 0
		.amdhsa_system_sgpr_workgroup_info 0
		.amdhsa_system_vgpr_workitem_id 0
		.amdhsa_next_free_vgpr 46
		.amdhsa_next_free_sgpr 40
		.amdhsa_accum_offset 48
		.amdhsa_reserve_vcc 1
		.amdhsa_float_round_mode_32 0
		.amdhsa_float_round_mode_16_64 0
		.amdhsa_float_denorm_mode_32 3
		.amdhsa_float_denorm_mode_16_64 3
		.amdhsa_dx10_clamp 1
		.amdhsa_ieee_mode 1
		.amdhsa_fp16_overflow 0
		.amdhsa_tg_split 0
		.amdhsa_exception_fp_ieee_invalid_op 0
		.amdhsa_exception_fp_denorm_src 0
		.amdhsa_exception_fp_ieee_div_zero 0
		.amdhsa_exception_fp_ieee_overflow 0
		.amdhsa_exception_fp_ieee_underflow 0
		.amdhsa_exception_fp_ieee_inexact 0
		.amdhsa_exception_int_div_zero 0
	.end_amdhsa_kernel
	.section	.text._ZN5aiter18act_and_mul_kernelIttTnPFfRKT_EXadL_ZNS_11silu_kernelItEEfS3_EELi8ELb1ELi3EEEvPT0_PS2_if,"axG",@progbits,_ZN5aiter18act_and_mul_kernelIttTnPFfRKT_EXadL_ZNS_11silu_kernelItEEfS3_EELi8ELb1ELi3EEEvPT0_PS2_if,comdat
.Lfunc_end24:
	.size	_ZN5aiter18act_and_mul_kernelIttTnPFfRKT_EXadL_ZNS_11silu_kernelItEEfS3_EELi8ELb1ELi3EEEvPT0_PS2_if, .Lfunc_end24-_ZN5aiter18act_and_mul_kernelIttTnPFfRKT_EXadL_ZNS_11silu_kernelItEEfS3_EELi8ELb1ELi3EEEvPT0_PS2_if
                                        ; -- End function
	.section	.AMDGPU.csdata,"",@progbits
; Kernel info:
; codeLenInByte = 1444
; NumSgprs: 46
; NumVgprs: 46
; NumAgprs: 0
; TotalNumVgprs: 46
; ScratchSize: 0
; MemoryBound: 0
; FloatMode: 240
; IeeeMode: 1
; LDSByteSize: 0 bytes/workgroup (compile time only)
; SGPRBlocks: 5
; VGPRBlocks: 5
; NumSGPRsForWavesPerEU: 46
; NumVGPRsForWavesPerEU: 46
; AccumOffset: 48
; Occupancy: 8
; WaveLimiterHint : 0
; COMPUTE_PGM_RSRC2:SCRATCH_EN: 0
; COMPUTE_PGM_RSRC2:USER_SGPR: 2
; COMPUTE_PGM_RSRC2:TRAP_HANDLER: 0
; COMPUTE_PGM_RSRC2:TGID_X_EN: 1
; COMPUTE_PGM_RSRC2:TGID_Y_EN: 0
; COMPUTE_PGM_RSRC2:TGID_Z_EN: 0
; COMPUTE_PGM_RSRC2:TIDIG_COMP_CNT: 0
; COMPUTE_PGM_RSRC3_GFX90A:ACCUM_OFFSET: 11
; COMPUTE_PGM_RSRC3_GFX90A:TG_SPLIT: 0
	.section	.text._ZN5aiter18act_and_mul_kernelIttTnPFfRKT_EXadL_ZNS_11silu_kernelItEEfS3_EELi4ELb1ELi3EEEvPT0_PS2_if,"axG",@progbits,_ZN5aiter18act_and_mul_kernelIttTnPFfRKT_EXadL_ZNS_11silu_kernelItEEfS3_EELi4ELb1ELi3EEEvPT0_PS2_if,comdat
	.protected	_ZN5aiter18act_and_mul_kernelIttTnPFfRKT_EXadL_ZNS_11silu_kernelItEEfS3_EELi4ELb1ELi3EEEvPT0_PS2_if ; -- Begin function _ZN5aiter18act_and_mul_kernelIttTnPFfRKT_EXadL_ZNS_11silu_kernelItEEfS3_EELi4ELb1ELi3EEEvPT0_PS2_if
	.globl	_ZN5aiter18act_and_mul_kernelIttTnPFfRKT_EXadL_ZNS_11silu_kernelItEEfS3_EELi4ELb1ELi3EEEvPT0_PS2_if
	.p2align	8
	.type	_ZN5aiter18act_and_mul_kernelIttTnPFfRKT_EXadL_ZNS_11silu_kernelItEEfS3_EELi4ELb1ELi3EEEvPT0_PS2_if,@function
_ZN5aiter18act_and_mul_kernelIttTnPFfRKT_EXadL_ZNS_11silu_kernelItEEfS3_EELi4ELb1ELi3EEEvPT0_PS2_if: ; @_ZN5aiter18act_and_mul_kernelIttTnPFfRKT_EXadL_ZNS_11silu_kernelItEEfS3_EELi4ELb1ELi3EEEvPT0_PS2_if
; %bb.0:
	s_load_dwordx2 s[6:7], s[0:1], 0x10
	v_lshlrev_b32_e32 v0, 2, v0
	s_waitcnt lgkmcnt(0)
	v_cmp_gt_i32_e32 vcc, s6, v0
	s_and_saveexec_b64 s[4:5], vcc
	s_cbranch_execz .LBB25_3
; %bb.1:
	s_load_dwordx4 s[16:19], s[0:1], 0x0
	s_ashr_i32 s21, s6, 31
	s_mul_hi_u32 s3, s6, s2
	s_mul_i32 s4, s21, s2
	s_add_i32 s3, s3, s4
	s_mul_i32 s2, s6, s2
	s_lshl_b64 s[4:5], s[2:3], 1
	s_lshl_b64 s[2:3], s[2:3], 2
	s_mov_b32 s20, s6
	s_waitcnt lgkmcnt(0)
	s_add_u32 s8, s18, s2
	s_addc_u32 s9, s19, s3
	s_lshl_b64 s[2:3], s[20:21], 1
	s_add_u32 s12, s8, s2
	s_addc_u32 s2, s9, s3
	s_add_i32 s3, s6, 1
	s_lshr_b32 s6, s3, 31
	s_add_i32 s3, s3, s6
	s_lshl_b32 s3, s3, 1
	s_and_b32 s10, s3, -4
	s_and_b32 s9, s9, 0xffff
	s_and_b32 s13, s2, 0xffff
	s_add_u32 s16, s16, s4
	s_addc_u32 s2, s17, s5
	s_and_b32 s17, s2, 0xffff
	s_mov_b32 s11, 0x20000
	s_add_u32 s22, s0, 24
	s_mov_b32 s0, s7
	v_mov_b32_e32 v1, 0
	s_addc_u32 s23, s1, 0
	s_mov_b64 s[24:25], 0
	s_mov_b32 s27, 0
	v_max_f32_e64 v2, s0, s0
	v_max_f32_e64 v3, s7, s7
	s_mov_b32 s6, 0xbfb8aa3b
	s_mov_b32 s28, 0x42ce8ed0
	;; [unrolled: 1-line block ×3, first 2 shown]
	v_mov_b32_e32 v4, 0x7f800000
	s_mov_b32 s30, 0x7060302
	s_mov_b32 s14, s10
	;; [unrolled: 1-line block ×5, first 2 shown]
.LBB25_2:                               ; =>This Inner Loop Header: Depth=1
	v_lshlrev_b32_e32 v5, 1, v0
	buffer_load_dwordx2 v[6:7], v5, s[8:11], 0 offen sc0 nt
	buffer_load_dwordx2 v[8:9], v5, s[12:15], 0 offen sc0 nt
	s_waitcnt vmcnt(1)
	v_and_b32_e32 v11, 0xffff0000, v6
	s_waitcnt vmcnt(0)
	v_lshlrev_b32_e32 v10, 16, v8
	v_and_b32_e32 v8, 0xffff0000, v8
	v_lshlrev_b32_e32 v12, 16, v6
	v_lshlrev_b32_e32 v13, 16, v9
	v_and_b32_e32 v14, 0xffff0000, v7
	v_lshlrev_b32_e32 v15, 16, v7
	v_med3_f32 v6, -s7, v10, s7
	v_med3_f32 v7, -s7, v8, s7
	v_max_f32_e32 v10, v12, v12
	v_max_f32_e32 v11, v11, v11
	v_med3_f32 v8, -s7, v13, s7
	v_max_f32_e32 v12, v15, v15
	v_max_f32_e32 v13, v14, v14
	v_min_f32_e32 v10, v10, v2
	v_min_f32_e32 v11, v11, v3
	;; [unrolled: 1-line block ×4, first 2 shown]
	v_and_b32_e32 v11, 0xffff0000, v11
	v_and_b32_e32 v10, 0xffff0000, v10
	;; [unrolled: 1-line block ×4, first 2 shown]
	v_mul_f32_e32 v14, 0xbfb8aa3b, v10
	v_mul_f32_e32 v15, 0xbfb8aa3b, v11
	;; [unrolled: 1-line block ×4, first 2 shown]
	v_fma_f32 v18, v10, s6, -v14
	v_rndne_f32_e32 v19, v14
	v_fma_f32 v20, v11, s6, -v15
	v_rndne_f32_e32 v21, v15
	;; [unrolled: 2-line block ×4, first 2 shown]
	v_fmac_f32_e32 v18, 0xb2a5705f, v10
	v_sub_f32_e32 v14, v14, v19
	v_fmac_f32_e32 v20, 0xb2a5705f, v11
	v_sub_f32_e32 v15, v15, v21
	;; [unrolled: 2-line block ×4, first 2 shown]
	v_add_f32_e32 v14, v14, v18
	v_add_f32_e32 v15, v15, v20
	;; [unrolled: 1-line block ×4, first 2 shown]
	v_cvt_i32_f32_e32 v19, v19
	v_cvt_i32_f32_e32 v21, v21
	;; [unrolled: 1-line block ×4, first 2 shown]
	v_exp_f32_e32 v14, v14
	v_exp_f32_e32 v15, v15
	;; [unrolled: 1-line block ×4, first 2 shown]
	v_ldexp_f32 v14, v14, v19
	v_ldexp_f32 v15, v15, v21
	v_cmp_nlt_f32_e32 vcc, s28, v11
	v_ldexp_f32 v16, v16, v23
	v_cmp_nlt_f32_e64 s[0:1], s28, v12
	v_ldexp_f32 v17, v17, v25
	v_cmp_nlt_f32_e64 s[2:3], s28, v13
	v_cmp_nlt_f32_e64 s[4:5], s28, v10
	v_cndmask_b32_e32 v15, 0, v15, vcc
	v_cmp_ngt_f32_e32 vcc, s29, v11
	v_cndmask_b32_e64 v14, 0, v14, s[4:5]
	v_cndmask_b32_e64 v16, 0, v16, s[0:1]
	v_cmp_ngt_f32_e64 s[0:1], s29, v12
	v_cndmask_b32_e64 v17, 0, v17, s[2:3]
	v_cmp_ngt_f32_e64 s[2:3], s29, v13
	v_cmp_ngt_f32_e64 s[4:5], s29, v10
	v_cndmask_b32_e32 v15, v4, v15, vcc
	v_cndmask_b32_e64 v16, v4, v16, s[0:1]
	v_cndmask_b32_e64 v14, v4, v14, s[4:5]
	;; [unrolled: 1-line block ×3, first 2 shown]
	v_add_f32_e32 v14, 1.0, v14
	v_add_f32_e32 v15, 1.0, v15
	;; [unrolled: 1-line block ×4, first 2 shown]
	v_rcp_f32_e32 v14, v14
	v_rcp_f32_e32 v15, v15
	;; [unrolled: 1-line block ×4, first 2 shown]
	v_and_b32_e32 v9, 0xffff0000, v9
	v_med3_f32 v9, -s7, v9, s7
	v_pk_mul_f32 v[10:11], v[14:15], v[10:11]
	v_pk_mul_f32 v[12:13], v[16:17], v[12:13]
	;;#ASMSTART
	v_pk_mul_f32 v[6:7], v[10:11], v[6:7]
	;;#ASMEND
	s_nop 0
	;;#ASMSTART
	v_pk_mul_f32 v[8:9], v[12:13], v[8:9]
	;;#ASMEND
	s_load_dword s0, s[22:23], 0xc
	v_perm_b32 v6, v7, v6, s30
	v_perm_b32 v7, v9, v8, s30
	buffer_store_dwordx2 v[6:7], v5, s[16:19], 0 offen
	s_waitcnt lgkmcnt(0)
	s_and_b32 s0, s0, 0xffff
	s_lshl_b32 s26, s0, 2
	v_lshl_add_u64 v[0:1], s[26:27], 0, v[0:1]
	v_cmp_le_i64_e32 vcc, s[20:21], v[0:1]
	s_or_b64 s[24:25], vcc, s[24:25]
	s_andn2_b64 exec, exec, s[24:25]
	s_cbranch_execnz .LBB25_2
.LBB25_3:
	s_endpgm
	.section	.rodata,"a",@progbits
	.p2align	6, 0x0
	.amdhsa_kernel _ZN5aiter18act_and_mul_kernelIttTnPFfRKT_EXadL_ZNS_11silu_kernelItEEfS3_EELi4ELb1ELi3EEEvPT0_PS2_if
		.amdhsa_group_segment_fixed_size 0
		.amdhsa_private_segment_fixed_size 0
		.amdhsa_kernarg_size 280
		.amdhsa_user_sgpr_count 2
		.amdhsa_user_sgpr_dispatch_ptr 0
		.amdhsa_user_sgpr_queue_ptr 0
		.amdhsa_user_sgpr_kernarg_segment_ptr 1
		.amdhsa_user_sgpr_dispatch_id 0
		.amdhsa_user_sgpr_kernarg_preload_length 0
		.amdhsa_user_sgpr_kernarg_preload_offset 0
		.amdhsa_user_sgpr_private_segment_size 0
		.amdhsa_uses_dynamic_stack 0
		.amdhsa_enable_private_segment 0
		.amdhsa_system_sgpr_workgroup_id_x 1
		.amdhsa_system_sgpr_workgroup_id_y 0
		.amdhsa_system_sgpr_workgroup_id_z 0
		.amdhsa_system_sgpr_workgroup_info 0
		.amdhsa_system_vgpr_workitem_id 0
		.amdhsa_next_free_vgpr 26
		.amdhsa_next_free_sgpr 31
		.amdhsa_accum_offset 28
		.amdhsa_reserve_vcc 1
		.amdhsa_float_round_mode_32 0
		.amdhsa_float_round_mode_16_64 0
		.amdhsa_float_denorm_mode_32 3
		.amdhsa_float_denorm_mode_16_64 3
		.amdhsa_dx10_clamp 1
		.amdhsa_ieee_mode 1
		.amdhsa_fp16_overflow 0
		.amdhsa_tg_split 0
		.amdhsa_exception_fp_ieee_invalid_op 0
		.amdhsa_exception_fp_denorm_src 0
		.amdhsa_exception_fp_ieee_div_zero 0
		.amdhsa_exception_fp_ieee_overflow 0
		.amdhsa_exception_fp_ieee_underflow 0
		.amdhsa_exception_fp_ieee_inexact 0
		.amdhsa_exception_int_div_zero 0
	.end_amdhsa_kernel
	.section	.text._ZN5aiter18act_and_mul_kernelIttTnPFfRKT_EXadL_ZNS_11silu_kernelItEEfS3_EELi4ELb1ELi3EEEvPT0_PS2_if,"axG",@progbits,_ZN5aiter18act_and_mul_kernelIttTnPFfRKT_EXadL_ZNS_11silu_kernelItEEfS3_EELi4ELb1ELi3EEEvPT0_PS2_if,comdat
.Lfunc_end25:
	.size	_ZN5aiter18act_and_mul_kernelIttTnPFfRKT_EXadL_ZNS_11silu_kernelItEEfS3_EELi4ELb1ELi3EEEvPT0_PS2_if, .Lfunc_end25-_ZN5aiter18act_and_mul_kernelIttTnPFfRKT_EXadL_ZNS_11silu_kernelItEEfS3_EELi4ELb1ELi3EEEvPT0_PS2_if
                                        ; -- End function
	.section	.AMDGPU.csdata,"",@progbits
; Kernel info:
; codeLenInByte = 884
; NumSgprs: 37
; NumVgprs: 26
; NumAgprs: 0
; TotalNumVgprs: 26
; ScratchSize: 0
; MemoryBound: 0
; FloatMode: 240
; IeeeMode: 1
; LDSByteSize: 0 bytes/workgroup (compile time only)
; SGPRBlocks: 4
; VGPRBlocks: 3
; NumSGPRsForWavesPerEU: 37
; NumVGPRsForWavesPerEU: 26
; AccumOffset: 28
; Occupancy: 8
; WaveLimiterHint : 0
; COMPUTE_PGM_RSRC2:SCRATCH_EN: 0
; COMPUTE_PGM_RSRC2:USER_SGPR: 2
; COMPUTE_PGM_RSRC2:TRAP_HANDLER: 0
; COMPUTE_PGM_RSRC2:TGID_X_EN: 1
; COMPUTE_PGM_RSRC2:TGID_Y_EN: 0
; COMPUTE_PGM_RSRC2:TGID_Z_EN: 0
; COMPUTE_PGM_RSRC2:TIDIG_COMP_CNT: 0
; COMPUTE_PGM_RSRC3_GFX90A:ACCUM_OFFSET: 6
; COMPUTE_PGM_RSRC3_GFX90A:TG_SPLIT: 0
	.section	.text._ZN5aiter18act_and_mul_kernelIttTnPFfRKT_EXadL_ZNS_11silu_kernelItEEfS3_EELi2ELb1ELi3EEEvPT0_PS2_if,"axG",@progbits,_ZN5aiter18act_and_mul_kernelIttTnPFfRKT_EXadL_ZNS_11silu_kernelItEEfS3_EELi2ELb1ELi3EEEvPT0_PS2_if,comdat
	.protected	_ZN5aiter18act_and_mul_kernelIttTnPFfRKT_EXadL_ZNS_11silu_kernelItEEfS3_EELi2ELb1ELi3EEEvPT0_PS2_if ; -- Begin function _ZN5aiter18act_and_mul_kernelIttTnPFfRKT_EXadL_ZNS_11silu_kernelItEEfS3_EELi2ELb1ELi3EEEvPT0_PS2_if
	.globl	_ZN5aiter18act_and_mul_kernelIttTnPFfRKT_EXadL_ZNS_11silu_kernelItEEfS3_EELi2ELb1ELi3EEEvPT0_PS2_if
	.p2align	8
	.type	_ZN5aiter18act_and_mul_kernelIttTnPFfRKT_EXadL_ZNS_11silu_kernelItEEfS3_EELi2ELb1ELi3EEEvPT0_PS2_if,@function
_ZN5aiter18act_and_mul_kernelIttTnPFfRKT_EXadL_ZNS_11silu_kernelItEEfS3_EELi2ELb1ELi3EEEvPT0_PS2_if: ; @_ZN5aiter18act_and_mul_kernelIttTnPFfRKT_EXadL_ZNS_11silu_kernelItEEfS3_EELi2ELb1ELi3EEEvPT0_PS2_if
; %bb.0:
	s_load_dwordx2 s[16:17], s[0:1], 0x10
	v_lshlrev_b32_e32 v0, 1, v0
	s_waitcnt lgkmcnt(0)
	v_cmp_gt_i32_e32 vcc, s16, v0
	s_and_saveexec_b64 s[4:5], vcc
	s_cbranch_execz .LBB26_3
; %bb.1:
	s_load_dwordx4 s[12:15], s[0:1], 0x0
	s_ashr_i32 s19, s16, 31
	s_mul_hi_u32 s3, s16, s2
	s_mul_i32 s4, s19, s2
	s_add_i32 s3, s3, s4
	s_mul_i32 s2, s16, s2
	s_lshl_b64 s[10:11], s[2:3], 1
	s_lshl_b64 s[2:3], s[2:3], 2
	s_mov_b32 s18, s16
	s_waitcnt lgkmcnt(0)
	s_add_u32 s4, s14, s2
	s_addc_u32 s5, s15, s3
	s_lshl_b64 s[2:3], s[18:19], 1
	s_add_u32 s8, s4, s2
	s_addc_u32 s2, s5, s3
	s_add_i32 s3, s16, 1
	s_lshr_b32 s6, s3, 31
	s_add_i32 s3, s3, s6
	s_lshl_b32 s3, s3, 1
	s_and_b32 s6, s3, -4
	s_and_b32 s5, s5, 0xffff
	s_and_b32 s9, s2, 0xffff
	s_add_u32 s12, s12, s10
	s_addc_u32 s2, s13, s11
	s_and_b32 s13, s2, 0xffff
	s_mov_b32 s7, 0x20000
	s_add_u32 s2, s0, 24
	s_mov_b32 s0, s17
	v_mov_b32_e32 v1, 0
	s_addc_u32 s3, s1, 0
	s_mov_b64 s[20:21], 0
	s_mov_b32 s23, 0
	v_max_f32_e64 v2, s0, s0
	v_max_f32_e64 v3, s17, s17
	s_mov_b32 s16, 0xbfb8aa3b
	s_mov_b32 s24, 0x42ce8ed0
	s_mov_b32 s25, 0xc2b17218
	v_mov_b32_e32 v4, 0x7f800000
	s_mov_b32 s26, 0x7060302
	s_mov_b32 s10, s6
	;; [unrolled: 1-line block ×5, first 2 shown]
.LBB26_2:                               ; =>This Inner Loop Header: Depth=1
	v_lshlrev_b32_e32 v5, 1, v0
	buffer_load_dword v6, v5, s[4:7], 0 offen sc0 nt
	buffer_load_dword v7, v5, s[8:11], 0 offen sc0 nt
	s_waitcnt vmcnt(1)
	v_and_b32_e32 v8, 0xffff0000, v6
	v_lshlrev_b32_e32 v6, 16, v6
	s_waitcnt vmcnt(0)
	v_and_b32_e32 v10, 0xffff0000, v7
	v_lshlrev_b32_e32 v12, 16, v7
	v_max_f32_e32 v6, v6, v6
	v_max_f32_e32 v7, v8, v8
	v_min_f32_e32 v6, v6, v2
	v_min_f32_e32 v7, v7, v3
	v_and_b32_e32 v7, 0xffff0000, v7
	v_and_b32_e32 v6, 0xffff0000, v6
	v_mul_f32_e32 v8, 0xbfb8aa3b, v7
	v_mul_f32_e32 v9, 0xbfb8aa3b, v6
	v_fma_f32 v11, v7, s16, -v8
	v_rndne_f32_e32 v13, v8
	v_fma_f32 v14, v6, s16, -v9
	v_rndne_f32_e32 v15, v9
	v_fmac_f32_e32 v11, 0xb2a5705f, v7
	v_sub_f32_e32 v8, v8, v13
	v_fmac_f32_e32 v14, 0xb2a5705f, v6
	v_sub_f32_e32 v9, v9, v15
	v_add_f32_e32 v8, v8, v11
	v_add_f32_e32 v9, v9, v14
	v_cvt_i32_f32_e32 v13, v13
	v_cvt_i32_f32_e32 v15, v15
	v_exp_f32_e32 v8, v8
	v_exp_f32_e32 v9, v9
	v_cmp_nlt_f32_e32 vcc, s24, v6
	v_cmp_nlt_f32_e64 s[0:1], s24, v7
	v_ldexp_f32 v8, v8, v13
	v_ldexp_f32 v9, v9, v15
	v_cndmask_b32_e64 v8, 0, v8, s[0:1]
	v_cndmask_b32_e32 v9, 0, v9, vcc
	v_cmp_ngt_f32_e32 vcc, s25, v6
	v_cmp_ngt_f32_e64 s[0:1], s25, v7
	s_nop 0
	v_cndmask_b32_e32 v9, v4, v9, vcc
	v_cndmask_b32_e64 v8, v4, v8, s[0:1]
	v_add_f32_e32 v8, 1.0, v8
	v_add_f32_e32 v11, 1.0, v9
	v_rcp_f32_e32 v9, v8
	v_rcp_f32_e32 v8, v11
	v_med3_f32 v11, -s17, v10, s17
	v_med3_f32 v10, -s17, v12, s17
	v_pk_mul_f32 v[6:7], v[8:9], v[6:7]
	s_nop 0
	;;#ASMSTART
	v_pk_mul_f32 v[6:7], v[6:7], v[10:11]
	;;#ASMEND
	s_load_dword s0, s[2:3], 0xc
	v_perm_b32 v6, v7, v6, s26
	buffer_store_dword v6, v5, s[12:15], 0 offen
	s_waitcnt lgkmcnt(0)
	s_and_b32 s0, s0, 0xffff
	s_lshl_b32 s22, s0, 1
	v_lshl_add_u64 v[0:1], s[22:23], 0, v[0:1]
	v_cmp_le_i64_e32 vcc, s[18:19], v[0:1]
	s_or_b64 s[20:21], vcc, s[20:21]
	s_andn2_b64 exec, exec, s[20:21]
	s_cbranch_execnz .LBB26_2
.LBB26_3:
	s_endpgm
	.section	.rodata,"a",@progbits
	.p2align	6, 0x0
	.amdhsa_kernel _ZN5aiter18act_and_mul_kernelIttTnPFfRKT_EXadL_ZNS_11silu_kernelItEEfS3_EELi2ELb1ELi3EEEvPT0_PS2_if
		.amdhsa_group_segment_fixed_size 0
		.amdhsa_private_segment_fixed_size 0
		.amdhsa_kernarg_size 280
		.amdhsa_user_sgpr_count 2
		.amdhsa_user_sgpr_dispatch_ptr 0
		.amdhsa_user_sgpr_queue_ptr 0
		.amdhsa_user_sgpr_kernarg_segment_ptr 1
		.amdhsa_user_sgpr_dispatch_id 0
		.amdhsa_user_sgpr_kernarg_preload_length 0
		.amdhsa_user_sgpr_kernarg_preload_offset 0
		.amdhsa_user_sgpr_private_segment_size 0
		.amdhsa_uses_dynamic_stack 0
		.amdhsa_enable_private_segment 0
		.amdhsa_system_sgpr_workgroup_id_x 1
		.amdhsa_system_sgpr_workgroup_id_y 0
		.amdhsa_system_sgpr_workgroup_id_z 0
		.amdhsa_system_sgpr_workgroup_info 0
		.amdhsa_system_vgpr_workitem_id 0
		.amdhsa_next_free_vgpr 16
		.amdhsa_next_free_sgpr 27
		.amdhsa_accum_offset 16
		.amdhsa_reserve_vcc 1
		.amdhsa_float_round_mode_32 0
		.amdhsa_float_round_mode_16_64 0
		.amdhsa_float_denorm_mode_32 3
		.amdhsa_float_denorm_mode_16_64 3
		.amdhsa_dx10_clamp 1
		.amdhsa_ieee_mode 1
		.amdhsa_fp16_overflow 0
		.amdhsa_tg_split 0
		.amdhsa_exception_fp_ieee_invalid_op 0
		.amdhsa_exception_fp_denorm_src 0
		.amdhsa_exception_fp_ieee_div_zero 0
		.amdhsa_exception_fp_ieee_overflow 0
		.amdhsa_exception_fp_ieee_underflow 0
		.amdhsa_exception_fp_ieee_inexact 0
		.amdhsa_exception_int_div_zero 0
	.end_amdhsa_kernel
	.section	.text._ZN5aiter18act_and_mul_kernelIttTnPFfRKT_EXadL_ZNS_11silu_kernelItEEfS3_EELi2ELb1ELi3EEEvPT0_PS2_if,"axG",@progbits,_ZN5aiter18act_and_mul_kernelIttTnPFfRKT_EXadL_ZNS_11silu_kernelItEEfS3_EELi2ELb1ELi3EEEvPT0_PS2_if,comdat
.Lfunc_end26:
	.size	_ZN5aiter18act_and_mul_kernelIttTnPFfRKT_EXadL_ZNS_11silu_kernelItEEfS3_EELi2ELb1ELi3EEEvPT0_PS2_if, .Lfunc_end26-_ZN5aiter18act_and_mul_kernelIttTnPFfRKT_EXadL_ZNS_11silu_kernelItEEfS3_EELi2ELb1ELi3EEEvPT0_PS2_if
                                        ; -- End function
	.section	.AMDGPU.csdata,"",@progbits
; Kernel info:
; codeLenInByte = 608
; NumSgprs: 33
; NumVgprs: 16
; NumAgprs: 0
; TotalNumVgprs: 16
; ScratchSize: 0
; MemoryBound: 0
; FloatMode: 240
; IeeeMode: 1
; LDSByteSize: 0 bytes/workgroup (compile time only)
; SGPRBlocks: 4
; VGPRBlocks: 1
; NumSGPRsForWavesPerEU: 33
; NumVGPRsForWavesPerEU: 16
; AccumOffset: 16
; Occupancy: 8
; WaveLimiterHint : 0
; COMPUTE_PGM_RSRC2:SCRATCH_EN: 0
; COMPUTE_PGM_RSRC2:USER_SGPR: 2
; COMPUTE_PGM_RSRC2:TRAP_HANDLER: 0
; COMPUTE_PGM_RSRC2:TGID_X_EN: 1
; COMPUTE_PGM_RSRC2:TGID_Y_EN: 0
; COMPUTE_PGM_RSRC2:TGID_Z_EN: 0
; COMPUTE_PGM_RSRC2:TIDIG_COMP_CNT: 0
; COMPUTE_PGM_RSRC3_GFX90A:ACCUM_OFFSET: 3
; COMPUTE_PGM_RSRC3_GFX90A:TG_SPLIT: 0
	.section	.text._ZN5aiter18act_and_mul_kernelIttTnPFfRKT_EXadL_ZNS_11silu_kernelItEEfS3_EELi1ELb1ELi3EEEvPT0_PS2_if,"axG",@progbits,_ZN5aiter18act_and_mul_kernelIttTnPFfRKT_EXadL_ZNS_11silu_kernelItEEfS3_EELi1ELb1ELi3EEEvPT0_PS2_if,comdat
	.protected	_ZN5aiter18act_and_mul_kernelIttTnPFfRKT_EXadL_ZNS_11silu_kernelItEEfS3_EELi1ELb1ELi3EEEvPT0_PS2_if ; -- Begin function _ZN5aiter18act_and_mul_kernelIttTnPFfRKT_EXadL_ZNS_11silu_kernelItEEfS3_EELi1ELb1ELi3EEEvPT0_PS2_if
	.globl	_ZN5aiter18act_and_mul_kernelIttTnPFfRKT_EXadL_ZNS_11silu_kernelItEEfS3_EELi1ELb1ELi3EEEvPT0_PS2_if
	.p2align	8
	.type	_ZN5aiter18act_and_mul_kernelIttTnPFfRKT_EXadL_ZNS_11silu_kernelItEEfS3_EELi1ELb1ELi3EEEvPT0_PS2_if,@function
_ZN5aiter18act_and_mul_kernelIttTnPFfRKT_EXadL_ZNS_11silu_kernelItEEfS3_EELi1ELb1ELi3EEEvPT0_PS2_if: ; @_ZN5aiter18act_and_mul_kernelIttTnPFfRKT_EXadL_ZNS_11silu_kernelItEEfS3_EELi1ELb1ELi3EEEvPT0_PS2_if
; %bb.0:
	s_load_dwordx2 s[16:17], s[0:1], 0x10
	s_waitcnt lgkmcnt(0)
	v_cmp_gt_i32_e32 vcc, s16, v0
	s_and_saveexec_b64 s[4:5], vcc
	s_cbranch_execz .LBB27_3
; %bb.1:
	s_load_dwordx4 s[12:15], s[0:1], 0x0
	s_load_dword s18, s[0:1], 0x24
	s_mov_b32 s20, s17
	s_ashr_i32 s17, s16, 31
	s_mul_hi_u32 s3, s16, s2
	s_mul_i32 s4, s17, s2
	s_add_i32 s3, s3, s4
	s_mul_i32 s2, s16, s2
	s_lshl_b64 s[10:11], s[2:3], 1
	s_lshl_b64 s[2:3], s[2:3], 2
	s_waitcnt lgkmcnt(0)
	s_add_u32 s4, s14, s2
	s_addc_u32 s2, s15, s3
	s_lshl_b64 s[0:1], s[16:17], 1
	s_add_u32 s8, s4, s0
	s_addc_u32 s0, s2, s1
	s_add_i32 s1, s16, 1
	s_lshr_b32 s3, s1, 31
	s_add_i32 s1, s1, s3
	s_lshl_b32 s1, s1, 1
	s_and_b32 s6, s1, -4
	s_and_b32 s5, s2, 0xffff
	s_and_b32 s9, s0, 0xffff
	s_add_u32 s12, s12, s10
	s_mov_b32 s7, 0x20000
	s_addc_u32 s0, s13, s11
	s_and_b32 s2, s18, 0xffff
	s_and_b32 s13, s0, 0xffff
	s_mov_b32 s3, 0
	v_mov_b32_e32 v1, 0
	v_lshlrev_b32_e32 v2, 1, v0
	s_lshl_b32 s21, s2, 1
	s_mov_b64 s[18:19], 0
	s_mov_b32 s10, s6
	s_mov_b32 s11, s7
	v_max_f32_e64 v3, s20, s20
	s_mov_b32 s22, 0xbfb8aa3b
	s_mov_b32 s23, 0x42ce8ed0
	;; [unrolled: 1-line block ×3, first 2 shown]
	v_mov_b32_e32 v4, 0x7f800000
	s_mov_b32 s14, s6
	s_mov_b32 s15, s7
.LBB27_2:                               ; =>This Inner Loop Header: Depth=1
	buffer_load_ushort v5, v2, s[4:7], 0 offen sc0 nt
	buffer_load_ushort v6, v2, s[8:11], 0 offen sc0 nt
	v_lshl_add_u64 v[0:1], v[0:1], 0, s[2:3]
	v_cmp_le_i64_e32 vcc, s[16:17], v[0:1]
	s_or_b64 s[18:19], vcc, s[18:19]
	s_waitcnt vmcnt(1)
	v_lshlrev_b32_e32 v5, 16, v5
	v_max_f32_e32 v5, v5, v5
	v_min_f32_e32 v5, v5, v3
	v_and_b32_e32 v5, 0xffff0000, v5
	v_mul_f32_e32 v7, 0xbfb8aa3b, v5
	v_fma_f32 v8, v5, s22, -v7
	v_rndne_f32_e32 v9, v7
	v_fmac_f32_e32 v8, 0xb2a5705f, v5
	v_sub_f32_e32 v7, v7, v9
	v_add_f32_e32 v7, v7, v8
	v_cvt_i32_f32_e32 v9, v9
	v_exp_f32_e32 v7, v7
	v_cmp_nlt_f32_e64 s[0:1], s23, v5
	s_waitcnt vmcnt(0)
	v_lshlrev_b32_e32 v6, 16, v6
	v_med3_f32 v6, -s20, v6, s20
	v_ldexp_f32 v7, v7, v9
	v_cndmask_b32_e64 v7, 0, v7, s[0:1]
	v_cmp_ngt_f32_e64 s[0:1], s24, v5
	s_nop 1
	v_cndmask_b32_e64 v7, v4, v7, s[0:1]
	v_add_f32_e32 v7, 1.0, v7
	v_rcp_f32_e32 v7, v7
	s_nop 0
	v_mul_f32_e32 v5, v7, v5
	v_mul_f32_e32 v5, v6, v5
	v_lshrrev_b32_e32 v5, 16, v5
	buffer_store_short v5, v2, s[12:15], 0 offen
	v_add_u32_e32 v2, s21, v2
	s_andn2_b64 exec, exec, s[18:19]
	s_cbranch_execnz .LBB27_2
.LBB27_3:
	s_endpgm
	.section	.rodata,"a",@progbits
	.p2align	6, 0x0
	.amdhsa_kernel _ZN5aiter18act_and_mul_kernelIttTnPFfRKT_EXadL_ZNS_11silu_kernelItEEfS3_EELi1ELb1ELi3EEEvPT0_PS2_if
		.amdhsa_group_segment_fixed_size 0
		.amdhsa_private_segment_fixed_size 0
		.amdhsa_kernarg_size 280
		.amdhsa_user_sgpr_count 2
		.amdhsa_user_sgpr_dispatch_ptr 0
		.amdhsa_user_sgpr_queue_ptr 0
		.amdhsa_user_sgpr_kernarg_segment_ptr 1
		.amdhsa_user_sgpr_dispatch_id 0
		.amdhsa_user_sgpr_kernarg_preload_length 0
		.amdhsa_user_sgpr_kernarg_preload_offset 0
		.amdhsa_user_sgpr_private_segment_size 0
		.amdhsa_uses_dynamic_stack 0
		.amdhsa_enable_private_segment 0
		.amdhsa_system_sgpr_workgroup_id_x 1
		.amdhsa_system_sgpr_workgroup_id_y 0
		.amdhsa_system_sgpr_workgroup_id_z 0
		.amdhsa_system_sgpr_workgroup_info 0
		.amdhsa_system_vgpr_workitem_id 0
		.amdhsa_next_free_vgpr 10
		.amdhsa_next_free_sgpr 25
		.amdhsa_accum_offset 12
		.amdhsa_reserve_vcc 1
		.amdhsa_float_round_mode_32 0
		.amdhsa_float_round_mode_16_64 0
		.amdhsa_float_denorm_mode_32 3
		.amdhsa_float_denorm_mode_16_64 3
		.amdhsa_dx10_clamp 1
		.amdhsa_ieee_mode 1
		.amdhsa_fp16_overflow 0
		.amdhsa_tg_split 0
		.amdhsa_exception_fp_ieee_invalid_op 0
		.amdhsa_exception_fp_denorm_src 0
		.amdhsa_exception_fp_ieee_div_zero 0
		.amdhsa_exception_fp_ieee_overflow 0
		.amdhsa_exception_fp_ieee_underflow 0
		.amdhsa_exception_fp_ieee_inexact 0
		.amdhsa_exception_int_div_zero 0
	.end_amdhsa_kernel
	.section	.text._ZN5aiter18act_and_mul_kernelIttTnPFfRKT_EXadL_ZNS_11silu_kernelItEEfS3_EELi1ELb1ELi3EEEvPT0_PS2_if,"axG",@progbits,_ZN5aiter18act_and_mul_kernelIttTnPFfRKT_EXadL_ZNS_11silu_kernelItEEfS3_EELi1ELb1ELi3EEEvPT0_PS2_if,comdat
.Lfunc_end27:
	.size	_ZN5aiter18act_and_mul_kernelIttTnPFfRKT_EXadL_ZNS_11silu_kernelItEEfS3_EELi1ELb1ELi3EEEvPT0_PS2_if, .Lfunc_end27-_ZN5aiter18act_and_mul_kernelIttTnPFfRKT_EXadL_ZNS_11silu_kernelItEEfS3_EELi1ELb1ELi3EEEvPT0_PS2_if
                                        ; -- End function
	.section	.AMDGPU.csdata,"",@progbits
; Kernel info:
; codeLenInByte = 448
; NumSgprs: 31
; NumVgprs: 10
; NumAgprs: 0
; TotalNumVgprs: 10
; ScratchSize: 0
; MemoryBound: 0
; FloatMode: 240
; IeeeMode: 1
; LDSByteSize: 0 bytes/workgroup (compile time only)
; SGPRBlocks: 3
; VGPRBlocks: 1
; NumSGPRsForWavesPerEU: 31
; NumVGPRsForWavesPerEU: 10
; AccumOffset: 12
; Occupancy: 8
; WaveLimiterHint : 0
; COMPUTE_PGM_RSRC2:SCRATCH_EN: 0
; COMPUTE_PGM_RSRC2:USER_SGPR: 2
; COMPUTE_PGM_RSRC2:TRAP_HANDLER: 0
; COMPUTE_PGM_RSRC2:TGID_X_EN: 1
; COMPUTE_PGM_RSRC2:TGID_Y_EN: 0
; COMPUTE_PGM_RSRC2:TGID_Z_EN: 0
; COMPUTE_PGM_RSRC2:TIDIG_COMP_CNT: 0
; COMPUTE_PGM_RSRC3_GFX90A:ACCUM_OFFSET: 2
; COMPUTE_PGM_RSRC3_GFX90A:TG_SPLIT: 0
	.section	.text._ZN5aiter18act_and_mul_kernelIftTnPFfRKT_EXadL_ZNS_11silu_kernelIfEEfS3_EELi16ELb0ELi0EEEvPT0_PS2_if,"axG",@progbits,_ZN5aiter18act_and_mul_kernelIftTnPFfRKT_EXadL_ZNS_11silu_kernelIfEEfS3_EELi16ELb0ELi0EEEvPT0_PS2_if,comdat
	.protected	_ZN5aiter18act_and_mul_kernelIftTnPFfRKT_EXadL_ZNS_11silu_kernelIfEEfS3_EELi16ELb0ELi0EEEvPT0_PS2_if ; -- Begin function _ZN5aiter18act_and_mul_kernelIftTnPFfRKT_EXadL_ZNS_11silu_kernelIfEEfS3_EELi16ELb0ELi0EEEvPT0_PS2_if
	.globl	_ZN5aiter18act_and_mul_kernelIftTnPFfRKT_EXadL_ZNS_11silu_kernelIfEEfS3_EELi16ELb0ELi0EEEvPT0_PS2_if
	.p2align	8
	.type	_ZN5aiter18act_and_mul_kernelIftTnPFfRKT_EXadL_ZNS_11silu_kernelIfEEfS3_EELi16ELb0ELi0EEEvPT0_PS2_if,@function
_ZN5aiter18act_and_mul_kernelIftTnPFfRKT_EXadL_ZNS_11silu_kernelIfEEfS3_EELi16ELb0ELi0EEEvPT0_PS2_if: ; @_ZN5aiter18act_and_mul_kernelIftTnPFfRKT_EXadL_ZNS_11silu_kernelIfEEfS3_EELi16ELb0ELi0EEEvPT0_PS2_if
; %bb.0:
	s_load_dword s30, s[0:1], 0x10
	v_lshlrev_b32_e32 v32, 4, v0
	s_waitcnt lgkmcnt(0)
	v_cmp_gt_i32_e32 vcc, s30, v32
	s_and_saveexec_b64 s[4:5], vcc
	s_cbranch_execz .LBB28_3
; %bb.1:
	s_load_dwordx4 s[4:7], s[0:1], 0x0
	s_ashr_i32 s31, s30, 31
	s_mul_hi_u32 s3, s30, s2
	s_mul_i32 s8, s31, s2
	s_add_i32 s3, s3, s8
	s_mul_i32 s2, s30, s2
	s_lshl_b64 s[8:9], s[2:3], 1
	s_lshl_b64 s[2:3], s[2:3], 3
	s_waitcnt lgkmcnt(0)
	s_add_u32 s36, s6, s2
	s_addc_u32 s6, s7, s3
	s_lshl_b64 s[2:3], s[30:31], 2
	s_add_u32 s40, s36, s2
	s_addc_u32 s2, s6, s3
	s_lshl_b32 s38, s30, 2
	s_and_b32 s37, s6, 0xffff
	s_and_b32 s41, s2, 0xffff
	s_add_u32 s44, s4, s8
	s_addc_u32 s2, s5, s9
	s_add_i32 s3, s30, 1
	s_lshr_b32 s4, s3, 31
	s_add_i32 s3, s3, s4
	s_lshl_b32 s3, s3, 1
	s_and_b32 s46, s3, -4
	s_and_b32 s45, s2, 0xffff
	s_mov_b32 s39, 0x20000
	s_add_u32 s34, s0, 24
	s_mov_b32 s47, s39
	v_mov_b32_e32 v33, 0
	s_addc_u32 s35, s1, 0
	s_mov_b64 s[48:49], 0
	s_mov_b32 s51, 0
	s_mov_b32 s33, 0xbfb8aa3b
	;; [unrolled: 1-line block ×4, first 2 shown]
	v_mov_b32_e32 v34, 0x7f800000
	s_mov_b32 s54, 0x7060302
	s_mov_b32 s42, s38
	;; [unrolled: 1-line block ×3, first 2 shown]
.LBB28_2:                               ; =>This Inner Loop Header: Depth=1
	v_lshlrev_b32_e32 v28, 2, v32
	buffer_load_dwordx4 v[16:19], v28, s[36:39], 0 offen
	buffer_load_dwordx4 v[12:15], v28, s[36:39], 16 offen
	buffer_load_dwordx4 v[8:11], v28, s[36:39], 32 offen
	buffer_load_dwordx4 v[4:7], v28, s[36:39], 48 offen
	buffer_load_dwordx4 v[0:3], v28, s[40:43], 0 offen
	v_lshlrev_b32_e32 v35, 1, v32
	s_waitcnt vmcnt(4)
	v_mul_f32_e32 v22, 0xbfb8aa3b, v18
	v_mul_f32_e32 v21, 0xbfb8aa3b, v17
	;; [unrolled: 1-line block ×3, first 2 shown]
	s_waitcnt vmcnt(3)
	v_mul_f32_e32 v24, 0xbfb8aa3b, v12
	v_fma_f32 v45, v18, s33, -v22
	v_rndne_f32_e32 v46, v22
	v_mul_f32_e32 v20, 0xbfb8aa3b, v16
	v_mul_f32_e32 v25, 0xbfb8aa3b, v13
	;; [unrolled: 1-line block ×3, first 2 shown]
	v_fma_f32 v43, v17, s33, -v21
	v_rndne_f32_e32 v44, v21
	v_rndne_f32_e32 v48, v23
	v_fma_f32 v49, v12, s33, -v24
	v_rndne_f32_e32 v50, v24
	v_fmac_f32_e32 v45, 0xb2a5705f, v18
	v_sub_f32_e32 v22, v22, v46
	v_mul_f32_e32 v27, 0xbfb8aa3b, v15
	s_waitcnt vmcnt(2)
	v_mul_f32_e32 v29, 0xbfb8aa3b, v8
	v_mul_f32_e32 v31, 0xbfb8aa3b, v10
	v_fma_f32 v41, v16, s33, -v20
	v_rndne_f32_e32 v42, v20
	v_fma_f32 v47, v19, s33, -v23
	v_rndne_f32_e32 v52, v25
	;; [unrolled: 2-line block ×3, first 2 shown]
	v_fmac_f32_e32 v43, 0xb2a5705f, v17
	v_sub_f32_e32 v21, v21, v44
	v_add_f32_e32 v45, v22, v45
	v_sub_f32_e32 v22, v23, v48
	v_fmac_f32_e32 v49, 0xb2a5705f, v12
	v_sub_f32_e32 v23, v24, v50
	v_mul_f32_e32 v30, 0xbfb8aa3b, v9
	v_mul_f32_e32 v36, 0xbfb8aa3b, v11
	v_fma_f32 v51, v13, s33, -v25
	v_rndne_f32_e32 v56, v27
	v_fma_f32 v57, v8, s33, -v29
	v_rndne_f32_e32 v58, v29
	v_fmac_f32_e32 v41, 0xb2a5705f, v16
	v_sub_f32_e32 v20, v20, v42
	v_add_f32_e32 v43, v21, v43
	v_fma_f32 v21, v10, s33, -v31
	v_rndne_f32_e32 v60, v31
	v_fmac_f32_e32 v47, 0xb2a5705f, v19
	v_add_f32_e32 v24, v23, v49
	v_sub_f32_e32 v23, v25, v52
	v_fmac_f32_e32 v53, 0xb2a5705f, v14
	v_sub_f32_e32 v25, v26, v54
	s_waitcnt vmcnt(1)
	v_mul_f32_e32 v37, 0xbfb8aa3b, v4
	v_fma_f32 v55, v15, s33, -v27
	v_fma_f32 v59, v9, s33, -v30
	v_add_f32_e32 v20, v20, v41
	v_rndne_f32_e32 v41, v30
	v_add_f32_e32 v47, v22, v47
	v_fma_f32 v22, v11, s33, -v36
	v_rndne_f32_e32 v49, v36
	v_fmac_f32_e32 v51, 0xb2a5705f, v13
	v_add_f32_e32 v53, v25, v53
	v_sub_f32_e32 v25, v27, v56
	v_fmac_f32_e32 v57, 0xb2a5705f, v8
	v_sub_f32_e32 v26, v29, v58
	v_fmac_f32_e32 v21, 0xb2a5705f, v10
	v_sub_f32_e32 v27, v31, v60
	v_mul_f32_e32 v38, 0xbfb8aa3b, v5
	v_mul_f32_e32 v39, 0xbfb8aa3b, v6
	;; [unrolled: 1-line block ×3, first 2 shown]
	v_add_f32_e32 v51, v23, v51
	v_fma_f32 v23, v4, s33, -v37
	v_rndne_f32_e32 v61, v37
	v_fmac_f32_e32 v55, 0xb2a5705f, v15
	v_add_f32_e32 v57, v26, v57
	v_fmac_f32_e32 v59, 0xb2a5705f, v9
	v_sub_f32_e32 v26, v30, v41
	v_add_f32_e32 v63, v27, v21
	v_fmac_f32_e32 v22, 0xb2a5705f, v11
	v_sub_f32_e32 v21, v36, v49
	v_add_f32_e32 v55, v25, v55
	v_fma_f32 v25, v5, s33, -v38
	v_rndne_f32_e32 v62, v38
	v_add_f32_e32 v59, v26, v59
	v_fma_f32 v26, v6, s33, -v39
	v_rndne_f32_e32 v64, v39
	v_add_f32_e32 v36, v21, v22
	v_fma_f32 v21, v7, s33, -v40
	v_fmac_f32_e32 v23, 0xb2a5705f, v4
	v_sub_f32_e32 v22, v37, v61
	v_rndne_f32_e32 v65, v40
	v_add_f32_e32 v37, v22, v23
	v_fmac_f32_e32 v25, 0xb2a5705f, v5
	v_sub_f32_e32 v23, v38, v62
	v_fmac_f32_e32 v26, 0xb2a5705f, v6
	v_sub_f32_e32 v27, v39, v64
	;; [unrolled: 2-line block ×3, first 2 shown]
	v_add_f32_e32 v38, v23, v25
	v_add_f32_e32 v39, v27, v26
	;; [unrolled: 1-line block ×3, first 2 shown]
	v_cvt_i32_f32_e32 v25, v44
	v_cvt_i32_f32_e32 v26, v46
	;; [unrolled: 1-line block ×3, first 2 shown]
	v_exp_f32_e32 v30, v43
	v_exp_f32_e32 v31, v45
	v_exp_f32_e32 v24, v24
	v_cvt_i32_f32_e32 v22, v42
	v_exp_f32_e32 v20, v20
	v_cvt_i32_f32_e32 v27, v48
	v_exp_f32_e32 v43, v47
	v_ldexp_f32 v44, v30, v25
	v_ldexp_f32 v45, v31, v26
	v_ldexp_f32 v46, v24, v29
	v_cvt_i32_f32_e32 v29, v52
	v_cvt_i32_f32_e32 v30, v54
	;; [unrolled: 1-line block ×3, first 2 shown]
	v_exp_f32_e32 v47, v51
	v_exp_f32_e32 v48, v53
	;; [unrolled: 1-line block ×3, first 2 shown]
	v_cvt_i32_f32_e32 v51, v58
	v_cvt_i32_f32_e32 v41, v41
	;; [unrolled: 1-line block ×4, first 2 shown]
	v_exp_f32_e32 v57, v57
	v_exp_f32_e32 v58, v59
	v_exp_f32_e32 v59, v63
	v_exp_f32_e32 v36, v36
	v_cvt_i32_f32_e32 v53, v61
	v_cvt_i32_f32_e32 v54, v62
	;; [unrolled: 1-line block ×4, first 2 shown]
	v_exp_f32_e32 v37, v37
	v_exp_f32_e32 v38, v38
	v_exp_f32_e32 v39, v39
	v_exp_f32_e32 v40, v40
	v_ldexp_f32 v42, v20, v22
	v_ldexp_f32 v43, v43, v27
	;; [unrolled: 1-line block ×5, first 2 shown]
	v_cmp_nlt_f32_e32 vcc, s52, v17
	v_cmp_nlt_f32_e64 s[0:1], s52, v18
	v_cmp_nlt_f32_e64 s[2:3], s52, v19
	v_cmp_nlt_f32_e64 s[4:5], s52, v12
	v_cmp_nlt_f32_e64 s[6:7], s52, v13
	v_cmp_nlt_f32_e64 s[8:9], s52, v14
	v_cmp_nlt_f32_e64 s[10:11], s52, v15
	v_ldexp_f32 v51, v57, v51
	v_cmp_nlt_f32_e64 s[12:13], s52, v8
	v_ldexp_f32 v41, v58, v41
	v_cmp_nlt_f32_e64 s[14:15], s52, v9
	;; [unrolled: 2-line block ×4, first 2 shown]
	v_cmp_nlt_f32_e64 s[28:29], s52, v16
	v_ldexp_f32 v37, v37, v53
	v_cmp_nlt_f32_e64 s[20:21], s52, v4
	v_ldexp_f32 v38, v38, v54
	;; [unrolled: 2-line block ×4, first 2 shown]
	v_cmp_nlt_f32_e64 s[26:27], s52, v7
	v_cndmask_b32_e64 v42, 0, v42, s[28:29]
	v_cndmask_b32_e32 v44, 0, v44, vcc
	v_cmp_ngt_f32_e32 vcc, s53, v17
	v_cndmask_b32_e64 v45, 0, v45, s[0:1]
	v_cmp_ngt_f32_e64 s[0:1], s53, v18
	v_cndmask_b32_e64 v43, 0, v43, s[2:3]
	v_cmp_ngt_f32_e64 s[2:3], s53, v19
	;; [unrolled: 2-line block ×10, first 2 shown]
	v_cmp_ngt_f32_e64 s[28:29], s53, v16
	v_cndmask_b32_e64 v37, 0, v37, s[20:21]
	v_cmp_ngt_f32_e64 s[20:21], s53, v4
	v_cndmask_b32_e64 v38, 0, v38, s[22:23]
	;; [unrolled: 2-line block ×5, first 2 shown]
	v_cndmask_b32_e32 v44, v34, v44, vcc
	v_cndmask_b32_e64 v45, v34, v45, s[0:1]
	v_cndmask_b32_e64 v43, v34, v43, s[2:3]
	v_cndmask_b32_e64 v46, v34, v46, s[4:5]
	v_cndmask_b32_e64 v47, v34, v47, s[6:7]
	v_cndmask_b32_e64 v48, v34, v48, s[8:9]
	v_cndmask_b32_e64 v49, v34, v49, s[10:11]
	v_cndmask_b32_e64 v50, v34, v50, s[12:13]
	v_cndmask_b32_e64 v41, v34, v41, s[14:15]
	v_cndmask_b32_e64 v51, v34, v51, s[16:17]
	v_cndmask_b32_e64 v36, v34, v36, s[18:19]
	v_cndmask_b32_e64 v37, v34, v37, s[20:21]
	v_cndmask_b32_e64 v38, v34, v38, s[22:23]
	v_cndmask_b32_e64 v39, v34, v39, s[24:25]
	v_cndmask_b32_e64 v40, v34, v40, s[26:27]
	v_add_f32_e32 v42, 1.0, v42
	v_add_f32_e32 v44, 1.0, v44
	;; [unrolled: 1-line block ×16, first 2 shown]
	v_rcp_f32_e32 v36, v42
	v_rcp_f32_e32 v37, v44
	;; [unrolled: 1-line block ×16, first 2 shown]
	v_pk_mul_f32 v[16:17], v[16:17], v[36:37]
	v_pk_mul_f32 v[18:19], v[18:19], v[38:39]
	;; [unrolled: 1-line block ×6, first 2 shown]
	buffer_load_dwordx4 v[20:23], v28, s[40:43], 16 offen
	buffer_load_dwordx4 v[24:27], v28, s[40:43], 32 offen
	v_pk_mul_f32 v[4:5], v[4:5], v[48:49]
	buffer_load_dwordx4 v[28:31], v28, s[40:43], 48 offen
	v_pk_mul_f32 v[6:7], v[6:7], v[50:51]
	s_waitcnt vmcnt(3)
	;;#ASMSTART
	v_pk_mul_f32 v[0:1], v[16:17], v[0:1]
	;;#ASMEND
	;;#ASMSTART
	v_pk_mul_f32 v[2:3], v[18:19], v[2:3]
	;;#ASMEND
	s_waitcnt vmcnt(2)
	;;#ASMSTART
	v_pk_mul_f32 v[12:13], v[12:13], v[20:21]
	;;#ASMEND
	;;#ASMSTART
	v_pk_mul_f32 v[14:15], v[14:15], v[22:23]
	;;#ASMEND
	;; [unrolled: 7-line block ×4, first 2 shown]
	s_load_dword s0, s[34:35], 0xc
	v_perm_b32 v0, v1, v0, s54
	v_perm_b32 v1, v3, v2, s54
	;; [unrolled: 1-line block ×4, first 2 shown]
	s_waitcnt lgkmcnt(0)
	s_and_b32 s0, s0, 0xffff
	s_lshl_b32 s50, s0, 4
	v_lshl_add_u64 v[32:33], s[50:51], 0, v[32:33]
	v_cmp_le_i64_e32 vcc, s[30:31], v[32:33]
	v_perm_b32 v4, v9, v8, s54
	v_perm_b32 v5, v11, v10, s54
	;; [unrolled: 1-line block ×4, first 2 shown]
	s_or_b64 s[48:49], vcc, s[48:49]
	buffer_store_dwordx4 v[0:3], v35, s[44:47], 0 offen
	buffer_store_dwordx4 v[4:7], v35, s[44:47], 16 offen
	s_andn2_b64 exec, exec, s[48:49]
	s_cbranch_execnz .LBB28_2
.LBB28_3:
	s_endpgm
	.section	.rodata,"a",@progbits
	.p2align	6, 0x0
	.amdhsa_kernel _ZN5aiter18act_and_mul_kernelIftTnPFfRKT_EXadL_ZNS_11silu_kernelIfEEfS3_EELi16ELb0ELi0EEEvPT0_PS2_if
		.amdhsa_group_segment_fixed_size 0
		.amdhsa_private_segment_fixed_size 0
		.amdhsa_kernarg_size 280
		.amdhsa_user_sgpr_count 2
		.amdhsa_user_sgpr_dispatch_ptr 0
		.amdhsa_user_sgpr_queue_ptr 0
		.amdhsa_user_sgpr_kernarg_segment_ptr 1
		.amdhsa_user_sgpr_dispatch_id 0
		.amdhsa_user_sgpr_kernarg_preload_length 0
		.amdhsa_user_sgpr_kernarg_preload_offset 0
		.amdhsa_user_sgpr_private_segment_size 0
		.amdhsa_uses_dynamic_stack 0
		.amdhsa_enable_private_segment 0
		.amdhsa_system_sgpr_workgroup_id_x 1
		.amdhsa_system_sgpr_workgroup_id_y 0
		.amdhsa_system_sgpr_workgroup_id_z 0
		.amdhsa_system_sgpr_workgroup_info 0
		.amdhsa_system_vgpr_workitem_id 0
		.amdhsa_next_free_vgpr 66
		.amdhsa_next_free_sgpr 55
		.amdhsa_accum_offset 68
		.amdhsa_reserve_vcc 1
		.amdhsa_float_round_mode_32 0
		.amdhsa_float_round_mode_16_64 0
		.amdhsa_float_denorm_mode_32 3
		.amdhsa_float_denorm_mode_16_64 3
		.amdhsa_dx10_clamp 1
		.amdhsa_ieee_mode 1
		.amdhsa_fp16_overflow 0
		.amdhsa_tg_split 0
		.amdhsa_exception_fp_ieee_invalid_op 0
		.amdhsa_exception_fp_denorm_src 0
		.amdhsa_exception_fp_ieee_div_zero 0
		.amdhsa_exception_fp_ieee_overflow 0
		.amdhsa_exception_fp_ieee_underflow 0
		.amdhsa_exception_fp_ieee_inexact 0
		.amdhsa_exception_int_div_zero 0
	.end_amdhsa_kernel
	.section	.text._ZN5aiter18act_and_mul_kernelIftTnPFfRKT_EXadL_ZNS_11silu_kernelIfEEfS3_EELi16ELb0ELi0EEEvPT0_PS2_if,"axG",@progbits,_ZN5aiter18act_and_mul_kernelIftTnPFfRKT_EXadL_ZNS_11silu_kernelIfEEfS3_EELi16ELb0ELi0EEEvPT0_PS2_if,comdat
.Lfunc_end28:
	.size	_ZN5aiter18act_and_mul_kernelIftTnPFfRKT_EXadL_ZNS_11silu_kernelIfEEfS3_EELi16ELb0ELi0EEEvPT0_PS2_if, .Lfunc_end28-_ZN5aiter18act_and_mul_kernelIftTnPFfRKT_EXadL_ZNS_11silu_kernelIfEEfS3_EELi16ELb0ELi0EEEvPT0_PS2_if
                                        ; -- End function
	.section	.AMDGPU.csdata,"",@progbits
; Kernel info:
; codeLenInByte = 2044
; NumSgprs: 61
; NumVgprs: 66
; NumAgprs: 0
; TotalNumVgprs: 66
; ScratchSize: 0
; MemoryBound: 0
; FloatMode: 240
; IeeeMode: 1
; LDSByteSize: 0 bytes/workgroup (compile time only)
; SGPRBlocks: 7
; VGPRBlocks: 8
; NumSGPRsForWavesPerEU: 61
; NumVGPRsForWavesPerEU: 66
; AccumOffset: 68
; Occupancy: 7
; WaveLimiterHint : 0
; COMPUTE_PGM_RSRC2:SCRATCH_EN: 0
; COMPUTE_PGM_RSRC2:USER_SGPR: 2
; COMPUTE_PGM_RSRC2:TRAP_HANDLER: 0
; COMPUTE_PGM_RSRC2:TGID_X_EN: 1
; COMPUTE_PGM_RSRC2:TGID_Y_EN: 0
; COMPUTE_PGM_RSRC2:TGID_Z_EN: 0
; COMPUTE_PGM_RSRC2:TIDIG_COMP_CNT: 0
; COMPUTE_PGM_RSRC3_GFX90A:ACCUM_OFFSET: 16
; COMPUTE_PGM_RSRC3_GFX90A:TG_SPLIT: 0
	.section	.text._ZN5aiter18act_and_mul_kernelIftTnPFfRKT_EXadL_ZNS_11silu_kernelIfEEfS3_EELi8ELb0ELi0EEEvPT0_PS2_if,"axG",@progbits,_ZN5aiter18act_and_mul_kernelIftTnPFfRKT_EXadL_ZNS_11silu_kernelIfEEfS3_EELi8ELb0ELi0EEEvPT0_PS2_if,comdat
	.protected	_ZN5aiter18act_and_mul_kernelIftTnPFfRKT_EXadL_ZNS_11silu_kernelIfEEfS3_EELi8ELb0ELi0EEEvPT0_PS2_if ; -- Begin function _ZN5aiter18act_and_mul_kernelIftTnPFfRKT_EXadL_ZNS_11silu_kernelIfEEfS3_EELi8ELb0ELi0EEEvPT0_PS2_if
	.globl	_ZN5aiter18act_and_mul_kernelIftTnPFfRKT_EXadL_ZNS_11silu_kernelIfEEfS3_EELi8ELb0ELi0EEEvPT0_PS2_if
	.p2align	8
	.type	_ZN5aiter18act_and_mul_kernelIftTnPFfRKT_EXadL_ZNS_11silu_kernelIfEEfS3_EELi8ELb0ELi0EEEvPT0_PS2_if,@function
_ZN5aiter18act_and_mul_kernelIftTnPFfRKT_EXadL_ZNS_11silu_kernelIfEEfS3_EELi8ELb0ELi0EEEvPT0_PS2_if: ; @_ZN5aiter18act_and_mul_kernelIftTnPFfRKT_EXadL_ZNS_11silu_kernelIfEEfS3_EELi8ELb0ELi0EEEvPT0_PS2_if
; %bb.0:
	s_load_dword s14, s[0:1], 0x10
	v_lshlrev_b32_e32 v12, 3, v0
	s_waitcnt lgkmcnt(0)
	v_cmp_gt_i32_e32 vcc, s14, v12
	s_and_saveexec_b64 s[4:5], vcc
	s_cbranch_execz .LBB29_3
; %bb.1:
	s_load_dwordx4 s[4:7], s[0:1], 0x0
	s_ashr_i32 s15, s14, 31
	s_mul_hi_u32 s3, s14, s2
	s_mul_i32 s8, s15, s2
	s_add_i32 s3, s3, s8
	s_mul_i32 s2, s14, s2
	s_lshl_b64 s[8:9], s[2:3], 1
	s_lshl_b64 s[2:3], s[2:3], 3
	s_waitcnt lgkmcnt(0)
	s_add_u32 s16, s6, s2
	s_addc_u32 s6, s7, s3
	s_lshl_b64 s[2:3], s[14:15], 2
	s_add_u32 s20, s16, s2
	s_addc_u32 s2, s6, s3
	s_lshl_b32 s18, s14, 2
	s_and_b32 s17, s6, 0xffff
	s_and_b32 s21, s2, 0xffff
	s_add_u32 s24, s4, s8
	s_addc_u32 s2, s5, s9
	s_add_i32 s3, s14, 1
	s_lshr_b32 s4, s3, 31
	s_add_i32 s3, s3, s4
	s_lshl_b32 s3, s3, 1
	s_and_b32 s26, s3, -4
	s_and_b32 s25, s2, 0xffff
	s_mov_b32 s19, 0x20000
	s_add_u32 s28, s0, 24
	s_mov_b32 s27, s19
	v_mov_b32_e32 v13, 0
	s_addc_u32 s29, s1, 0
	s_mov_b64 s[30:31], 0
	s_mov_b32 s35, 0
	s_mov_b32 s22, s18
	;; [unrolled: 1-line block ×6, first 2 shown]
	v_mov_b32_e32 v14, 0x7f800000
	s_mov_b32 s38, 0x7060302
.LBB29_2:                               ; =>This Inner Loop Header: Depth=1
	v_lshlrev_b32_e32 v15, 2, v12
	buffer_load_dwordx4 v[16:19], v15, s[16:19], 0 offen
	buffer_load_dwordx4 v[8:11], v15, s[16:19], 16 offen
	;; [unrolled: 1-line block ×4, first 2 shown]
	v_lshlrev_b32_e32 v28, 1, v12
	s_waitcnt vmcnt(3)
	v_mul_f32_e32 v20, 0xbfb8aa3b, v17
	s_waitcnt vmcnt(2)
	v_mul_f32_e32 v23, 0xbfb8aa3b, v8
	v_mul_f32_e32 v24, 0xbfb8aa3b, v9
	;; [unrolled: 1-line block ×7, first 2 shown]
	v_fma_f32 v30, v17, s33, -v20
	v_rndne_f32_e32 v31, v20
	v_fma_f32 v36, v8, s33, -v23
	v_rndne_f32_e32 v37, v23
	;; [unrolled: 2-line block ×8, first 2 shown]
	v_fmac_f32_e32 v30, 0xb2a5705f, v17
	v_sub_f32_e32 v20, v20, v31
	v_fmac_f32_e32 v36, 0xb2a5705f, v8
	v_sub_f32_e32 v23, v23, v37
	;; [unrolled: 2-line block ×8, first 2 shown]
	v_add_f32_e32 v20, v20, v30
	v_add_f32_e32 v23, v23, v36
	;; [unrolled: 1-line block ×5, first 2 shown]
	v_cvt_i32_f32_e32 v31, v31
	v_cvt_i32_f32_e32 v37, v37
	;; [unrolled: 1-line block ×5, first 2 shown]
	v_add_f32_e32 v15, v15, v27
	v_add_f32_e32 v21, v21, v32
	;; [unrolled: 1-line block ×3, first 2 shown]
	v_exp_f32_e32 v20, v20
	v_exp_f32_e32 v23, v23
	v_exp_f32_e32 v24, v24
	v_exp_f32_e32 v25, v25
	v_exp_f32_e32 v26, v26
	v_cvt_i32_f32_e32 v29, v29
	v_cvt_i32_f32_e32 v33, v33
	v_cvt_i32_f32_e32 v35, v35
	v_exp_f32_e32 v15, v15
	v_exp_f32_e32 v21, v21
	;; [unrolled: 1-line block ×3, first 2 shown]
	v_ldexp_f32 v20, v20, v31
	v_cmp_nlt_f32_e32 vcc, s36, v17
	v_ldexp_f32 v23, v23, v37
	v_cmp_nlt_f32_e64 s[4:5], s36, v8
	v_ldexp_f32 v24, v24, v39
	v_cmp_nlt_f32_e64 s[6:7], s36, v9
	;; [unrolled: 2-line block ×4, first 2 shown]
	v_ldexp_f32 v15, v15, v29
	v_ldexp_f32 v21, v21, v33
	v_cmp_nlt_f32_e64 s[0:1], s36, v18
	v_ldexp_f32 v22, v22, v35
	v_cmp_nlt_f32_e64 s[2:3], s36, v19
	v_cmp_nlt_f32_e64 s[12:13], s36, v16
	v_cndmask_b32_e32 v20, 0, v20, vcc
	v_cmp_ngt_f32_e32 vcc, s37, v17
	v_cndmask_b32_e64 v23, 0, v23, s[4:5]
	v_cmp_ngt_f32_e64 s[4:5], s37, v8
	v_cndmask_b32_e64 v24, 0, v24, s[6:7]
	v_cmp_ngt_f32_e64 s[6:7], s37, v9
	;; [unrolled: 2-line block ×4, first 2 shown]
	v_cndmask_b32_e64 v15, 0, v15, s[12:13]
	v_cndmask_b32_e64 v21, 0, v21, s[0:1]
	v_cmp_ngt_f32_e64 s[0:1], s37, v18
	v_cndmask_b32_e64 v22, 0, v22, s[2:3]
	v_cmp_ngt_f32_e64 s[2:3], s37, v19
	v_cmp_ngt_f32_e64 s[12:13], s37, v16
	v_cndmask_b32_e32 v20, v14, v20, vcc
	v_cndmask_b32_e64 v23, v14, v23, s[4:5]
	v_cndmask_b32_e64 v24, v14, v24, s[6:7]
	v_cndmask_b32_e64 v25, v14, v25, s[8:9]
	v_cndmask_b32_e64 v26, v14, v26, s[10:11]
	v_cndmask_b32_e64 v15, v14, v15, s[12:13]
	v_cndmask_b32_e64 v21, v14, v21, s[0:1]
	v_cndmask_b32_e64 v22, v14, v22, s[2:3]
	v_add_f32_e32 v27, 1.0, v20
	v_add_f32_e32 v31, 1.0, v23
	;; [unrolled: 1-line block ×8, first 2 shown]
	v_rcp_f32_e32 v21, v27
	v_rcp_f32_e32 v24, v31
	v_rcp_f32_e32 v25, v32
	v_rcp_f32_e32 v26, v33
	v_rcp_f32_e32 v27, v34
	v_rcp_f32_e32 v20, v15
	v_rcp_f32_e32 v22, v29
	v_rcp_f32_e32 v23, v30
	v_pk_mul_f32 v[8:9], v[8:9], v[24:25]
	v_pk_mul_f32 v[10:11], v[10:11], v[26:27]
	;; [unrolled: 1-line block ×4, first 2 shown]
	s_waitcnt vmcnt(1)
	;;#ASMSTART
	v_pk_mul_f32 v[4:5], v[16:17], v[4:5]
	;;#ASMEND
	;;#ASMSTART
	v_pk_mul_f32 v[6:7], v[18:19], v[6:7]
	;;#ASMEND
	s_waitcnt vmcnt(0)
	;;#ASMSTART
	v_pk_mul_f32 v[8:9], v[8:9], v[0:1]
	;;#ASMEND
	;;#ASMSTART
	v_pk_mul_f32 v[10:11], v[10:11], v[2:3]
	;;#ASMEND
	s_load_dword s0, s[28:29], 0xc
	v_perm_b32 v0, v5, v4, s38
	v_perm_b32 v1, v7, v6, s38
	;; [unrolled: 1-line block ×4, first 2 shown]
	s_waitcnt lgkmcnt(0)
	s_and_b32 s0, s0, 0xffff
	s_lshl_b32 s34, s0, 3
	v_lshl_add_u64 v[12:13], s[34:35], 0, v[12:13]
	v_cmp_le_i64_e32 vcc, s[14:15], v[12:13]
	s_or_b64 s[30:31], vcc, s[30:31]
	buffer_store_dwordx4 v[0:3], v28, s[24:27], 0 offen
	s_andn2_b64 exec, exec, s[30:31]
	s_cbranch_execnz .LBB29_2
.LBB29_3:
	s_endpgm
	.section	.rodata,"a",@progbits
	.p2align	6, 0x0
	.amdhsa_kernel _ZN5aiter18act_and_mul_kernelIftTnPFfRKT_EXadL_ZNS_11silu_kernelIfEEfS3_EELi8ELb0ELi0EEEvPT0_PS2_if
		.amdhsa_group_segment_fixed_size 0
		.amdhsa_private_segment_fixed_size 0
		.amdhsa_kernarg_size 280
		.amdhsa_user_sgpr_count 2
		.amdhsa_user_sgpr_dispatch_ptr 0
		.amdhsa_user_sgpr_queue_ptr 0
		.amdhsa_user_sgpr_kernarg_segment_ptr 1
		.amdhsa_user_sgpr_dispatch_id 0
		.amdhsa_user_sgpr_kernarg_preload_length 0
		.amdhsa_user_sgpr_kernarg_preload_offset 0
		.amdhsa_user_sgpr_private_segment_size 0
		.amdhsa_uses_dynamic_stack 0
		.amdhsa_enable_private_segment 0
		.amdhsa_system_sgpr_workgroup_id_x 1
		.amdhsa_system_sgpr_workgroup_id_y 0
		.amdhsa_system_sgpr_workgroup_id_z 0
		.amdhsa_system_sgpr_workgroup_info 0
		.amdhsa_system_vgpr_workitem_id 0
		.amdhsa_next_free_vgpr 44
		.amdhsa_next_free_sgpr 39
		.amdhsa_accum_offset 44
		.amdhsa_reserve_vcc 1
		.amdhsa_float_round_mode_32 0
		.amdhsa_float_round_mode_16_64 0
		.amdhsa_float_denorm_mode_32 3
		.amdhsa_float_denorm_mode_16_64 3
		.amdhsa_dx10_clamp 1
		.amdhsa_ieee_mode 1
		.amdhsa_fp16_overflow 0
		.amdhsa_tg_split 0
		.amdhsa_exception_fp_ieee_invalid_op 0
		.amdhsa_exception_fp_denorm_src 0
		.amdhsa_exception_fp_ieee_div_zero 0
		.amdhsa_exception_fp_ieee_overflow 0
		.amdhsa_exception_fp_ieee_underflow 0
		.amdhsa_exception_fp_ieee_inexact 0
		.amdhsa_exception_int_div_zero 0
	.end_amdhsa_kernel
	.section	.text._ZN5aiter18act_and_mul_kernelIftTnPFfRKT_EXadL_ZNS_11silu_kernelIfEEfS3_EELi8ELb0ELi0EEEvPT0_PS2_if,"axG",@progbits,_ZN5aiter18act_and_mul_kernelIftTnPFfRKT_EXadL_ZNS_11silu_kernelIfEEfS3_EELi8ELb0ELi0EEEvPT0_PS2_if,comdat
.Lfunc_end29:
	.size	_ZN5aiter18act_and_mul_kernelIftTnPFfRKT_EXadL_ZNS_11silu_kernelIfEEfS3_EELi8ELb0ELi0EEEvPT0_PS2_if, .Lfunc_end29-_ZN5aiter18act_and_mul_kernelIftTnPFfRKT_EXadL_ZNS_11silu_kernelIfEEfS3_EELi8ELb0ELi0EEEvPT0_PS2_if
                                        ; -- End function
	.section	.AMDGPU.csdata,"",@progbits
; Kernel info:
; codeLenInByte = 1156
; NumSgprs: 45
; NumVgprs: 44
; NumAgprs: 0
; TotalNumVgprs: 44
; ScratchSize: 0
; MemoryBound: 0
; FloatMode: 240
; IeeeMode: 1
; LDSByteSize: 0 bytes/workgroup (compile time only)
; SGPRBlocks: 5
; VGPRBlocks: 5
; NumSGPRsForWavesPerEU: 45
; NumVGPRsForWavesPerEU: 44
; AccumOffset: 44
; Occupancy: 8
; WaveLimiterHint : 0
; COMPUTE_PGM_RSRC2:SCRATCH_EN: 0
; COMPUTE_PGM_RSRC2:USER_SGPR: 2
; COMPUTE_PGM_RSRC2:TRAP_HANDLER: 0
; COMPUTE_PGM_RSRC2:TGID_X_EN: 1
; COMPUTE_PGM_RSRC2:TGID_Y_EN: 0
; COMPUTE_PGM_RSRC2:TGID_Z_EN: 0
; COMPUTE_PGM_RSRC2:TIDIG_COMP_CNT: 0
; COMPUTE_PGM_RSRC3_GFX90A:ACCUM_OFFSET: 10
; COMPUTE_PGM_RSRC3_GFX90A:TG_SPLIT: 0
	.section	.text._ZN5aiter18act_and_mul_kernelIftTnPFfRKT_EXadL_ZNS_11silu_kernelIfEEfS3_EELi4ELb0ELi0EEEvPT0_PS2_if,"axG",@progbits,_ZN5aiter18act_and_mul_kernelIftTnPFfRKT_EXadL_ZNS_11silu_kernelIfEEfS3_EELi4ELb0ELi0EEEvPT0_PS2_if,comdat
	.protected	_ZN5aiter18act_and_mul_kernelIftTnPFfRKT_EXadL_ZNS_11silu_kernelIfEEfS3_EELi4ELb0ELi0EEEvPT0_PS2_if ; -- Begin function _ZN5aiter18act_and_mul_kernelIftTnPFfRKT_EXadL_ZNS_11silu_kernelIfEEfS3_EELi4ELb0ELi0EEEvPT0_PS2_if
	.globl	_ZN5aiter18act_and_mul_kernelIftTnPFfRKT_EXadL_ZNS_11silu_kernelIfEEfS3_EELi4ELb0ELi0EEEvPT0_PS2_if
	.p2align	8
	.type	_ZN5aiter18act_and_mul_kernelIftTnPFfRKT_EXadL_ZNS_11silu_kernelIfEEfS3_EELi4ELb0ELi0EEEvPT0_PS2_if,@function
_ZN5aiter18act_and_mul_kernelIftTnPFfRKT_EXadL_ZNS_11silu_kernelIfEEfS3_EELi4ELb0ELi0EEEvPT0_PS2_if: ; @_ZN5aiter18act_and_mul_kernelIftTnPFfRKT_EXadL_ZNS_11silu_kernelIfEEfS3_EELi4ELb0ELi0EEEvPT0_PS2_if
; %bb.0:
	s_load_dword s6, s[0:1], 0x10
	v_lshlrev_b32_e32 v8, 2, v0
	s_waitcnt lgkmcnt(0)
	v_cmp_gt_i32_e32 vcc, s6, v8
	s_and_saveexec_b64 s[4:5], vcc
	s_cbranch_execz .LBB30_3
; %bb.1:
	s_load_dwordx4 s[16:19], s[0:1], 0x0
	s_ashr_i32 s7, s6, 31
	s_mul_hi_u32 s3, s6, s2
	s_mul_i32 s4, s7, s2
	s_add_i32 s3, s3, s4
	s_mul_i32 s2, s6, s2
	s_lshl_b64 s[4:5], s[2:3], 1
	s_lshl_b64 s[2:3], s[2:3], 3
	s_waitcnt lgkmcnt(0)
	s_add_u32 s8, s18, s2
	s_addc_u32 s9, s19, s3
	s_lshl_b64 s[2:3], s[6:7], 2
	s_add_u32 s12, s8, s2
	s_addc_u32 s2, s9, s3
	s_lshl_b32 s10, s6, 2
	s_and_b32 s9, s9, 0xffff
	s_and_b32 s13, s2, 0xffff
	s_add_u32 s16, s16, s4
	s_addc_u32 s2, s17, s5
	s_add_i32 s3, s6, 1
	s_lshr_b32 s4, s3, 31
	s_add_i32 s3, s3, s4
	s_lshl_b32 s3, s3, 1
	s_and_b32 s18, s3, -4
	s_and_b32 s17, s2, 0xffff
	s_mov_b32 s11, 0x20000
	s_add_u32 s20, s0, 24
	s_mov_b32 s19, s11
	v_mov_b32_e32 v9, 0
	s_addc_u32 s21, s1, 0
	s_mov_b64 s[22:23], 0
	s_mov_b32 s25, 0
	s_mov_b32 s14, s10
	;; [unrolled: 1-line block ×6, first 2 shown]
	v_mov_b32_e32 v10, 0x7f800000
	s_mov_b32 s29, 0x7060302
.LBB30_2:                               ; =>This Inner Loop Header: Depth=1
	v_lshlrev_b32_e32 v11, 2, v8
	buffer_load_dwordx4 v[4:7], v11, s[8:11], 0 offen
	buffer_load_dwordx4 v[0:3], v11, s[12:15], 0 offen
	s_waitcnt vmcnt(1)
	v_mul_f32_e32 v11, 0xbfb8aa3b, v4
	v_mul_f32_e32 v12, 0xbfb8aa3b, v5
	v_mul_f32_e32 v13, 0xbfb8aa3b, v6
	v_mul_f32_e32 v14, 0xbfb8aa3b, v7
	v_fma_f32 v15, v4, s26, -v11
	v_rndne_f32_e32 v16, v11
	v_fma_f32 v17, v5, s26, -v12
	v_rndne_f32_e32 v18, v12
	;; [unrolled: 2-line block ×4, first 2 shown]
	v_fmac_f32_e32 v15, 0xb2a5705f, v4
	v_sub_f32_e32 v11, v11, v16
	v_fmac_f32_e32 v17, 0xb2a5705f, v5
	v_sub_f32_e32 v12, v12, v18
	;; [unrolled: 2-line block ×4, first 2 shown]
	v_add_f32_e32 v11, v11, v15
	v_add_f32_e32 v12, v12, v17
	;; [unrolled: 1-line block ×4, first 2 shown]
	v_cvt_i32_f32_e32 v16, v16
	v_cvt_i32_f32_e32 v18, v18
	;; [unrolled: 1-line block ×4, first 2 shown]
	v_exp_f32_e32 v11, v11
	v_exp_f32_e32 v12, v12
	;; [unrolled: 1-line block ×4, first 2 shown]
	v_ldexp_f32 v11, v11, v16
	v_ldexp_f32 v12, v12, v18
	v_cmp_nlt_f32_e32 vcc, s27, v5
	v_ldexp_f32 v13, v13, v20
	v_cmp_nlt_f32_e64 s[0:1], s27, v6
	v_ldexp_f32 v14, v14, v22
	v_cmp_nlt_f32_e64 s[2:3], s27, v7
	v_cmp_nlt_f32_e64 s[4:5], s27, v4
	v_cndmask_b32_e32 v12, 0, v12, vcc
	v_cmp_ngt_f32_e32 vcc, s28, v5
	v_cndmask_b32_e64 v11, 0, v11, s[4:5]
	v_cndmask_b32_e64 v13, 0, v13, s[0:1]
	v_cmp_ngt_f32_e64 s[0:1], s28, v6
	v_cndmask_b32_e64 v14, 0, v14, s[2:3]
	v_cmp_ngt_f32_e64 s[2:3], s28, v7
	v_cmp_ngt_f32_e64 s[4:5], s28, v4
	v_cndmask_b32_e32 v12, v10, v12, vcc
	v_cndmask_b32_e64 v13, v10, v13, s[0:1]
	v_cndmask_b32_e64 v11, v10, v11, s[4:5]
	;; [unrolled: 1-line block ×3, first 2 shown]
	v_add_f32_e32 v11, 1.0, v11
	v_add_f32_e32 v15, 1.0, v12
	;; [unrolled: 1-line block ×4, first 2 shown]
	v_rcp_f32_e32 v12, v11
	v_rcp_f32_e32 v13, v15
	;; [unrolled: 1-line block ×4, first 2 shown]
	v_pk_mul_f32 v[4:5], v[4:5], v[12:13]
	s_waitcnt vmcnt(0)
	;;#ASMSTART
	v_pk_mul_f32 v[0:1], v[4:5], v[0:1]
	;;#ASMEND
	v_pk_mul_f32 v[6:7], v[6:7], v[14:15]
	v_lshlrev_b32_e32 v4, 1, v8
	;;#ASMSTART
	v_pk_mul_f32 v[2:3], v[6:7], v[2:3]
	;;#ASMEND
	s_load_dword s0, s[20:21], 0xc
	v_perm_b32 v0, v1, v0, s29
	v_perm_b32 v1, v3, v2, s29
	buffer_store_dwordx2 v[0:1], v4, s[16:19], 0 offen
	s_waitcnt lgkmcnt(0)
	s_and_b32 s0, s0, 0xffff
	s_lshl_b32 s24, s0, 2
	v_lshl_add_u64 v[8:9], s[24:25], 0, v[8:9]
	v_cmp_le_i64_e32 vcc, s[6:7], v[8:9]
	s_or_b64 s[22:23], vcc, s[22:23]
	s_andn2_b64 exec, exec, s[22:23]
	s_cbranch_execnz .LBB30_2
.LBB30_3:
	s_endpgm
	.section	.rodata,"a",@progbits
	.p2align	6, 0x0
	.amdhsa_kernel _ZN5aiter18act_and_mul_kernelIftTnPFfRKT_EXadL_ZNS_11silu_kernelIfEEfS3_EELi4ELb0ELi0EEEvPT0_PS2_if
		.amdhsa_group_segment_fixed_size 0
		.amdhsa_private_segment_fixed_size 0
		.amdhsa_kernarg_size 280
		.amdhsa_user_sgpr_count 2
		.amdhsa_user_sgpr_dispatch_ptr 0
		.amdhsa_user_sgpr_queue_ptr 0
		.amdhsa_user_sgpr_kernarg_segment_ptr 1
		.amdhsa_user_sgpr_dispatch_id 0
		.amdhsa_user_sgpr_kernarg_preload_length 0
		.amdhsa_user_sgpr_kernarg_preload_offset 0
		.amdhsa_user_sgpr_private_segment_size 0
		.amdhsa_uses_dynamic_stack 0
		.amdhsa_enable_private_segment 0
		.amdhsa_system_sgpr_workgroup_id_x 1
		.amdhsa_system_sgpr_workgroup_id_y 0
		.amdhsa_system_sgpr_workgroup_id_z 0
		.amdhsa_system_sgpr_workgroup_info 0
		.amdhsa_system_vgpr_workitem_id 0
		.amdhsa_next_free_vgpr 23
		.amdhsa_next_free_sgpr 30
		.amdhsa_accum_offset 24
		.amdhsa_reserve_vcc 1
		.amdhsa_float_round_mode_32 0
		.amdhsa_float_round_mode_16_64 0
		.amdhsa_float_denorm_mode_32 3
		.amdhsa_float_denorm_mode_16_64 3
		.amdhsa_dx10_clamp 1
		.amdhsa_ieee_mode 1
		.amdhsa_fp16_overflow 0
		.amdhsa_tg_split 0
		.amdhsa_exception_fp_ieee_invalid_op 0
		.amdhsa_exception_fp_denorm_src 0
		.amdhsa_exception_fp_ieee_div_zero 0
		.amdhsa_exception_fp_ieee_overflow 0
		.amdhsa_exception_fp_ieee_underflow 0
		.amdhsa_exception_fp_ieee_inexact 0
		.amdhsa_exception_int_div_zero 0
	.end_amdhsa_kernel
	.section	.text._ZN5aiter18act_and_mul_kernelIftTnPFfRKT_EXadL_ZNS_11silu_kernelIfEEfS3_EELi4ELb0ELi0EEEvPT0_PS2_if,"axG",@progbits,_ZN5aiter18act_and_mul_kernelIftTnPFfRKT_EXadL_ZNS_11silu_kernelIfEEfS3_EELi4ELb0ELi0EEEvPT0_PS2_if,comdat
.Lfunc_end30:
	.size	_ZN5aiter18act_and_mul_kernelIftTnPFfRKT_EXadL_ZNS_11silu_kernelIfEEfS3_EELi4ELb0ELi0EEEvPT0_PS2_if, .Lfunc_end30-_ZN5aiter18act_and_mul_kernelIftTnPFfRKT_EXadL_ZNS_11silu_kernelIfEEfS3_EELi4ELb0ELi0EEEvPT0_PS2_if
                                        ; -- End function
	.section	.AMDGPU.csdata,"",@progbits
; Kernel info:
; codeLenInByte = 716
; NumSgprs: 36
; NumVgprs: 23
; NumAgprs: 0
; TotalNumVgprs: 23
; ScratchSize: 0
; MemoryBound: 0
; FloatMode: 240
; IeeeMode: 1
; LDSByteSize: 0 bytes/workgroup (compile time only)
; SGPRBlocks: 4
; VGPRBlocks: 2
; NumSGPRsForWavesPerEU: 36
; NumVGPRsForWavesPerEU: 23
; AccumOffset: 24
; Occupancy: 8
; WaveLimiterHint : 0
; COMPUTE_PGM_RSRC2:SCRATCH_EN: 0
; COMPUTE_PGM_RSRC2:USER_SGPR: 2
; COMPUTE_PGM_RSRC2:TRAP_HANDLER: 0
; COMPUTE_PGM_RSRC2:TGID_X_EN: 1
; COMPUTE_PGM_RSRC2:TGID_Y_EN: 0
; COMPUTE_PGM_RSRC2:TGID_Z_EN: 0
; COMPUTE_PGM_RSRC2:TIDIG_COMP_CNT: 0
; COMPUTE_PGM_RSRC3_GFX90A:ACCUM_OFFSET: 5
; COMPUTE_PGM_RSRC3_GFX90A:TG_SPLIT: 0
	.section	.text._ZN5aiter18act_and_mul_kernelIftTnPFfRKT_EXadL_ZNS_11silu_kernelIfEEfS3_EELi2ELb0ELi0EEEvPT0_PS2_if,"axG",@progbits,_ZN5aiter18act_and_mul_kernelIftTnPFfRKT_EXadL_ZNS_11silu_kernelIfEEfS3_EELi2ELb0ELi0EEEvPT0_PS2_if,comdat
	.protected	_ZN5aiter18act_and_mul_kernelIftTnPFfRKT_EXadL_ZNS_11silu_kernelIfEEfS3_EELi2ELb0ELi0EEEvPT0_PS2_if ; -- Begin function _ZN5aiter18act_and_mul_kernelIftTnPFfRKT_EXadL_ZNS_11silu_kernelIfEEfS3_EELi2ELb0ELi0EEEvPT0_PS2_if
	.globl	_ZN5aiter18act_and_mul_kernelIftTnPFfRKT_EXadL_ZNS_11silu_kernelIfEEfS3_EELi2ELb0ELi0EEEvPT0_PS2_if
	.p2align	8
	.type	_ZN5aiter18act_and_mul_kernelIftTnPFfRKT_EXadL_ZNS_11silu_kernelIfEEfS3_EELi2ELb0ELi0EEEvPT0_PS2_if,@function
_ZN5aiter18act_and_mul_kernelIftTnPFfRKT_EXadL_ZNS_11silu_kernelIfEEfS3_EELi2ELb0ELi0EEEvPT0_PS2_if: ; @_ZN5aiter18act_and_mul_kernelIftTnPFfRKT_EXadL_ZNS_11silu_kernelIfEEfS3_EELi2ELb0ELi0EEEvPT0_PS2_if
; %bb.0:
	s_load_dword s16, s[0:1], 0x10
	v_lshlrev_b32_e32 v0, 1, v0
	s_waitcnt lgkmcnt(0)
	v_cmp_gt_i32_e32 vcc, s16, v0
	s_and_saveexec_b64 s[4:5], vcc
	s_cbranch_execz .LBB31_3
; %bb.1:
	s_load_dwordx4 s[12:15], s[0:1], 0x0
	s_ashr_i32 s17, s16, 31
	s_mul_hi_u32 s3, s16, s2
	s_mul_i32 s4, s17, s2
	s_add_i32 s3, s3, s4
	s_mul_i32 s2, s16, s2
	s_lshl_b64 s[10:11], s[2:3], 1
	s_lshl_b64 s[2:3], s[2:3], 3
	s_waitcnt lgkmcnt(0)
	s_add_u32 s4, s14, s2
	s_addc_u32 s5, s15, s3
	s_lshl_b64 s[2:3], s[16:17], 2
	s_add_u32 s8, s4, s2
	s_addc_u32 s2, s5, s3
	s_lshl_b32 s6, s16, 2
	s_and_b32 s5, s5, 0xffff
	s_and_b32 s9, s2, 0xffff
	s_add_u32 s12, s12, s10
	s_addc_u32 s2, s13, s11
	s_add_i32 s3, s16, 1
	s_lshr_b32 s10, s3, 31
	s_add_i32 s3, s3, s10
	s_lshl_b32 s3, s3, 1
	s_and_b32 s14, s3, -4
	s_and_b32 s13, s2, 0xffff
	s_mov_b32 s7, 0x20000
	s_add_u32 s2, s0, 24
	s_mov_b32 s15, s7
	v_mov_b32_e32 v1, 0
	s_addc_u32 s3, s1, 0
	s_mov_b64 s[18:19], 0
	s_mov_b32 s21, 0
	s_mov_b32 s10, s6
	;; [unrolled: 1-line block ×6, first 2 shown]
	v_mov_b32_e32 v2, 0x7f800000
	s_mov_b32 s25, 0x7060302
.LBB31_2:                               ; =>This Inner Loop Header: Depth=1
	v_lshlrev_b32_e32 v3, 2, v0
	buffer_load_dwordx2 v[4:5], v3, s[4:7], 0 offen
	buffer_load_dwordx2 v[6:7], v3, s[8:11], 0 offen
	s_waitcnt vmcnt(1)
	v_mul_f32_e32 v3, 0xbfb8aa3b, v5
	v_mul_f32_e32 v8, 0xbfb8aa3b, v4
	v_fma_f32 v9, v5, s22, -v3
	v_rndne_f32_e32 v10, v3
	v_fma_f32 v11, v4, s22, -v8
	v_rndne_f32_e32 v12, v8
	v_fmac_f32_e32 v9, 0xb2a5705f, v5
	v_sub_f32_e32 v3, v3, v10
	v_fmac_f32_e32 v11, 0xb2a5705f, v4
	v_sub_f32_e32 v8, v8, v12
	v_add_f32_e32 v3, v3, v9
	v_add_f32_e32 v8, v8, v11
	v_cvt_i32_f32_e32 v10, v10
	v_cvt_i32_f32_e32 v12, v12
	v_exp_f32_e32 v3, v3
	v_exp_f32_e32 v8, v8
	v_cmp_nlt_f32_e32 vcc, s23, v4
	v_cmp_nlt_f32_e64 s[0:1], s23, v5
	v_ldexp_f32 v3, v3, v10
	v_ldexp_f32 v8, v8, v12
	v_cndmask_b32_e64 v3, 0, v3, s[0:1]
	v_cndmask_b32_e32 v8, 0, v8, vcc
	v_cmp_ngt_f32_e32 vcc, s24, v4
	v_cmp_ngt_f32_e64 s[0:1], s24, v5
	s_nop 0
	v_cndmask_b32_e32 v8, v2, v8, vcc
	v_cndmask_b32_e64 v3, v2, v3, s[0:1]
	v_add_f32_e32 v3, 1.0, v3
	v_add_f32_e32 v8, 1.0, v8
	v_rcp_f32_e32 v9, v3
	v_rcp_f32_e32 v8, v8
	v_lshlrev_b32_e32 v3, 1, v0
	v_pk_mul_f32 v[4:5], v[8:9], v[4:5]
	s_waitcnt vmcnt(0)
	;;#ASMSTART
	v_pk_mul_f32 v[4:5], v[4:5], v[6:7]
	;;#ASMEND
	s_load_dword s0, s[2:3], 0xc
	v_perm_b32 v4, v5, v4, s25
	buffer_store_dword v4, v3, s[12:15], 0 offen
	s_waitcnt lgkmcnt(0)
	s_and_b32 s0, s0, 0xffff
	s_lshl_b32 s20, s0, 1
	v_lshl_add_u64 v[0:1], s[20:21], 0, v[0:1]
	v_cmp_le_i64_e32 vcc, s[16:17], v[0:1]
	s_or_b64 s[18:19], vcc, s[18:19]
	s_andn2_b64 exec, exec, s[18:19]
	s_cbranch_execnz .LBB31_2
.LBB31_3:
	s_endpgm
	.section	.rodata,"a",@progbits
	.p2align	6, 0x0
	.amdhsa_kernel _ZN5aiter18act_and_mul_kernelIftTnPFfRKT_EXadL_ZNS_11silu_kernelIfEEfS3_EELi2ELb0ELi0EEEvPT0_PS2_if
		.amdhsa_group_segment_fixed_size 0
		.amdhsa_private_segment_fixed_size 0
		.amdhsa_kernarg_size 280
		.amdhsa_user_sgpr_count 2
		.amdhsa_user_sgpr_dispatch_ptr 0
		.amdhsa_user_sgpr_queue_ptr 0
		.amdhsa_user_sgpr_kernarg_segment_ptr 1
		.amdhsa_user_sgpr_dispatch_id 0
		.amdhsa_user_sgpr_kernarg_preload_length 0
		.amdhsa_user_sgpr_kernarg_preload_offset 0
		.amdhsa_user_sgpr_private_segment_size 0
		.amdhsa_uses_dynamic_stack 0
		.amdhsa_enable_private_segment 0
		.amdhsa_system_sgpr_workgroup_id_x 1
		.amdhsa_system_sgpr_workgroup_id_y 0
		.amdhsa_system_sgpr_workgroup_id_z 0
		.amdhsa_system_sgpr_workgroup_info 0
		.amdhsa_system_vgpr_workitem_id 0
		.amdhsa_next_free_vgpr 13
		.amdhsa_next_free_sgpr 26
		.amdhsa_accum_offset 16
		.amdhsa_reserve_vcc 1
		.amdhsa_float_round_mode_32 0
		.amdhsa_float_round_mode_16_64 0
		.amdhsa_float_denorm_mode_32 3
		.amdhsa_float_denorm_mode_16_64 3
		.amdhsa_dx10_clamp 1
		.amdhsa_ieee_mode 1
		.amdhsa_fp16_overflow 0
		.amdhsa_tg_split 0
		.amdhsa_exception_fp_ieee_invalid_op 0
		.amdhsa_exception_fp_denorm_src 0
		.amdhsa_exception_fp_ieee_div_zero 0
		.amdhsa_exception_fp_ieee_overflow 0
		.amdhsa_exception_fp_ieee_underflow 0
		.amdhsa_exception_fp_ieee_inexact 0
		.amdhsa_exception_int_div_zero 0
	.end_amdhsa_kernel
	.section	.text._ZN5aiter18act_and_mul_kernelIftTnPFfRKT_EXadL_ZNS_11silu_kernelIfEEfS3_EELi2ELb0ELi0EEEvPT0_PS2_if,"axG",@progbits,_ZN5aiter18act_and_mul_kernelIftTnPFfRKT_EXadL_ZNS_11silu_kernelIfEEfS3_EELi2ELb0ELi0EEEvPT0_PS2_if,comdat
.Lfunc_end31:
	.size	_ZN5aiter18act_and_mul_kernelIftTnPFfRKT_EXadL_ZNS_11silu_kernelIfEEfS3_EELi2ELb0ELi0EEEvPT0_PS2_if, .Lfunc_end31-_ZN5aiter18act_and_mul_kernelIftTnPFfRKT_EXadL_ZNS_11silu_kernelIfEEfS3_EELi2ELb0ELi0EEEvPT0_PS2_if
                                        ; -- End function
	.section	.AMDGPU.csdata,"",@progbits
; Kernel info:
; codeLenInByte = 512
; NumSgprs: 32
; NumVgprs: 13
; NumAgprs: 0
; TotalNumVgprs: 13
; ScratchSize: 0
; MemoryBound: 0
; FloatMode: 240
; IeeeMode: 1
; LDSByteSize: 0 bytes/workgroup (compile time only)
; SGPRBlocks: 3
; VGPRBlocks: 1
; NumSGPRsForWavesPerEU: 32
; NumVGPRsForWavesPerEU: 13
; AccumOffset: 16
; Occupancy: 8
; WaveLimiterHint : 0
; COMPUTE_PGM_RSRC2:SCRATCH_EN: 0
; COMPUTE_PGM_RSRC2:USER_SGPR: 2
; COMPUTE_PGM_RSRC2:TRAP_HANDLER: 0
; COMPUTE_PGM_RSRC2:TGID_X_EN: 1
; COMPUTE_PGM_RSRC2:TGID_Y_EN: 0
; COMPUTE_PGM_RSRC2:TGID_Z_EN: 0
; COMPUTE_PGM_RSRC2:TIDIG_COMP_CNT: 0
; COMPUTE_PGM_RSRC3_GFX90A:ACCUM_OFFSET: 3
; COMPUTE_PGM_RSRC3_GFX90A:TG_SPLIT: 0
	.section	.text._ZN5aiter18act_and_mul_kernelIftTnPFfRKT_EXadL_ZNS_11silu_kernelIfEEfS3_EELi1ELb0ELi0EEEvPT0_PS2_if,"axG",@progbits,_ZN5aiter18act_and_mul_kernelIftTnPFfRKT_EXadL_ZNS_11silu_kernelIfEEfS3_EELi1ELb0ELi0EEEvPT0_PS2_if,comdat
	.protected	_ZN5aiter18act_and_mul_kernelIftTnPFfRKT_EXadL_ZNS_11silu_kernelIfEEfS3_EELi1ELb0ELi0EEEvPT0_PS2_if ; -- Begin function _ZN5aiter18act_and_mul_kernelIftTnPFfRKT_EXadL_ZNS_11silu_kernelIfEEfS3_EELi1ELb0ELi0EEEvPT0_PS2_if
	.globl	_ZN5aiter18act_and_mul_kernelIftTnPFfRKT_EXadL_ZNS_11silu_kernelIfEEfS3_EELi1ELb0ELi0EEEvPT0_PS2_if
	.p2align	8
	.type	_ZN5aiter18act_and_mul_kernelIftTnPFfRKT_EXadL_ZNS_11silu_kernelIfEEfS3_EELi1ELb0ELi0EEEvPT0_PS2_if,@function
_ZN5aiter18act_and_mul_kernelIftTnPFfRKT_EXadL_ZNS_11silu_kernelIfEEfS3_EELi1ELb0ELi0EEEvPT0_PS2_if: ; @_ZN5aiter18act_and_mul_kernelIftTnPFfRKT_EXadL_ZNS_11silu_kernelIfEEfS3_EELi1ELb0ELi0EEEvPT0_PS2_if
; %bb.0:
	s_load_dword s12, s[0:1], 0x10
	s_waitcnt lgkmcnt(0)
	v_cmp_gt_i32_e32 vcc, s12, v0
	s_and_saveexec_b64 s[4:5], vcc
	s_cbranch_execz .LBB32_3
; %bb.1:
	s_load_dwordx4 s[8:11], s[0:1], 0x0
	s_load_dword s14, s[0:1], 0x24
	s_ashr_i32 s13, s12, 31
	s_mul_hi_u32 s3, s12, s2
	s_mul_i32 s4, s13, s2
	s_add_i32 s3, s3, s4
	s_mul_i32 s2, s12, s2
	s_lshl_b64 s[6:7], s[2:3], 1
	s_lshl_b64 s[2:3], s[2:3], 3
	s_waitcnt lgkmcnt(0)
	s_add_u32 s0, s10, s2
	s_addc_u32 s1, s11, s3
	s_lshl_b64 s[2:3], s[12:13], 2
	s_add_u32 s4, s0, s2
	s_addc_u32 s5, s1, s3
	s_lshl_b32 s2, s12, 2
	s_and_b32 s1, s1, 0xffff
	s_and_b32 s5, s5, 0xffff
	s_add_u32 s8, s8, s6
	s_addc_u32 s6, s9, s7
	s_add_i32 s7, s12, 1
	s_lshr_b32 s9, s7, 31
	s_add_i32 s7, s7, s9
	s_mov_b32 s3, 0x20000
	s_lshl_b32 s7, s7, 1
	s_and_b32 s14, s14, 0xffff
	s_and_b32 s10, s7, -4
	s_and_b32 s9, s6, 0xffff
	s_mov_b32 s11, s3
	s_mov_b32 s15, 0
	v_mov_b32_e32 v1, 0
	v_lshlrev_b32_e32 v2, 1, v0
	s_lshl_b32 s18, s14, 1
	v_lshlrev_b32_e32 v3, 2, v0
	s_lshl_b32 s19, s14, 2
	s_mov_b64 s[16:17], 0
	s_mov_b32 s6, s2
	s_mov_b32 s7, s3
	;; [unrolled: 1-line block ×5, first 2 shown]
	v_mov_b32_e32 v4, 0x7f800000
.LBB32_2:                               ; =>This Inner Loop Header: Depth=1
	buffer_load_dword v5, v3, s[0:3], 0 offen
	buffer_load_dword v6, v3, s[4:7], 0 offen
	v_lshl_add_u64 v[0:1], v[0:1], 0, s[14:15]
	v_add_u32_e32 v3, s19, v3
	s_waitcnt vmcnt(1)
	v_mul_f32_e32 v7, 0xbfb8aa3b, v5
	v_fma_f32 v8, v5, s20, -v7
	v_rndne_f32_e32 v9, v7
	v_fmac_f32_e32 v8, 0xb2a5705f, v5
	v_sub_f32_e32 v7, v7, v9
	v_add_f32_e32 v7, v7, v8
	v_cvt_i32_f32_e32 v9, v9
	v_exp_f32_e32 v7, v7
	v_cmp_nlt_f32_e32 vcc, s21, v5
	v_ldexp_f32 v7, v7, v9
	s_nop 0
	v_cndmask_b32_e32 v7, 0, v7, vcc
	v_cmp_ngt_f32_e32 vcc, s22, v5
	s_nop 1
	v_cndmask_b32_e32 v7, v4, v7, vcc
	v_add_f32_e32 v7, 1.0, v7
	v_rcp_f32_e32 v7, v7
	v_cmp_le_i64_e32 vcc, s[12:13], v[0:1]
	s_or_b64 s[16:17], vcc, s[16:17]
	v_mul_f32_e32 v5, v7, v5
	s_waitcnt vmcnt(0)
	v_mul_f32_e32 v5, v5, v6
	v_lshrrev_b32_e32 v5, 16, v5
	buffer_store_short v5, v2, s[8:11], 0 offen
	v_add_u32_e32 v2, s18, v2
	s_andn2_b64 exec, exec, s[16:17]
	s_cbranch_execnz .LBB32_2
.LBB32_3:
	s_endpgm
	.section	.rodata,"a",@progbits
	.p2align	6, 0x0
	.amdhsa_kernel _ZN5aiter18act_and_mul_kernelIftTnPFfRKT_EXadL_ZNS_11silu_kernelIfEEfS3_EELi1ELb0ELi0EEEvPT0_PS2_if
		.amdhsa_group_segment_fixed_size 0
		.amdhsa_private_segment_fixed_size 0
		.amdhsa_kernarg_size 280
		.amdhsa_user_sgpr_count 2
		.amdhsa_user_sgpr_dispatch_ptr 0
		.amdhsa_user_sgpr_queue_ptr 0
		.amdhsa_user_sgpr_kernarg_segment_ptr 1
		.amdhsa_user_sgpr_dispatch_id 0
		.amdhsa_user_sgpr_kernarg_preload_length 0
		.amdhsa_user_sgpr_kernarg_preload_offset 0
		.amdhsa_user_sgpr_private_segment_size 0
		.amdhsa_uses_dynamic_stack 0
		.amdhsa_enable_private_segment 0
		.amdhsa_system_sgpr_workgroup_id_x 1
		.amdhsa_system_sgpr_workgroup_id_y 0
		.amdhsa_system_sgpr_workgroup_id_z 0
		.amdhsa_system_sgpr_workgroup_info 0
		.amdhsa_system_vgpr_workitem_id 0
		.amdhsa_next_free_vgpr 10
		.amdhsa_next_free_sgpr 23
		.amdhsa_accum_offset 12
		.amdhsa_reserve_vcc 1
		.amdhsa_float_round_mode_32 0
		.amdhsa_float_round_mode_16_64 0
		.amdhsa_float_denorm_mode_32 3
		.amdhsa_float_denorm_mode_16_64 3
		.amdhsa_dx10_clamp 1
		.amdhsa_ieee_mode 1
		.amdhsa_fp16_overflow 0
		.amdhsa_tg_split 0
		.amdhsa_exception_fp_ieee_invalid_op 0
		.amdhsa_exception_fp_denorm_src 0
		.amdhsa_exception_fp_ieee_div_zero 0
		.amdhsa_exception_fp_ieee_overflow 0
		.amdhsa_exception_fp_ieee_underflow 0
		.amdhsa_exception_fp_ieee_inexact 0
		.amdhsa_exception_int_div_zero 0
	.end_amdhsa_kernel
	.section	.text._ZN5aiter18act_and_mul_kernelIftTnPFfRKT_EXadL_ZNS_11silu_kernelIfEEfS3_EELi1ELb0ELi0EEEvPT0_PS2_if,"axG",@progbits,_ZN5aiter18act_and_mul_kernelIftTnPFfRKT_EXadL_ZNS_11silu_kernelIfEEfS3_EELi1ELb0ELi0EEEvPT0_PS2_if,comdat
.Lfunc_end32:
	.size	_ZN5aiter18act_and_mul_kernelIftTnPFfRKT_EXadL_ZNS_11silu_kernelIfEEfS3_EELi1ELb0ELi0EEEvPT0_PS2_if, .Lfunc_end32-_ZN5aiter18act_and_mul_kernelIftTnPFfRKT_EXadL_ZNS_11silu_kernelIfEEfS3_EELi1ELb0ELi0EEEvPT0_PS2_if
                                        ; -- End function
	.section	.AMDGPU.csdata,"",@progbits
; Kernel info:
; codeLenInByte = 400
; NumSgprs: 29
; NumVgprs: 10
; NumAgprs: 0
; TotalNumVgprs: 10
; ScratchSize: 0
; MemoryBound: 0
; FloatMode: 240
; IeeeMode: 1
; LDSByteSize: 0 bytes/workgroup (compile time only)
; SGPRBlocks: 3
; VGPRBlocks: 1
; NumSGPRsForWavesPerEU: 29
; NumVGPRsForWavesPerEU: 10
; AccumOffset: 12
; Occupancy: 8
; WaveLimiterHint : 0
; COMPUTE_PGM_RSRC2:SCRATCH_EN: 0
; COMPUTE_PGM_RSRC2:USER_SGPR: 2
; COMPUTE_PGM_RSRC2:TRAP_HANDLER: 0
; COMPUTE_PGM_RSRC2:TGID_X_EN: 1
; COMPUTE_PGM_RSRC2:TGID_Y_EN: 0
; COMPUTE_PGM_RSRC2:TGID_Z_EN: 0
; COMPUTE_PGM_RSRC2:TIDIG_COMP_CNT: 0
; COMPUTE_PGM_RSRC3_GFX90A:ACCUM_OFFSET: 2
; COMPUTE_PGM_RSRC3_GFX90A:TG_SPLIT: 0
	.section	.text._ZN5aiter18act_and_mul_kernelIfDF16_TnPFfRKT_EXadL_ZNS_11silu_kernelIfEEfS3_EELi16ELb0ELi0EEEvPT0_PS2_if,"axG",@progbits,_ZN5aiter18act_and_mul_kernelIfDF16_TnPFfRKT_EXadL_ZNS_11silu_kernelIfEEfS3_EELi16ELb0ELi0EEEvPT0_PS2_if,comdat
	.protected	_ZN5aiter18act_and_mul_kernelIfDF16_TnPFfRKT_EXadL_ZNS_11silu_kernelIfEEfS3_EELi16ELb0ELi0EEEvPT0_PS2_if ; -- Begin function _ZN5aiter18act_and_mul_kernelIfDF16_TnPFfRKT_EXadL_ZNS_11silu_kernelIfEEfS3_EELi16ELb0ELi0EEEvPT0_PS2_if
	.globl	_ZN5aiter18act_and_mul_kernelIfDF16_TnPFfRKT_EXadL_ZNS_11silu_kernelIfEEfS3_EELi16ELb0ELi0EEEvPT0_PS2_if
	.p2align	8
	.type	_ZN5aiter18act_and_mul_kernelIfDF16_TnPFfRKT_EXadL_ZNS_11silu_kernelIfEEfS3_EELi16ELb0ELi0EEEvPT0_PS2_if,@function
_ZN5aiter18act_and_mul_kernelIfDF16_TnPFfRKT_EXadL_ZNS_11silu_kernelIfEEfS3_EELi16ELb0ELi0EEEvPT0_PS2_if: ; @_ZN5aiter18act_and_mul_kernelIfDF16_TnPFfRKT_EXadL_ZNS_11silu_kernelIfEEfS3_EELi16ELb0ELi0EEEvPT0_PS2_if
; %bb.0:
	s_load_dword s30, s[0:1], 0x10
	v_lshlrev_b32_e32 v32, 4, v0
	s_waitcnt lgkmcnt(0)
	v_cmp_gt_i32_e32 vcc, s30, v32
	s_and_saveexec_b64 s[4:5], vcc
	s_cbranch_execz .LBB33_3
; %bb.1:
	s_load_dwordx4 s[4:7], s[0:1], 0x0
	s_ashr_i32 s31, s30, 31
	s_mul_hi_u32 s3, s30, s2
	s_mul_i32 s8, s31, s2
	s_add_i32 s3, s3, s8
	s_mul_i32 s2, s30, s2
	s_lshl_b64 s[8:9], s[2:3], 1
	s_lshl_b64 s[2:3], s[2:3], 3
	s_waitcnt lgkmcnt(0)
	s_add_u32 s36, s6, s2
	s_addc_u32 s6, s7, s3
	s_lshl_b64 s[2:3], s[30:31], 2
	s_add_u32 s40, s36, s2
	s_addc_u32 s2, s6, s3
	s_lshl_b32 s38, s30, 2
	s_and_b32 s37, s6, 0xffff
	s_and_b32 s41, s2, 0xffff
	s_add_u32 s44, s4, s8
	s_addc_u32 s2, s5, s9
	s_add_i32 s3, s30, 1
	s_lshr_b32 s4, s3, 31
	s_add_i32 s3, s3, s4
	s_lshl_b32 s3, s3, 1
	s_and_b32 s46, s3, -4
	s_and_b32 s45, s2, 0xffff
	s_mov_b32 s39, 0x20000
	s_add_u32 s34, s0, 24
	s_mov_b32 s47, s39
	v_mov_b32_e32 v33, 0
	s_addc_u32 s35, s1, 0
	s_mov_b64 s[48:49], 0
	s_mov_b32 s51, 0
	s_mov_b32 s33, 0xbfb8aa3b
	;; [unrolled: 1-line block ×4, first 2 shown]
	v_mov_b32_e32 v34, 0x7f800000
	s_mov_b32 s42, s38
	s_mov_b32 s43, s39
.LBB33_2:                               ; =>This Inner Loop Header: Depth=1
	v_lshlrev_b32_e32 v28, 2, v32
	buffer_load_dwordx4 v[16:19], v28, s[36:39], 0 offen
	buffer_load_dwordx4 v[12:15], v28, s[36:39], 16 offen
	;; [unrolled: 1-line block ×5, first 2 shown]
	v_lshlrev_b32_e32 v35, 1, v32
	s_waitcnt vmcnt(4)
	v_mul_f32_e32 v22, 0xbfb8aa3b, v18
	v_mul_f32_e32 v21, 0xbfb8aa3b, v17
	;; [unrolled: 1-line block ×3, first 2 shown]
	s_waitcnt vmcnt(3)
	v_mul_f32_e32 v24, 0xbfb8aa3b, v12
	v_fma_f32 v45, v18, s33, -v22
	v_rndne_f32_e32 v46, v22
	v_mul_f32_e32 v20, 0xbfb8aa3b, v16
	v_mul_f32_e32 v25, 0xbfb8aa3b, v13
	;; [unrolled: 1-line block ×3, first 2 shown]
	v_fma_f32 v43, v17, s33, -v21
	v_rndne_f32_e32 v44, v21
	v_rndne_f32_e32 v48, v23
	v_fma_f32 v49, v12, s33, -v24
	v_rndne_f32_e32 v50, v24
	v_fmac_f32_e32 v45, 0xb2a5705f, v18
	v_sub_f32_e32 v22, v22, v46
	v_mul_f32_e32 v27, 0xbfb8aa3b, v15
	s_waitcnt vmcnt(2)
	v_mul_f32_e32 v29, 0xbfb8aa3b, v8
	v_mul_f32_e32 v31, 0xbfb8aa3b, v10
	v_fma_f32 v41, v16, s33, -v20
	v_rndne_f32_e32 v42, v20
	v_fma_f32 v47, v19, s33, -v23
	v_rndne_f32_e32 v52, v25
	;; [unrolled: 2-line block ×3, first 2 shown]
	v_fmac_f32_e32 v43, 0xb2a5705f, v17
	v_sub_f32_e32 v21, v21, v44
	v_add_f32_e32 v45, v22, v45
	v_sub_f32_e32 v22, v23, v48
	v_fmac_f32_e32 v49, 0xb2a5705f, v12
	v_sub_f32_e32 v23, v24, v50
	v_mul_f32_e32 v30, 0xbfb8aa3b, v9
	v_mul_f32_e32 v36, 0xbfb8aa3b, v11
	v_fma_f32 v51, v13, s33, -v25
	v_rndne_f32_e32 v56, v27
	v_fma_f32 v57, v8, s33, -v29
	v_rndne_f32_e32 v58, v29
	v_fmac_f32_e32 v41, 0xb2a5705f, v16
	v_sub_f32_e32 v20, v20, v42
	v_add_f32_e32 v43, v21, v43
	v_fma_f32 v21, v10, s33, -v31
	v_rndne_f32_e32 v60, v31
	v_fmac_f32_e32 v47, 0xb2a5705f, v19
	v_add_f32_e32 v24, v23, v49
	v_sub_f32_e32 v23, v25, v52
	v_fmac_f32_e32 v53, 0xb2a5705f, v14
	v_sub_f32_e32 v25, v26, v54
	s_waitcnt vmcnt(1)
	v_mul_f32_e32 v37, 0xbfb8aa3b, v4
	v_fma_f32 v55, v15, s33, -v27
	v_fma_f32 v59, v9, s33, -v30
	v_add_f32_e32 v20, v20, v41
	v_rndne_f32_e32 v41, v30
	v_add_f32_e32 v47, v22, v47
	v_fma_f32 v22, v11, s33, -v36
	v_rndne_f32_e32 v49, v36
	v_fmac_f32_e32 v51, 0xb2a5705f, v13
	v_add_f32_e32 v53, v25, v53
	v_sub_f32_e32 v25, v27, v56
	v_fmac_f32_e32 v57, 0xb2a5705f, v8
	v_sub_f32_e32 v26, v29, v58
	v_fmac_f32_e32 v21, 0xb2a5705f, v10
	v_sub_f32_e32 v27, v31, v60
	v_mul_f32_e32 v38, 0xbfb8aa3b, v5
	v_mul_f32_e32 v39, 0xbfb8aa3b, v6
	v_mul_f32_e32 v40, 0xbfb8aa3b, v7
	v_add_f32_e32 v51, v23, v51
	v_fma_f32 v23, v4, s33, -v37
	v_rndne_f32_e32 v61, v37
	v_fmac_f32_e32 v55, 0xb2a5705f, v15
	v_add_f32_e32 v57, v26, v57
	v_fmac_f32_e32 v59, 0xb2a5705f, v9
	v_sub_f32_e32 v26, v30, v41
	v_add_f32_e32 v63, v27, v21
	v_fmac_f32_e32 v22, 0xb2a5705f, v11
	v_sub_f32_e32 v21, v36, v49
	v_add_f32_e32 v55, v25, v55
	v_fma_f32 v25, v5, s33, -v38
	v_rndne_f32_e32 v62, v38
	v_add_f32_e32 v59, v26, v59
	v_fma_f32 v26, v6, s33, -v39
	v_rndne_f32_e32 v64, v39
	v_add_f32_e32 v36, v21, v22
	v_fma_f32 v21, v7, s33, -v40
	v_fmac_f32_e32 v23, 0xb2a5705f, v4
	v_sub_f32_e32 v22, v37, v61
	v_rndne_f32_e32 v65, v40
	v_add_f32_e32 v37, v22, v23
	v_fmac_f32_e32 v25, 0xb2a5705f, v5
	v_sub_f32_e32 v23, v38, v62
	v_fmac_f32_e32 v26, 0xb2a5705f, v6
	v_sub_f32_e32 v27, v39, v64
	;; [unrolled: 2-line block ×3, first 2 shown]
	v_add_f32_e32 v38, v23, v25
	v_add_f32_e32 v39, v27, v26
	;; [unrolled: 1-line block ×3, first 2 shown]
	v_cvt_i32_f32_e32 v25, v44
	v_cvt_i32_f32_e32 v26, v46
	;; [unrolled: 1-line block ×3, first 2 shown]
	v_exp_f32_e32 v30, v43
	v_exp_f32_e32 v31, v45
	;; [unrolled: 1-line block ×3, first 2 shown]
	v_cvt_i32_f32_e32 v22, v42
	v_exp_f32_e32 v20, v20
	v_cvt_i32_f32_e32 v27, v48
	v_exp_f32_e32 v43, v47
	v_ldexp_f32 v44, v30, v25
	v_ldexp_f32 v45, v31, v26
	;; [unrolled: 1-line block ×3, first 2 shown]
	v_cvt_i32_f32_e32 v29, v52
	v_cvt_i32_f32_e32 v30, v54
	;; [unrolled: 1-line block ×3, first 2 shown]
	v_exp_f32_e32 v47, v51
	v_exp_f32_e32 v48, v53
	;; [unrolled: 1-line block ×3, first 2 shown]
	v_cvt_i32_f32_e32 v51, v58
	v_cvt_i32_f32_e32 v41, v41
	;; [unrolled: 1-line block ×8, first 2 shown]
	v_exp_f32_e32 v57, v57
	v_exp_f32_e32 v58, v59
	;; [unrolled: 1-line block ×8, first 2 shown]
	v_ldexp_f32 v42, v20, v22
	v_ldexp_f32 v43, v43, v27
	;; [unrolled: 1-line block ×5, first 2 shown]
	v_cmp_nlt_f32_e32 vcc, s52, v17
	v_cmp_nlt_f32_e64 s[0:1], s52, v18
	v_cmp_nlt_f32_e64 s[2:3], s52, v19
	;; [unrolled: 1-line block ×6, first 2 shown]
	v_ldexp_f32 v51, v57, v51
	v_cmp_nlt_f32_e64 s[12:13], s52, v8
	v_ldexp_f32 v41, v58, v41
	v_cmp_nlt_f32_e64 s[14:15], s52, v9
	;; [unrolled: 2-line block ×8, first 2 shown]
	v_cmp_nlt_f32_e64 s[28:29], s52, v16
	v_cndmask_b32_e32 v44, 0, v44, vcc
	v_cmp_ngt_f32_e32 vcc, s53, v17
	v_cndmask_b32_e64 v42, 0, v42, s[28:29]
	v_cndmask_b32_e64 v45, 0, v45, s[0:1]
	v_cmp_ngt_f32_e64 s[0:1], s53, v18
	v_cndmask_b32_e64 v43, 0, v43, s[2:3]
	v_cmp_ngt_f32_e64 s[2:3], s53, v19
	;; [unrolled: 2-line block ×14, first 2 shown]
	v_cmp_ngt_f32_e64 s[28:29], s53, v16
	v_cndmask_b32_e32 v44, v34, v44, vcc
	v_cndmask_b32_e64 v45, v34, v45, s[0:1]
	v_cndmask_b32_e64 v42, v34, v42, s[28:29]
	;; [unrolled: 1-line block ×15, first 2 shown]
	v_add_f32_e32 v42, 1.0, v42
	v_add_f32_e32 v44, 1.0, v44
	;; [unrolled: 1-line block ×16, first 2 shown]
	v_rcp_f32_e32 v36, v42
	v_rcp_f32_e32 v37, v44
	v_rcp_f32_e32 v38, v45
	v_rcp_f32_e32 v39, v43
	v_rcp_f32_e32 v40, v46
	v_rcp_f32_e32 v41, v47
	v_rcp_f32_e32 v42, v48
	v_rcp_f32_e32 v43, v49
	v_rcp_f32_e32 v44, v50
	v_rcp_f32_e32 v45, v52
	v_rcp_f32_e32 v46, v51
	v_rcp_f32_e32 v47, v53
	v_rcp_f32_e32 v48, v54
	v_rcp_f32_e32 v49, v55
	v_rcp_f32_e32 v50, v56
	v_rcp_f32_e32 v51, v57
	v_pk_mul_f32 v[12:13], v[12:13], v[40:41]
	v_pk_mul_f32 v[14:15], v[14:15], v[42:43]
	;; [unrolled: 1-line block ×6, first 2 shown]
	buffer_load_dwordx4 v[20:23], v28, s[40:43], 16 offen
	buffer_load_dwordx4 v[24:27], v28, s[40:43], 32 offen
	v_pk_mul_f32 v[16:17], v[16:17], v[36:37]
	buffer_load_dwordx4 v[28:31], v28, s[40:43], 48 offen
	v_pk_mul_f32 v[18:19], v[18:19], v[38:39]
	s_waitcnt vmcnt(3)
	;;#ASMSTART
	v_pk_mul_f32 v[0:1], v[16:17], v[0:1]
	;;#ASMEND
	;;#ASMSTART
	v_pk_mul_f32 v[2:3], v[18:19], v[2:3]
	;;#ASMEND
	s_waitcnt vmcnt(2)
	;;#ASMSTART
	v_pk_mul_f32 v[12:13], v[12:13], v[20:21]
	;;#ASMEND
	;;#ASMSTART
	v_pk_mul_f32 v[14:15], v[14:15], v[22:23]
	;;#ASMEND
	;; [unrolled: 7-line block ×4, first 2 shown]
	s_load_dword s0, s[34:35], 0xc
	v_cvt_f16_f32_e32 v0, v0
	v_cvt_f16_f32_e32 v1, v1
	;; [unrolled: 1-line block ×16, first 2 shown]
	s_waitcnt lgkmcnt(0)
	s_and_b32 s0, s0, 0xffff
	s_lshl_b32 s50, s0, 4
	v_lshl_add_u64 v[32:33], s[50:51], 0, v[32:33]
	v_cmp_le_i64_e32 vcc, s[30:31], v[32:33]
	v_pack_b32_f16 v0, v0, v1
	v_pack_b32_f16 v1, v2, v3
	;; [unrolled: 1-line block ×8, first 2 shown]
	s_or_b64 s[48:49], vcc, s[48:49]
	buffer_store_dwordx4 v[0:3], v35, s[44:47], 0 offen
	buffer_store_dwordx4 v[4:7], v35, s[44:47], 16 offen
	s_andn2_b64 exec, exec, s[48:49]
	s_cbranch_execnz .LBB33_2
.LBB33_3:
	s_endpgm
	.section	.rodata,"a",@progbits
	.p2align	6, 0x0
	.amdhsa_kernel _ZN5aiter18act_and_mul_kernelIfDF16_TnPFfRKT_EXadL_ZNS_11silu_kernelIfEEfS3_EELi16ELb0ELi0EEEvPT0_PS2_if
		.amdhsa_group_segment_fixed_size 0
		.amdhsa_private_segment_fixed_size 0
		.amdhsa_kernarg_size 280
		.amdhsa_user_sgpr_count 2
		.amdhsa_user_sgpr_dispatch_ptr 0
		.amdhsa_user_sgpr_queue_ptr 0
		.amdhsa_user_sgpr_kernarg_segment_ptr 1
		.amdhsa_user_sgpr_dispatch_id 0
		.amdhsa_user_sgpr_kernarg_preload_length 0
		.amdhsa_user_sgpr_kernarg_preload_offset 0
		.amdhsa_user_sgpr_private_segment_size 0
		.amdhsa_uses_dynamic_stack 0
		.amdhsa_enable_private_segment 0
		.amdhsa_system_sgpr_workgroup_id_x 1
		.amdhsa_system_sgpr_workgroup_id_y 0
		.amdhsa_system_sgpr_workgroup_id_z 0
		.amdhsa_system_sgpr_workgroup_info 0
		.amdhsa_system_vgpr_workitem_id 0
		.amdhsa_next_free_vgpr 66
		.amdhsa_next_free_sgpr 54
		.amdhsa_accum_offset 68
		.amdhsa_reserve_vcc 1
		.amdhsa_float_round_mode_32 0
		.amdhsa_float_round_mode_16_64 0
		.amdhsa_float_denorm_mode_32 3
		.amdhsa_float_denorm_mode_16_64 3
		.amdhsa_dx10_clamp 1
		.amdhsa_ieee_mode 1
		.amdhsa_fp16_overflow 0
		.amdhsa_tg_split 0
		.amdhsa_exception_fp_ieee_invalid_op 0
		.amdhsa_exception_fp_denorm_src 0
		.amdhsa_exception_fp_ieee_div_zero 0
		.amdhsa_exception_fp_ieee_overflow 0
		.amdhsa_exception_fp_ieee_underflow 0
		.amdhsa_exception_fp_ieee_inexact 0
		.amdhsa_exception_int_div_zero 0
	.end_amdhsa_kernel
	.section	.text._ZN5aiter18act_and_mul_kernelIfDF16_TnPFfRKT_EXadL_ZNS_11silu_kernelIfEEfS3_EELi16ELb0ELi0EEEvPT0_PS2_if,"axG",@progbits,_ZN5aiter18act_and_mul_kernelIfDF16_TnPFfRKT_EXadL_ZNS_11silu_kernelIfEEfS3_EELi16ELb0ELi0EEEvPT0_PS2_if,comdat
.Lfunc_end33:
	.size	_ZN5aiter18act_and_mul_kernelIfDF16_TnPFfRKT_EXadL_ZNS_11silu_kernelIfEEfS3_EELi16ELb0ELi0EEEvPT0_PS2_if, .Lfunc_end33-_ZN5aiter18act_and_mul_kernelIfDF16_TnPFfRKT_EXadL_ZNS_11silu_kernelIfEEfS3_EELi16ELb0ELi0EEEvPT0_PS2_if
                                        ; -- End function
	.section	.AMDGPU.csdata,"",@progbits
; Kernel info:
; codeLenInByte = 2100
; NumSgprs: 60
; NumVgprs: 66
; NumAgprs: 0
; TotalNumVgprs: 66
; ScratchSize: 0
; MemoryBound: 0
; FloatMode: 240
; IeeeMode: 1
; LDSByteSize: 0 bytes/workgroup (compile time only)
; SGPRBlocks: 7
; VGPRBlocks: 8
; NumSGPRsForWavesPerEU: 60
; NumVGPRsForWavesPerEU: 66
; AccumOffset: 68
; Occupancy: 7
; WaveLimiterHint : 0
; COMPUTE_PGM_RSRC2:SCRATCH_EN: 0
; COMPUTE_PGM_RSRC2:USER_SGPR: 2
; COMPUTE_PGM_RSRC2:TRAP_HANDLER: 0
; COMPUTE_PGM_RSRC2:TGID_X_EN: 1
; COMPUTE_PGM_RSRC2:TGID_Y_EN: 0
; COMPUTE_PGM_RSRC2:TGID_Z_EN: 0
; COMPUTE_PGM_RSRC2:TIDIG_COMP_CNT: 0
; COMPUTE_PGM_RSRC3_GFX90A:ACCUM_OFFSET: 16
; COMPUTE_PGM_RSRC3_GFX90A:TG_SPLIT: 0
	.section	.text._ZN5aiter18act_and_mul_kernelIfDF16_TnPFfRKT_EXadL_ZNS_11silu_kernelIfEEfS3_EELi8ELb0ELi0EEEvPT0_PS2_if,"axG",@progbits,_ZN5aiter18act_and_mul_kernelIfDF16_TnPFfRKT_EXadL_ZNS_11silu_kernelIfEEfS3_EELi8ELb0ELi0EEEvPT0_PS2_if,comdat
	.protected	_ZN5aiter18act_and_mul_kernelIfDF16_TnPFfRKT_EXadL_ZNS_11silu_kernelIfEEfS3_EELi8ELb0ELi0EEEvPT0_PS2_if ; -- Begin function _ZN5aiter18act_and_mul_kernelIfDF16_TnPFfRKT_EXadL_ZNS_11silu_kernelIfEEfS3_EELi8ELb0ELi0EEEvPT0_PS2_if
	.globl	_ZN5aiter18act_and_mul_kernelIfDF16_TnPFfRKT_EXadL_ZNS_11silu_kernelIfEEfS3_EELi8ELb0ELi0EEEvPT0_PS2_if
	.p2align	8
	.type	_ZN5aiter18act_and_mul_kernelIfDF16_TnPFfRKT_EXadL_ZNS_11silu_kernelIfEEfS3_EELi8ELb0ELi0EEEvPT0_PS2_if,@function
_ZN5aiter18act_and_mul_kernelIfDF16_TnPFfRKT_EXadL_ZNS_11silu_kernelIfEEfS3_EELi8ELb0ELi0EEEvPT0_PS2_if: ; @_ZN5aiter18act_and_mul_kernelIfDF16_TnPFfRKT_EXadL_ZNS_11silu_kernelIfEEfS3_EELi8ELb0ELi0EEEvPT0_PS2_if
; %bb.0:
	s_load_dword s14, s[0:1], 0x10
	v_lshlrev_b32_e32 v12, 3, v0
	s_waitcnt lgkmcnt(0)
	v_cmp_gt_i32_e32 vcc, s14, v12
	s_and_saveexec_b64 s[4:5], vcc
	s_cbranch_execz .LBB34_3
; %bb.1:
	s_load_dwordx4 s[4:7], s[0:1], 0x0
	s_ashr_i32 s15, s14, 31
	s_mul_hi_u32 s3, s14, s2
	s_mul_i32 s8, s15, s2
	s_add_i32 s3, s3, s8
	s_mul_i32 s2, s14, s2
	s_lshl_b64 s[8:9], s[2:3], 1
	s_lshl_b64 s[2:3], s[2:3], 3
	s_waitcnt lgkmcnt(0)
	s_add_u32 s16, s6, s2
	s_addc_u32 s6, s7, s3
	s_lshl_b64 s[2:3], s[14:15], 2
	s_add_u32 s20, s16, s2
	s_addc_u32 s2, s6, s3
	s_lshl_b32 s18, s14, 2
	s_and_b32 s17, s6, 0xffff
	s_and_b32 s21, s2, 0xffff
	s_add_u32 s24, s4, s8
	s_addc_u32 s2, s5, s9
	s_add_i32 s3, s14, 1
	s_lshr_b32 s4, s3, 31
	s_add_i32 s3, s3, s4
	s_lshl_b32 s3, s3, 1
	s_and_b32 s26, s3, -4
	s_and_b32 s25, s2, 0xffff
	s_mov_b32 s19, 0x20000
	s_add_u32 s28, s0, 24
	s_mov_b32 s27, s19
	v_mov_b32_e32 v13, 0
	s_addc_u32 s29, s1, 0
	s_mov_b64 s[30:31], 0
	s_mov_b32 s35, 0
	s_mov_b32 s22, s18
	;; [unrolled: 1-line block ×6, first 2 shown]
	v_mov_b32_e32 v14, 0x7f800000
.LBB34_2:                               ; =>This Inner Loop Header: Depth=1
	v_lshlrev_b32_e32 v15, 2, v12
	buffer_load_dwordx4 v[16:19], v15, s[16:19], 0 offen
	buffer_load_dwordx4 v[8:11], v15, s[16:19], 16 offen
	;; [unrolled: 1-line block ×4, first 2 shown]
	v_lshlrev_b32_e32 v28, 1, v12
	s_waitcnt vmcnt(3)
	v_mul_f32_e32 v15, 0xbfb8aa3b, v16
	v_mul_f32_e32 v20, 0xbfb8aa3b, v17
	;; [unrolled: 1-line block ×4, first 2 shown]
	s_waitcnt vmcnt(2)
	v_mul_f32_e32 v23, 0xbfb8aa3b, v8
	v_mul_f32_e32 v24, 0xbfb8aa3b, v9
	;; [unrolled: 1-line block ×4, first 2 shown]
	v_fma_f32 v27, v16, s33, -v15
	v_rndne_f32_e32 v29, v15
	v_fma_f32 v30, v17, s33, -v20
	v_rndne_f32_e32 v31, v20
	;; [unrolled: 2-line block ×8, first 2 shown]
	v_fmac_f32_e32 v27, 0xb2a5705f, v16
	v_sub_f32_e32 v15, v15, v29
	v_fmac_f32_e32 v30, 0xb2a5705f, v17
	v_sub_f32_e32 v20, v20, v31
	;; [unrolled: 2-line block ×8, first 2 shown]
	v_add_f32_e32 v15, v15, v27
	v_add_f32_e32 v20, v20, v30
	;; [unrolled: 1-line block ×8, first 2 shown]
	v_cvt_i32_f32_e32 v29, v29
	v_cvt_i32_f32_e32 v31, v31
	;; [unrolled: 1-line block ×8, first 2 shown]
	v_exp_f32_e32 v15, v15
	v_exp_f32_e32 v20, v20
	;; [unrolled: 1-line block ×8, first 2 shown]
	v_ldexp_f32 v15, v15, v29
	v_ldexp_f32 v20, v20, v31
	v_cmp_nlt_f32_e32 vcc, s36, v17
	v_ldexp_f32 v21, v21, v33
	v_cmp_nlt_f32_e64 s[0:1], s36, v18
	v_ldexp_f32 v22, v22, v35
	v_cmp_nlt_f32_e64 s[2:3], s36, v19
	;; [unrolled: 2-line block ×6, first 2 shown]
	v_cmp_nlt_f32_e64 s[12:13], s36, v16
	v_cndmask_b32_e32 v20, 0, v20, vcc
	v_cmp_ngt_f32_e32 vcc, s37, v17
	v_cndmask_b32_e64 v15, 0, v15, s[12:13]
	v_cndmask_b32_e64 v21, 0, v21, s[0:1]
	v_cmp_ngt_f32_e64 s[0:1], s37, v18
	v_cndmask_b32_e64 v22, 0, v22, s[2:3]
	v_cmp_ngt_f32_e64 s[2:3], s37, v19
	;; [unrolled: 2-line block ×6, first 2 shown]
	v_cmp_ngt_f32_e64 s[12:13], s37, v16
	v_cndmask_b32_e32 v20, v14, v20, vcc
	v_cndmask_b32_e64 v21, v14, v21, s[0:1]
	v_cndmask_b32_e64 v15, v14, v15, s[12:13]
	;; [unrolled: 1-line block ×7, first 2 shown]
	v_add_f32_e32 v15, 1.0, v15
	v_add_f32_e32 v27, 1.0, v20
	v_add_f32_e32 v29, 1.0, v21
	v_add_f32_e32 v30, 1.0, v22
	v_add_f32_e32 v31, 1.0, v23
	v_add_f32_e32 v32, 1.0, v24
	v_add_f32_e32 v33, 1.0, v25
	v_add_f32_e32 v34, 1.0, v26
	v_rcp_f32_e32 v20, v15
	v_rcp_f32_e32 v21, v27
	;; [unrolled: 1-line block ×8, first 2 shown]
	v_pk_mul_f32 v[16:17], v[16:17], v[20:21]
	v_pk_mul_f32 v[18:19], v[18:19], v[22:23]
	;; [unrolled: 1-line block ×4, first 2 shown]
	s_waitcnt vmcnt(1)
	;;#ASMSTART
	v_pk_mul_f32 v[4:5], v[16:17], v[4:5]
	;;#ASMEND
	;;#ASMSTART
	v_pk_mul_f32 v[6:7], v[18:19], v[6:7]
	;;#ASMEND
	s_waitcnt vmcnt(0)
	;;#ASMSTART
	v_pk_mul_f32 v[0:1], v[8:9], v[0:1]
	;;#ASMEND
	;;#ASMSTART
	v_pk_mul_f32 v[2:3], v[10:11], v[2:3]
	;;#ASMEND
	s_load_dword s0, s[28:29], 0xc
	v_cvt_f16_f32_e32 v4, v4
	v_cvt_f16_f32_e32 v5, v5
	;; [unrolled: 1-line block ×8, first 2 shown]
	s_waitcnt lgkmcnt(0)
	s_and_b32 s0, s0, 0xffff
	s_lshl_b32 s34, s0, 3
	v_lshl_add_u64 v[12:13], s[34:35], 0, v[12:13]
	v_cmp_le_i64_e32 vcc, s[14:15], v[12:13]
	v_pack_b32_f16 v0, v4, v5
	v_pack_b32_f16 v1, v6, v7
	;; [unrolled: 1-line block ×4, first 2 shown]
	s_or_b64 s[30:31], vcc, s[30:31]
	buffer_store_dwordx4 v[0:3], v28, s[24:27], 0 offen
	s_andn2_b64 exec, exec, s[30:31]
	s_cbranch_execnz .LBB34_2
.LBB34_3:
	s_endpgm
	.section	.rodata,"a",@progbits
	.p2align	6, 0x0
	.amdhsa_kernel _ZN5aiter18act_and_mul_kernelIfDF16_TnPFfRKT_EXadL_ZNS_11silu_kernelIfEEfS3_EELi8ELb0ELi0EEEvPT0_PS2_if
		.amdhsa_group_segment_fixed_size 0
		.amdhsa_private_segment_fixed_size 0
		.amdhsa_kernarg_size 280
		.amdhsa_user_sgpr_count 2
		.amdhsa_user_sgpr_dispatch_ptr 0
		.amdhsa_user_sgpr_queue_ptr 0
		.amdhsa_user_sgpr_kernarg_segment_ptr 1
		.amdhsa_user_sgpr_dispatch_id 0
		.amdhsa_user_sgpr_kernarg_preload_length 0
		.amdhsa_user_sgpr_kernarg_preload_offset 0
		.amdhsa_user_sgpr_private_segment_size 0
		.amdhsa_uses_dynamic_stack 0
		.amdhsa_enable_private_segment 0
		.amdhsa_system_sgpr_workgroup_id_x 1
		.amdhsa_system_sgpr_workgroup_id_y 0
		.amdhsa_system_sgpr_workgroup_id_z 0
		.amdhsa_system_sgpr_workgroup_info 0
		.amdhsa_system_vgpr_workitem_id 0
		.amdhsa_next_free_vgpr 44
		.amdhsa_next_free_sgpr 38
		.amdhsa_accum_offset 44
		.amdhsa_reserve_vcc 1
		.amdhsa_float_round_mode_32 0
		.amdhsa_float_round_mode_16_64 0
		.amdhsa_float_denorm_mode_32 3
		.amdhsa_float_denorm_mode_16_64 3
		.amdhsa_dx10_clamp 1
		.amdhsa_ieee_mode 1
		.amdhsa_fp16_overflow 0
		.amdhsa_tg_split 0
		.amdhsa_exception_fp_ieee_invalid_op 0
		.amdhsa_exception_fp_denorm_src 0
		.amdhsa_exception_fp_ieee_div_zero 0
		.amdhsa_exception_fp_ieee_overflow 0
		.amdhsa_exception_fp_ieee_underflow 0
		.amdhsa_exception_fp_ieee_inexact 0
		.amdhsa_exception_int_div_zero 0
	.end_amdhsa_kernel
	.section	.text._ZN5aiter18act_and_mul_kernelIfDF16_TnPFfRKT_EXadL_ZNS_11silu_kernelIfEEfS3_EELi8ELb0ELi0EEEvPT0_PS2_if,"axG",@progbits,_ZN5aiter18act_and_mul_kernelIfDF16_TnPFfRKT_EXadL_ZNS_11silu_kernelIfEEfS3_EELi8ELb0ELi0EEEvPT0_PS2_if,comdat
.Lfunc_end34:
	.size	_ZN5aiter18act_and_mul_kernelIfDF16_TnPFfRKT_EXadL_ZNS_11silu_kernelIfEEfS3_EELi8ELb0ELi0EEEvPT0_PS2_if, .Lfunc_end34-_ZN5aiter18act_and_mul_kernelIfDF16_TnPFfRKT_EXadL_ZNS_11silu_kernelIfEEfS3_EELi8ELb0ELi0EEEvPT0_PS2_if
                                        ; -- End function
	.section	.AMDGPU.csdata,"",@progbits
; Kernel info:
; codeLenInByte = 1180
; NumSgprs: 44
; NumVgprs: 44
; NumAgprs: 0
; TotalNumVgprs: 44
; ScratchSize: 0
; MemoryBound: 0
; FloatMode: 240
; IeeeMode: 1
; LDSByteSize: 0 bytes/workgroup (compile time only)
; SGPRBlocks: 5
; VGPRBlocks: 5
; NumSGPRsForWavesPerEU: 44
; NumVGPRsForWavesPerEU: 44
; AccumOffset: 44
; Occupancy: 8
; WaveLimiterHint : 0
; COMPUTE_PGM_RSRC2:SCRATCH_EN: 0
; COMPUTE_PGM_RSRC2:USER_SGPR: 2
; COMPUTE_PGM_RSRC2:TRAP_HANDLER: 0
; COMPUTE_PGM_RSRC2:TGID_X_EN: 1
; COMPUTE_PGM_RSRC2:TGID_Y_EN: 0
; COMPUTE_PGM_RSRC2:TGID_Z_EN: 0
; COMPUTE_PGM_RSRC2:TIDIG_COMP_CNT: 0
; COMPUTE_PGM_RSRC3_GFX90A:ACCUM_OFFSET: 10
; COMPUTE_PGM_RSRC3_GFX90A:TG_SPLIT: 0
	.section	.text._ZN5aiter18act_and_mul_kernelIfDF16_TnPFfRKT_EXadL_ZNS_11silu_kernelIfEEfS3_EELi4ELb0ELi0EEEvPT0_PS2_if,"axG",@progbits,_ZN5aiter18act_and_mul_kernelIfDF16_TnPFfRKT_EXadL_ZNS_11silu_kernelIfEEfS3_EELi4ELb0ELi0EEEvPT0_PS2_if,comdat
	.protected	_ZN5aiter18act_and_mul_kernelIfDF16_TnPFfRKT_EXadL_ZNS_11silu_kernelIfEEfS3_EELi4ELb0ELi0EEEvPT0_PS2_if ; -- Begin function _ZN5aiter18act_and_mul_kernelIfDF16_TnPFfRKT_EXadL_ZNS_11silu_kernelIfEEfS3_EELi4ELb0ELi0EEEvPT0_PS2_if
	.globl	_ZN5aiter18act_and_mul_kernelIfDF16_TnPFfRKT_EXadL_ZNS_11silu_kernelIfEEfS3_EELi4ELb0ELi0EEEvPT0_PS2_if
	.p2align	8
	.type	_ZN5aiter18act_and_mul_kernelIfDF16_TnPFfRKT_EXadL_ZNS_11silu_kernelIfEEfS3_EELi4ELb0ELi0EEEvPT0_PS2_if,@function
_ZN5aiter18act_and_mul_kernelIfDF16_TnPFfRKT_EXadL_ZNS_11silu_kernelIfEEfS3_EELi4ELb0ELi0EEEvPT0_PS2_if: ; @_ZN5aiter18act_and_mul_kernelIfDF16_TnPFfRKT_EXadL_ZNS_11silu_kernelIfEEfS3_EELi4ELb0ELi0EEEvPT0_PS2_if
; %bb.0:
	s_load_dword s6, s[0:1], 0x10
	v_lshlrev_b32_e32 v8, 2, v0
	s_waitcnt lgkmcnt(0)
	v_cmp_gt_i32_e32 vcc, s6, v8
	s_and_saveexec_b64 s[4:5], vcc
	s_cbranch_execz .LBB35_3
; %bb.1:
	s_load_dwordx4 s[16:19], s[0:1], 0x0
	s_ashr_i32 s7, s6, 31
	s_mul_hi_u32 s3, s6, s2
	s_mul_i32 s4, s7, s2
	s_add_i32 s3, s3, s4
	s_mul_i32 s2, s6, s2
	s_lshl_b64 s[4:5], s[2:3], 1
	s_lshl_b64 s[2:3], s[2:3], 3
	s_waitcnt lgkmcnt(0)
	s_add_u32 s8, s18, s2
	s_addc_u32 s9, s19, s3
	s_lshl_b64 s[2:3], s[6:7], 2
	s_add_u32 s12, s8, s2
	s_addc_u32 s2, s9, s3
	s_lshl_b32 s10, s6, 2
	s_and_b32 s9, s9, 0xffff
	s_and_b32 s13, s2, 0xffff
	s_add_u32 s16, s16, s4
	s_addc_u32 s2, s17, s5
	s_add_i32 s3, s6, 1
	s_lshr_b32 s4, s3, 31
	s_add_i32 s3, s3, s4
	s_lshl_b32 s3, s3, 1
	s_and_b32 s18, s3, -4
	s_and_b32 s17, s2, 0xffff
	s_mov_b32 s11, 0x20000
	s_add_u32 s20, s0, 24
	s_mov_b32 s19, s11
	v_mov_b32_e32 v9, 0
	s_addc_u32 s21, s1, 0
	s_mov_b64 s[22:23], 0
	s_mov_b32 s25, 0
	s_mov_b32 s14, s10
	;; [unrolled: 1-line block ×6, first 2 shown]
	v_mov_b32_e32 v10, 0x7f800000
.LBB35_2:                               ; =>This Inner Loop Header: Depth=1
	v_lshlrev_b32_e32 v11, 2, v8
	buffer_load_dwordx4 v[0:3], v11, s[8:11], 0 offen
	buffer_load_dwordx4 v[4:7], v11, s[12:15], 0 offen
	v_lshlrev_b32_e32 v11, 1, v8
	s_waitcnt vmcnt(1)
	v_mul_f32_e32 v12, 0xbfb8aa3b, v0
	v_mul_f32_e32 v13, 0xbfb8aa3b, v1
	;; [unrolled: 1-line block ×4, first 2 shown]
	v_fma_f32 v16, v0, s26, -v12
	v_rndne_f32_e32 v17, v12
	v_fma_f32 v18, v1, s26, -v13
	v_rndne_f32_e32 v19, v13
	v_fma_f32 v20, v2, s26, -v14
	v_rndne_f32_e32 v21, v14
	v_fma_f32 v22, v3, s26, -v15
	v_rndne_f32_e32 v23, v15
	v_fmac_f32_e32 v16, 0xb2a5705f, v0
	v_sub_f32_e32 v12, v12, v17
	v_fmac_f32_e32 v18, 0xb2a5705f, v1
	v_sub_f32_e32 v13, v13, v19
	;; [unrolled: 2-line block ×4, first 2 shown]
	v_add_f32_e32 v12, v12, v16
	v_add_f32_e32 v13, v13, v18
	;; [unrolled: 1-line block ×4, first 2 shown]
	v_cvt_i32_f32_e32 v17, v17
	v_cvt_i32_f32_e32 v19, v19
	;; [unrolled: 1-line block ×4, first 2 shown]
	v_exp_f32_e32 v12, v12
	v_exp_f32_e32 v13, v13
	;; [unrolled: 1-line block ×4, first 2 shown]
	v_ldexp_f32 v12, v12, v17
	v_ldexp_f32 v13, v13, v19
	v_cmp_nlt_f32_e32 vcc, s27, v1
	v_ldexp_f32 v14, v14, v21
	v_cmp_nlt_f32_e64 s[0:1], s27, v2
	v_ldexp_f32 v15, v15, v23
	v_cmp_nlt_f32_e64 s[2:3], s27, v3
	v_cmp_nlt_f32_e64 s[4:5], s27, v0
	v_cndmask_b32_e32 v13, 0, v13, vcc
	v_cmp_ngt_f32_e32 vcc, s28, v1
	v_cndmask_b32_e64 v12, 0, v12, s[4:5]
	v_cndmask_b32_e64 v14, 0, v14, s[0:1]
	v_cmp_ngt_f32_e64 s[0:1], s28, v2
	v_cndmask_b32_e64 v15, 0, v15, s[2:3]
	v_cmp_ngt_f32_e64 s[2:3], s28, v3
	v_cmp_ngt_f32_e64 s[4:5], s28, v0
	v_cndmask_b32_e32 v13, v10, v13, vcc
	v_cndmask_b32_e64 v14, v10, v14, s[0:1]
	v_cndmask_b32_e64 v12, v10, v12, s[4:5]
	;; [unrolled: 1-line block ×3, first 2 shown]
	v_add_f32_e32 v12, 1.0, v12
	v_add_f32_e32 v13, 1.0, v13
	;; [unrolled: 1-line block ×4, first 2 shown]
	v_rcp_f32_e32 v12, v12
	v_rcp_f32_e32 v13, v13
	;; [unrolled: 1-line block ×4, first 2 shown]
	v_pk_mul_f32 v[0:1], v[0:1], v[12:13]
	s_waitcnt vmcnt(0)
	;;#ASMSTART
	v_pk_mul_f32 v[0:1], v[0:1], v[4:5]
	;;#ASMEND
	v_pk_mul_f32 v[2:3], v[2:3], v[14:15]
	v_cvt_f16_f32_e32 v0, v0
	;;#ASMSTART
	v_pk_mul_f32 v[2:3], v[2:3], v[6:7]
	;;#ASMEND
	s_load_dword s0, s[20:21], 0xc
	v_cvt_f16_f32_e32 v1, v1
	v_cvt_f16_f32_e32 v2, v2
	;; [unrolled: 1-line block ×3, first 2 shown]
	s_waitcnt lgkmcnt(0)
	s_and_b32 s0, s0, 0xffff
	s_lshl_b32 s24, s0, 2
	v_lshl_add_u64 v[8:9], s[24:25], 0, v[8:9]
	v_cmp_le_i64_e32 vcc, s[6:7], v[8:9]
	v_pack_b32_f16 v0, v0, v1
	v_pack_b32_f16 v1, v2, v3
	s_or_b64 s[22:23], vcc, s[22:23]
	buffer_store_dwordx2 v[0:1], v11, s[16:19], 0 offen
	s_andn2_b64 exec, exec, s[22:23]
	s_cbranch_execnz .LBB35_2
.LBB35_3:
	s_endpgm
	.section	.rodata,"a",@progbits
	.p2align	6, 0x0
	.amdhsa_kernel _ZN5aiter18act_and_mul_kernelIfDF16_TnPFfRKT_EXadL_ZNS_11silu_kernelIfEEfS3_EELi4ELb0ELi0EEEvPT0_PS2_if
		.amdhsa_group_segment_fixed_size 0
		.amdhsa_private_segment_fixed_size 0
		.amdhsa_kernarg_size 280
		.amdhsa_user_sgpr_count 2
		.amdhsa_user_sgpr_dispatch_ptr 0
		.amdhsa_user_sgpr_queue_ptr 0
		.amdhsa_user_sgpr_kernarg_segment_ptr 1
		.amdhsa_user_sgpr_dispatch_id 0
		.amdhsa_user_sgpr_kernarg_preload_length 0
		.amdhsa_user_sgpr_kernarg_preload_offset 0
		.amdhsa_user_sgpr_private_segment_size 0
		.amdhsa_uses_dynamic_stack 0
		.amdhsa_enable_private_segment 0
		.amdhsa_system_sgpr_workgroup_id_x 1
		.amdhsa_system_sgpr_workgroup_id_y 0
		.amdhsa_system_sgpr_workgroup_id_z 0
		.amdhsa_system_sgpr_workgroup_info 0
		.amdhsa_system_vgpr_workitem_id 0
		.amdhsa_next_free_vgpr 24
		.amdhsa_next_free_sgpr 29
		.amdhsa_accum_offset 24
		.amdhsa_reserve_vcc 1
		.amdhsa_float_round_mode_32 0
		.amdhsa_float_round_mode_16_64 0
		.amdhsa_float_denorm_mode_32 3
		.amdhsa_float_denorm_mode_16_64 3
		.amdhsa_dx10_clamp 1
		.amdhsa_ieee_mode 1
		.amdhsa_fp16_overflow 0
		.amdhsa_tg_split 0
		.amdhsa_exception_fp_ieee_invalid_op 0
		.amdhsa_exception_fp_denorm_src 0
		.amdhsa_exception_fp_ieee_div_zero 0
		.amdhsa_exception_fp_ieee_overflow 0
		.amdhsa_exception_fp_ieee_underflow 0
		.amdhsa_exception_fp_ieee_inexact 0
		.amdhsa_exception_int_div_zero 0
	.end_amdhsa_kernel
	.section	.text._ZN5aiter18act_and_mul_kernelIfDF16_TnPFfRKT_EXadL_ZNS_11silu_kernelIfEEfS3_EELi4ELb0ELi0EEEvPT0_PS2_if,"axG",@progbits,_ZN5aiter18act_and_mul_kernelIfDF16_TnPFfRKT_EXadL_ZNS_11silu_kernelIfEEfS3_EELi4ELb0ELi0EEEvPT0_PS2_if,comdat
.Lfunc_end35:
	.size	_ZN5aiter18act_and_mul_kernelIfDF16_TnPFfRKT_EXadL_ZNS_11silu_kernelIfEEfS3_EELi4ELb0ELi0EEEvPT0_PS2_if, .Lfunc_end35-_ZN5aiter18act_and_mul_kernelIfDF16_TnPFfRKT_EXadL_ZNS_11silu_kernelIfEEfS3_EELi4ELb0ELi0EEEvPT0_PS2_if
                                        ; -- End function
	.section	.AMDGPU.csdata,"",@progbits
; Kernel info:
; codeLenInByte = 724
; NumSgprs: 35
; NumVgprs: 24
; NumAgprs: 0
; TotalNumVgprs: 24
; ScratchSize: 0
; MemoryBound: 0
; FloatMode: 240
; IeeeMode: 1
; LDSByteSize: 0 bytes/workgroup (compile time only)
; SGPRBlocks: 4
; VGPRBlocks: 2
; NumSGPRsForWavesPerEU: 35
; NumVGPRsForWavesPerEU: 24
; AccumOffset: 24
; Occupancy: 8
; WaveLimiterHint : 0
; COMPUTE_PGM_RSRC2:SCRATCH_EN: 0
; COMPUTE_PGM_RSRC2:USER_SGPR: 2
; COMPUTE_PGM_RSRC2:TRAP_HANDLER: 0
; COMPUTE_PGM_RSRC2:TGID_X_EN: 1
; COMPUTE_PGM_RSRC2:TGID_Y_EN: 0
; COMPUTE_PGM_RSRC2:TGID_Z_EN: 0
; COMPUTE_PGM_RSRC2:TIDIG_COMP_CNT: 0
; COMPUTE_PGM_RSRC3_GFX90A:ACCUM_OFFSET: 5
; COMPUTE_PGM_RSRC3_GFX90A:TG_SPLIT: 0
	.section	.text._ZN5aiter18act_and_mul_kernelIfDF16_TnPFfRKT_EXadL_ZNS_11silu_kernelIfEEfS3_EELi2ELb0ELi0EEEvPT0_PS2_if,"axG",@progbits,_ZN5aiter18act_and_mul_kernelIfDF16_TnPFfRKT_EXadL_ZNS_11silu_kernelIfEEfS3_EELi2ELb0ELi0EEEvPT0_PS2_if,comdat
	.protected	_ZN5aiter18act_and_mul_kernelIfDF16_TnPFfRKT_EXadL_ZNS_11silu_kernelIfEEfS3_EELi2ELb0ELi0EEEvPT0_PS2_if ; -- Begin function _ZN5aiter18act_and_mul_kernelIfDF16_TnPFfRKT_EXadL_ZNS_11silu_kernelIfEEfS3_EELi2ELb0ELi0EEEvPT0_PS2_if
	.globl	_ZN5aiter18act_and_mul_kernelIfDF16_TnPFfRKT_EXadL_ZNS_11silu_kernelIfEEfS3_EELi2ELb0ELi0EEEvPT0_PS2_if
	.p2align	8
	.type	_ZN5aiter18act_and_mul_kernelIfDF16_TnPFfRKT_EXadL_ZNS_11silu_kernelIfEEfS3_EELi2ELb0ELi0EEEvPT0_PS2_if,@function
_ZN5aiter18act_and_mul_kernelIfDF16_TnPFfRKT_EXadL_ZNS_11silu_kernelIfEEfS3_EELi2ELb0ELi0EEEvPT0_PS2_if: ; @_ZN5aiter18act_and_mul_kernelIfDF16_TnPFfRKT_EXadL_ZNS_11silu_kernelIfEEfS3_EELi2ELb0ELi0EEEvPT0_PS2_if
; %bb.0:
	s_load_dword s16, s[0:1], 0x10
	v_lshlrev_b32_e32 v0, 1, v0
	s_waitcnt lgkmcnt(0)
	v_cmp_gt_i32_e32 vcc, s16, v0
	s_and_saveexec_b64 s[4:5], vcc
	s_cbranch_execz .LBB36_3
; %bb.1:
	s_load_dwordx4 s[12:15], s[0:1], 0x0
	s_ashr_i32 s17, s16, 31
	s_mul_hi_u32 s3, s16, s2
	s_mul_i32 s4, s17, s2
	s_add_i32 s3, s3, s4
	s_mul_i32 s2, s16, s2
	s_lshl_b64 s[10:11], s[2:3], 1
	s_lshl_b64 s[2:3], s[2:3], 3
	s_waitcnt lgkmcnt(0)
	s_add_u32 s4, s14, s2
	s_addc_u32 s5, s15, s3
	s_lshl_b64 s[2:3], s[16:17], 2
	s_add_u32 s8, s4, s2
	s_addc_u32 s2, s5, s3
	s_lshl_b32 s6, s16, 2
	s_and_b32 s5, s5, 0xffff
	s_and_b32 s9, s2, 0xffff
	s_add_u32 s12, s12, s10
	s_addc_u32 s2, s13, s11
	s_add_i32 s3, s16, 1
	s_lshr_b32 s10, s3, 31
	s_add_i32 s3, s3, s10
	s_lshl_b32 s3, s3, 1
	s_and_b32 s14, s3, -4
	s_and_b32 s13, s2, 0xffff
	s_mov_b32 s7, 0x20000
	s_add_u32 s2, s0, 24
	s_mov_b32 s15, s7
	v_mov_b32_e32 v1, 0
	s_addc_u32 s3, s1, 0
	s_mov_b64 s[18:19], 0
	s_mov_b32 s21, 0
	s_mov_b32 s10, s6
	;; [unrolled: 1-line block ×6, first 2 shown]
	v_mov_b32_e32 v2, 0x7f800000
.LBB36_2:                               ; =>This Inner Loop Header: Depth=1
	v_lshlrev_b32_e32 v3, 2, v0
	buffer_load_dwordx2 v[4:5], v3, s[4:7], 0 offen
	buffer_load_dwordx2 v[6:7], v3, s[8:11], 0 offen
	v_lshlrev_b32_e32 v3, 1, v0
	s_waitcnt vmcnt(1)
	v_mul_f32_e32 v8, 0xbfb8aa3b, v5
	v_mul_f32_e32 v9, 0xbfb8aa3b, v4
	v_fma_f32 v10, v5, s22, -v8
	v_rndne_f32_e32 v11, v8
	v_fma_f32 v12, v4, s22, -v9
	v_rndne_f32_e32 v13, v9
	v_fmac_f32_e32 v10, 0xb2a5705f, v5
	v_sub_f32_e32 v8, v8, v11
	v_fmac_f32_e32 v12, 0xb2a5705f, v4
	v_sub_f32_e32 v9, v9, v13
	v_add_f32_e32 v8, v8, v10
	v_add_f32_e32 v9, v9, v12
	v_cvt_i32_f32_e32 v11, v11
	v_cvt_i32_f32_e32 v13, v13
	v_exp_f32_e32 v8, v8
	v_exp_f32_e32 v9, v9
	v_cmp_nlt_f32_e32 vcc, s23, v4
	v_cmp_nlt_f32_e64 s[0:1], s23, v5
	v_ldexp_f32 v8, v8, v11
	v_ldexp_f32 v9, v9, v13
	v_cndmask_b32_e64 v8, 0, v8, s[0:1]
	v_cndmask_b32_e32 v9, 0, v9, vcc
	v_cmp_ngt_f32_e32 vcc, s24, v4
	v_cmp_ngt_f32_e64 s[0:1], s24, v5
	s_nop 0
	v_cndmask_b32_e32 v9, v2, v9, vcc
	v_cndmask_b32_e64 v8, v2, v8, s[0:1]
	v_add_f32_e32 v8, 1.0, v8
	v_add_f32_e32 v10, 1.0, v9
	v_rcp_f32_e32 v9, v8
	v_rcp_f32_e32 v8, v10
	s_nop 0
	v_pk_mul_f32 v[4:5], v[8:9], v[4:5]
	s_waitcnt vmcnt(0)
	;;#ASMSTART
	v_pk_mul_f32 v[4:5], v[4:5], v[6:7]
	;;#ASMEND
	s_load_dword s0, s[2:3], 0xc
	v_cvt_f16_f32_e32 v4, v4
	v_cvt_f16_f32_e32 v5, v5
	s_waitcnt lgkmcnt(0)
	s_and_b32 s0, s0, 0xffff
	s_lshl_b32 s20, s0, 1
	v_lshl_add_u64 v[0:1], s[20:21], 0, v[0:1]
	v_cmp_le_i64_e32 vcc, s[16:17], v[0:1]
	v_pack_b32_f16 v4, v4, v5
	s_or_b64 s[18:19], vcc, s[18:19]
	buffer_store_dword v4, v3, s[12:15], 0 offen
	s_andn2_b64 exec, exec, s[18:19]
	s_cbranch_execnz .LBB36_2
.LBB36_3:
	s_endpgm
	.section	.rodata,"a",@progbits
	.p2align	6, 0x0
	.amdhsa_kernel _ZN5aiter18act_and_mul_kernelIfDF16_TnPFfRKT_EXadL_ZNS_11silu_kernelIfEEfS3_EELi2ELb0ELi0EEEvPT0_PS2_if
		.amdhsa_group_segment_fixed_size 0
		.amdhsa_private_segment_fixed_size 0
		.amdhsa_kernarg_size 280
		.amdhsa_user_sgpr_count 2
		.amdhsa_user_sgpr_dispatch_ptr 0
		.amdhsa_user_sgpr_queue_ptr 0
		.amdhsa_user_sgpr_kernarg_segment_ptr 1
		.amdhsa_user_sgpr_dispatch_id 0
		.amdhsa_user_sgpr_kernarg_preload_length 0
		.amdhsa_user_sgpr_kernarg_preload_offset 0
		.amdhsa_user_sgpr_private_segment_size 0
		.amdhsa_uses_dynamic_stack 0
		.amdhsa_enable_private_segment 0
		.amdhsa_system_sgpr_workgroup_id_x 1
		.amdhsa_system_sgpr_workgroup_id_y 0
		.amdhsa_system_sgpr_workgroup_id_z 0
		.amdhsa_system_sgpr_workgroup_info 0
		.amdhsa_system_vgpr_workitem_id 0
		.amdhsa_next_free_vgpr 14
		.amdhsa_next_free_sgpr 25
		.amdhsa_accum_offset 16
		.amdhsa_reserve_vcc 1
		.amdhsa_float_round_mode_32 0
		.amdhsa_float_round_mode_16_64 0
		.amdhsa_float_denorm_mode_32 3
		.amdhsa_float_denorm_mode_16_64 3
		.amdhsa_dx10_clamp 1
		.amdhsa_ieee_mode 1
		.amdhsa_fp16_overflow 0
		.amdhsa_tg_split 0
		.amdhsa_exception_fp_ieee_invalid_op 0
		.amdhsa_exception_fp_denorm_src 0
		.amdhsa_exception_fp_ieee_div_zero 0
		.amdhsa_exception_fp_ieee_overflow 0
		.amdhsa_exception_fp_ieee_underflow 0
		.amdhsa_exception_fp_ieee_inexact 0
		.amdhsa_exception_int_div_zero 0
	.end_amdhsa_kernel
	.section	.text._ZN5aiter18act_and_mul_kernelIfDF16_TnPFfRKT_EXadL_ZNS_11silu_kernelIfEEfS3_EELi2ELb0ELi0EEEvPT0_PS2_if,"axG",@progbits,_ZN5aiter18act_and_mul_kernelIfDF16_TnPFfRKT_EXadL_ZNS_11silu_kernelIfEEfS3_EELi2ELb0ELi0EEEvPT0_PS2_if,comdat
.Lfunc_end36:
	.size	_ZN5aiter18act_and_mul_kernelIfDF16_TnPFfRKT_EXadL_ZNS_11silu_kernelIfEEfS3_EELi2ELb0ELi0EEEvPT0_PS2_if, .Lfunc_end36-_ZN5aiter18act_and_mul_kernelIfDF16_TnPFfRKT_EXadL_ZNS_11silu_kernelIfEEfS3_EELi2ELb0ELi0EEEvPT0_PS2_if
                                        ; -- End function
	.section	.AMDGPU.csdata,"",@progbits
; Kernel info:
; codeLenInByte = 516
; NumSgprs: 31
; NumVgprs: 14
; NumAgprs: 0
; TotalNumVgprs: 14
; ScratchSize: 0
; MemoryBound: 0
; FloatMode: 240
; IeeeMode: 1
; LDSByteSize: 0 bytes/workgroup (compile time only)
; SGPRBlocks: 3
; VGPRBlocks: 1
; NumSGPRsForWavesPerEU: 31
; NumVGPRsForWavesPerEU: 14
; AccumOffset: 16
; Occupancy: 8
; WaveLimiterHint : 0
; COMPUTE_PGM_RSRC2:SCRATCH_EN: 0
; COMPUTE_PGM_RSRC2:USER_SGPR: 2
; COMPUTE_PGM_RSRC2:TRAP_HANDLER: 0
; COMPUTE_PGM_RSRC2:TGID_X_EN: 1
; COMPUTE_PGM_RSRC2:TGID_Y_EN: 0
; COMPUTE_PGM_RSRC2:TGID_Z_EN: 0
; COMPUTE_PGM_RSRC2:TIDIG_COMP_CNT: 0
; COMPUTE_PGM_RSRC3_GFX90A:ACCUM_OFFSET: 3
; COMPUTE_PGM_RSRC3_GFX90A:TG_SPLIT: 0
	.section	.text._ZN5aiter18act_and_mul_kernelIfDF16_TnPFfRKT_EXadL_ZNS_11silu_kernelIfEEfS3_EELi1ELb0ELi0EEEvPT0_PS2_if,"axG",@progbits,_ZN5aiter18act_and_mul_kernelIfDF16_TnPFfRKT_EXadL_ZNS_11silu_kernelIfEEfS3_EELi1ELb0ELi0EEEvPT0_PS2_if,comdat
	.protected	_ZN5aiter18act_and_mul_kernelIfDF16_TnPFfRKT_EXadL_ZNS_11silu_kernelIfEEfS3_EELi1ELb0ELi0EEEvPT0_PS2_if ; -- Begin function _ZN5aiter18act_and_mul_kernelIfDF16_TnPFfRKT_EXadL_ZNS_11silu_kernelIfEEfS3_EELi1ELb0ELi0EEEvPT0_PS2_if
	.globl	_ZN5aiter18act_and_mul_kernelIfDF16_TnPFfRKT_EXadL_ZNS_11silu_kernelIfEEfS3_EELi1ELb0ELi0EEEvPT0_PS2_if
	.p2align	8
	.type	_ZN5aiter18act_and_mul_kernelIfDF16_TnPFfRKT_EXadL_ZNS_11silu_kernelIfEEfS3_EELi1ELb0ELi0EEEvPT0_PS2_if,@function
_ZN5aiter18act_and_mul_kernelIfDF16_TnPFfRKT_EXadL_ZNS_11silu_kernelIfEEfS3_EELi1ELb0ELi0EEEvPT0_PS2_if: ; @_ZN5aiter18act_and_mul_kernelIfDF16_TnPFfRKT_EXadL_ZNS_11silu_kernelIfEEfS3_EELi1ELb0ELi0EEEvPT0_PS2_if
; %bb.0:
	s_load_dword s12, s[0:1], 0x10
	s_waitcnt lgkmcnt(0)
	v_cmp_gt_i32_e32 vcc, s12, v0
	s_and_saveexec_b64 s[4:5], vcc
	s_cbranch_execz .LBB37_3
; %bb.1:
	s_load_dwordx4 s[8:11], s[0:1], 0x0
	s_load_dword s14, s[0:1], 0x24
	s_ashr_i32 s13, s12, 31
	s_mul_hi_u32 s3, s12, s2
	s_mul_i32 s4, s13, s2
	s_add_i32 s3, s3, s4
	s_mul_i32 s2, s12, s2
	s_lshl_b64 s[6:7], s[2:3], 1
	s_lshl_b64 s[2:3], s[2:3], 3
	s_waitcnt lgkmcnt(0)
	s_add_u32 s0, s10, s2
	s_addc_u32 s1, s11, s3
	s_lshl_b64 s[2:3], s[12:13], 2
	s_add_u32 s4, s0, s2
	s_addc_u32 s5, s1, s3
	s_lshl_b32 s2, s12, 2
	s_and_b32 s1, s1, 0xffff
	s_and_b32 s5, s5, 0xffff
	s_add_u32 s8, s8, s6
	s_addc_u32 s6, s9, s7
	s_add_i32 s7, s12, 1
	s_lshr_b32 s9, s7, 31
	s_add_i32 s7, s7, s9
	s_mov_b32 s3, 0x20000
	s_lshl_b32 s7, s7, 1
	s_and_b32 s14, s14, 0xffff
	s_and_b32 s10, s7, -4
	s_and_b32 s9, s6, 0xffff
	s_mov_b32 s11, s3
	s_mov_b32 s15, 0
	v_mov_b32_e32 v1, 0
	v_lshlrev_b32_e32 v2, 1, v0
	s_lshl_b32 s18, s14, 1
	v_lshlrev_b32_e32 v3, 2, v0
	s_lshl_b32 s19, s14, 2
	s_mov_b64 s[16:17], 0
	s_mov_b32 s6, s2
	s_mov_b32 s7, s3
	;; [unrolled: 1-line block ×5, first 2 shown]
	v_mov_b32_e32 v4, 0x7f800000
.LBB37_2:                               ; =>This Inner Loop Header: Depth=1
	buffer_load_dword v5, v3, s[0:3], 0 offen
	buffer_load_dword v6, v3, s[4:7], 0 offen
	v_lshl_add_u64 v[0:1], v[0:1], 0, s[14:15]
	v_add_u32_e32 v3, s19, v3
	s_waitcnt vmcnt(1)
	v_mul_f32_e32 v7, 0xbfb8aa3b, v5
	v_fma_f32 v8, v5, s20, -v7
	v_rndne_f32_e32 v9, v7
	v_fmac_f32_e32 v8, 0xb2a5705f, v5
	v_sub_f32_e32 v7, v7, v9
	v_add_f32_e32 v7, v7, v8
	v_cvt_i32_f32_e32 v9, v9
	v_exp_f32_e32 v7, v7
	v_cmp_nlt_f32_e32 vcc, s21, v5
	v_ldexp_f32 v7, v7, v9
	s_nop 0
	v_cndmask_b32_e32 v7, 0, v7, vcc
	v_cmp_ngt_f32_e32 vcc, s22, v5
	s_nop 1
	v_cndmask_b32_e32 v7, v4, v7, vcc
	v_add_f32_e32 v7, 1.0, v7
	v_rcp_f32_e32 v7, v7
	v_cmp_le_i64_e32 vcc, s[12:13], v[0:1]
	s_or_b64 s[16:17], vcc, s[16:17]
	v_mul_f32_e32 v5, v7, v5
	s_waitcnt vmcnt(0)
	v_fma_mixlo_f16 v5, v5, v6, 0
	buffer_store_short v5, v2, s[8:11], 0 offen
	v_add_u32_e32 v2, s18, v2
	s_andn2_b64 exec, exec, s[16:17]
	s_cbranch_execnz .LBB37_2
.LBB37_3:
	s_endpgm
	.section	.rodata,"a",@progbits
	.p2align	6, 0x0
	.amdhsa_kernel _ZN5aiter18act_and_mul_kernelIfDF16_TnPFfRKT_EXadL_ZNS_11silu_kernelIfEEfS3_EELi1ELb0ELi0EEEvPT0_PS2_if
		.amdhsa_group_segment_fixed_size 0
		.amdhsa_private_segment_fixed_size 0
		.amdhsa_kernarg_size 280
		.amdhsa_user_sgpr_count 2
		.amdhsa_user_sgpr_dispatch_ptr 0
		.amdhsa_user_sgpr_queue_ptr 0
		.amdhsa_user_sgpr_kernarg_segment_ptr 1
		.amdhsa_user_sgpr_dispatch_id 0
		.amdhsa_user_sgpr_kernarg_preload_length 0
		.amdhsa_user_sgpr_kernarg_preload_offset 0
		.amdhsa_user_sgpr_private_segment_size 0
		.amdhsa_uses_dynamic_stack 0
		.amdhsa_enable_private_segment 0
		.amdhsa_system_sgpr_workgroup_id_x 1
		.amdhsa_system_sgpr_workgroup_id_y 0
		.amdhsa_system_sgpr_workgroup_id_z 0
		.amdhsa_system_sgpr_workgroup_info 0
		.amdhsa_system_vgpr_workitem_id 0
		.amdhsa_next_free_vgpr 10
		.amdhsa_next_free_sgpr 23
		.amdhsa_accum_offset 12
		.amdhsa_reserve_vcc 1
		.amdhsa_float_round_mode_32 0
		.amdhsa_float_round_mode_16_64 0
		.amdhsa_float_denorm_mode_32 3
		.amdhsa_float_denorm_mode_16_64 3
		.amdhsa_dx10_clamp 1
		.amdhsa_ieee_mode 1
		.amdhsa_fp16_overflow 0
		.amdhsa_tg_split 0
		.amdhsa_exception_fp_ieee_invalid_op 0
		.amdhsa_exception_fp_denorm_src 0
		.amdhsa_exception_fp_ieee_div_zero 0
		.amdhsa_exception_fp_ieee_overflow 0
		.amdhsa_exception_fp_ieee_underflow 0
		.amdhsa_exception_fp_ieee_inexact 0
		.amdhsa_exception_int_div_zero 0
	.end_amdhsa_kernel
	.section	.text._ZN5aiter18act_and_mul_kernelIfDF16_TnPFfRKT_EXadL_ZNS_11silu_kernelIfEEfS3_EELi1ELb0ELi0EEEvPT0_PS2_if,"axG",@progbits,_ZN5aiter18act_and_mul_kernelIfDF16_TnPFfRKT_EXadL_ZNS_11silu_kernelIfEEfS3_EELi1ELb0ELi0EEEvPT0_PS2_if,comdat
.Lfunc_end37:
	.size	_ZN5aiter18act_and_mul_kernelIfDF16_TnPFfRKT_EXadL_ZNS_11silu_kernelIfEEfS3_EELi1ELb0ELi0EEEvPT0_PS2_if, .Lfunc_end37-_ZN5aiter18act_and_mul_kernelIfDF16_TnPFfRKT_EXadL_ZNS_11silu_kernelIfEEfS3_EELi1ELb0ELi0EEEvPT0_PS2_if
                                        ; -- End function
	.section	.AMDGPU.csdata,"",@progbits
; Kernel info:
; codeLenInByte = 400
; NumSgprs: 29
; NumVgprs: 10
; NumAgprs: 0
; TotalNumVgprs: 10
; ScratchSize: 0
; MemoryBound: 0
; FloatMode: 240
; IeeeMode: 1
; LDSByteSize: 0 bytes/workgroup (compile time only)
; SGPRBlocks: 3
; VGPRBlocks: 1
; NumSGPRsForWavesPerEU: 29
; NumVGPRsForWavesPerEU: 10
; AccumOffset: 12
; Occupancy: 8
; WaveLimiterHint : 0
; COMPUTE_PGM_RSRC2:SCRATCH_EN: 0
; COMPUTE_PGM_RSRC2:USER_SGPR: 2
; COMPUTE_PGM_RSRC2:TRAP_HANDLER: 0
; COMPUTE_PGM_RSRC2:TGID_X_EN: 1
; COMPUTE_PGM_RSRC2:TGID_Y_EN: 0
; COMPUTE_PGM_RSRC2:TGID_Z_EN: 0
; COMPUTE_PGM_RSRC2:TIDIG_COMP_CNT: 0
; COMPUTE_PGM_RSRC3_GFX90A:ACCUM_OFFSET: 2
; COMPUTE_PGM_RSRC3_GFX90A:TG_SPLIT: 0
	.section	.text._ZN5aiter18act_and_mul_kernelIffTnPFfRKT_EXadL_ZNS_11silu_kernelIfEEfS3_EELi16ELb0ELi0EEEvPT0_PS2_if,"axG",@progbits,_ZN5aiter18act_and_mul_kernelIffTnPFfRKT_EXadL_ZNS_11silu_kernelIfEEfS3_EELi16ELb0ELi0EEEvPT0_PS2_if,comdat
	.protected	_ZN5aiter18act_and_mul_kernelIffTnPFfRKT_EXadL_ZNS_11silu_kernelIfEEfS3_EELi16ELb0ELi0EEEvPT0_PS2_if ; -- Begin function _ZN5aiter18act_and_mul_kernelIffTnPFfRKT_EXadL_ZNS_11silu_kernelIfEEfS3_EELi16ELb0ELi0EEEvPT0_PS2_if
	.globl	_ZN5aiter18act_and_mul_kernelIffTnPFfRKT_EXadL_ZNS_11silu_kernelIfEEfS3_EELi16ELb0ELi0EEEvPT0_PS2_if
	.p2align	8
	.type	_ZN5aiter18act_and_mul_kernelIffTnPFfRKT_EXadL_ZNS_11silu_kernelIfEEfS3_EELi16ELb0ELi0EEEvPT0_PS2_if,@function
_ZN5aiter18act_and_mul_kernelIffTnPFfRKT_EXadL_ZNS_11silu_kernelIfEEfS3_EELi16ELb0ELi0EEEvPT0_PS2_if: ; @_ZN5aiter18act_and_mul_kernelIffTnPFfRKT_EXadL_ZNS_11silu_kernelIfEEfS3_EELi16ELb0ELi0EEEvPT0_PS2_if
; %bb.0:
	s_load_dword s30, s[0:1], 0x10
	v_lshlrev_b32_e32 v32, 4, v0
	s_waitcnt lgkmcnt(0)
	v_cmp_gt_i32_e32 vcc, s30, v32
	s_and_saveexec_b64 s[4:5], vcc
	s_cbranch_execz .LBB38_3
; %bb.1:
	s_load_dwordx4 s[4:7], s[0:1], 0x0
	s_ashr_i32 s31, s30, 31
	s_mul_hi_u32 s3, s30, s2
	s_mul_i32 s8, s31, s2
	s_add_i32 s3, s3, s8
	s_mul_i32 s2, s30, s2
	s_lshl_b64 s[8:9], s[2:3], 3
	s_waitcnt lgkmcnt(0)
	s_add_u32 s36, s6, s8
	s_addc_u32 s8, s7, s9
	s_lshl_b64 s[6:7], s[30:31], 2
	s_add_u32 s40, s36, s6
	s_addc_u32 s6, s8, s7
	s_lshl_b32 s38, s30, 2
	s_and_b32 s37, s8, 0xffff
	s_and_b32 s41, s6, 0xffff
	s_lshl_b64 s[2:3], s[2:3], 2
	s_add_u32 s44, s4, s2
	s_addc_u32 s2, s5, s3
	s_and_b32 s45, s2, 0xffff
	s_mov_b32 s39, 0x20000
	s_add_u32 s34, s0, 24
	v_mov_b32_e32 v33, 0
	s_addc_u32 s35, s1, 0
	s_mov_b64 s[48:49], 0
	s_mov_b32 s51, 0
	s_mov_b32 s42, s38
	s_mov_b32 s43, s39
	s_mov_b32 s33, 0xbfb8aa3b
	s_mov_b32 s52, 0x42ce8ed0
	s_mov_b32 s53, 0xc2b17218
	v_mov_b32_e32 v34, 0x7f800000
	s_mov_b32 s46, s38
	s_mov_b32 s47, s39
.LBB38_2:                               ; =>This Inner Loop Header: Depth=1
	v_lshlrev_b32_e32 v35, 2, v32
	buffer_load_dwordx4 v[4:7], v35, s[36:39], 0 offen
	buffer_load_dwordx4 v[12:15], v35, s[36:39], 16 offen
	;; [unrolled: 1-line block ×5, first 2 shown]
	s_waitcnt vmcnt(4)
	v_mul_f32_e32 v21, 0xbfb8aa3b, v5
	v_mul_f32_e32 v20, 0xbfb8aa3b, v4
	;; [unrolled: 1-line block ×4, first 2 shown]
	v_fma_f32 v42, v5, s33, -v21
	v_rndne_f32_e32 v43, v21
	s_waitcnt vmcnt(3)
	v_mul_f32_e32 v24, 0xbfb8aa3b, v12
	v_mul_f32_e32 v25, 0xbfb8aa3b, v13
	;; [unrolled: 1-line block ×3, first 2 shown]
	s_waitcnt vmcnt(2)
	v_mul_f32_e32 v29, 0xbfb8aa3b, v17
	v_fma_f32 v40, v4, s33, -v20
	v_rndne_f32_e32 v41, v20
	v_rndne_f32_e32 v45, v22
	v_fma_f32 v46, v7, s33, -v23
	v_rndne_f32_e32 v47, v23
	v_fmac_f32_e32 v42, 0xb2a5705f, v5
	v_sub_f32_e32 v21, v21, v43
	v_mul_f32_e32 v26, 0xbfb8aa3b, v14
	v_mul_f32_e32 v28, 0xbfb8aa3b, v16
	;; [unrolled: 1-line block ×3, first 2 shown]
	v_fma_f32 v44, v6, s33, -v22
	v_rndne_f32_e32 v49, v24
	v_fma_f32 v50, v13, s33, -v25
	v_rndne_f32_e32 v51, v25
	v_fma_f32 v54, v15, s33, -v27
	v_rndne_f32_e32 v55, v27
	v_fma_f32 v58, v17, s33, -v29
	v_rndne_f32_e32 v59, v29
	v_fmac_f32_e32 v40, 0xb2a5705f, v4
	v_sub_f32_e32 v20, v20, v41
	v_add_f32_e32 v42, v21, v42
	v_sub_f32_e32 v21, v22, v45
	v_fmac_f32_e32 v46, 0xb2a5705f, v7
	v_sub_f32_e32 v22, v23, v47
	v_mul_f32_e32 v31, 0xbfb8aa3b, v19
	v_fma_f32 v48, v12, s33, -v24
	v_fma_f32 v52, v14, s33, -v26
	v_rndne_f32_e32 v53, v26
	v_fma_f32 v56, v16, s33, -v28
	v_rndne_f32_e32 v57, v28
	v_add_f32_e32 v40, v20, v40
	v_fma_f32 v20, v18, s33, -v30
	v_rndne_f32_e32 v60, v30
	v_fmac_f32_e32 v44, 0xb2a5705f, v6
	v_add_f32_e32 v46, v22, v46
	v_sub_f32_e32 v22, v24, v49
	v_fmac_f32_e32 v50, 0xb2a5705f, v13
	v_sub_f32_e32 v23, v25, v51
	v_fmac_f32_e32 v54, 0xb2a5705f, v15
	;; [unrolled: 2-line block ×3, first 2 shown]
	v_sub_f32_e32 v25, v29, v59
	s_waitcnt vmcnt(1)
	v_mul_f32_e32 v37, 0xbfb8aa3b, v1
	v_mul_f32_e32 v38, 0xbfb8aa3b, v2
	;; [unrolled: 1-line block ×3, first 2 shown]
	v_add_f32_e32 v44, v21, v44
	v_fma_f32 v21, v19, s33, -v31
	v_rndne_f32_e32 v61, v31
	v_add_f32_e32 v50, v23, v50
	v_fmac_f32_e32 v52, 0xb2a5705f, v14
	v_sub_f32_e32 v23, v26, v53
	v_add_f32_e32 v54, v24, v54
	v_fmac_f32_e32 v56, 0xb2a5705f, v16
	v_sub_f32_e32 v24, v28, v57
	;; [unrolled: 3-line block ×3, first 2 shown]
	v_add_f32_e32 v52, v23, v52
	v_fma_f32 v23, v1, s33, -v37
	v_rndne_f32_e32 v63, v37
	v_add_f32_e32 v56, v24, v56
	v_fma_f32 v24, v2, s33, -v38
	v_rndne_f32_e32 v64, v38
	v_add_f32_e32 v65, v25, v20
	v_fma_f32 v20, v3, s33, -v39
	v_fmac_f32_e32 v21, 0xb2a5705f, v19
	v_sub_f32_e32 v25, v31, v61
	v_rndne_f32_e32 v67, v39
	v_add_f32_e32 v66, v25, v21
	v_fmac_f32_e32 v23, 0xb2a5705f, v1
	v_sub_f32_e32 v25, v37, v63
	v_fmac_f32_e32 v24, 0xb2a5705f, v2
	v_sub_f32_e32 v26, v38, v64
	;; [unrolled: 2-line block ×3, first 2 shown]
	v_add_f32_e32 v37, v25, v23
	v_add_f32_e32 v38, v26, v24
	;; [unrolled: 1-line block ×3, first 2 shown]
	v_cvt_i32_f32_e32 v24, v41
	v_cvt_i32_f32_e32 v25, v43
	;; [unrolled: 1-line block ×4, first 2 shown]
	v_exp_f32_e32 v28, v40
	v_exp_f32_e32 v29, v42
	;; [unrolled: 1-line block ×4, first 2 shown]
	v_mul_f32_e32 v36, 0xbfb8aa3b, v0
	v_fmac_f32_e32 v48, 0xb2a5705f, v12
	v_add_f32_e32 v48, v22, v48
	v_fma_f32 v22, v0, s33, -v36
	v_rndne_f32_e32 v62, v36
	v_fmac_f32_e32 v22, 0xb2a5705f, v0
	v_sub_f32_e32 v21, v36, v62
	v_add_f32_e32 v36, v21, v22
	v_ldexp_f32 v40, v28, v24
	v_ldexp_f32 v41, v29, v25
	;; [unrolled: 1-line block ×4, first 2 shown]
	v_cvt_i32_f32_e32 v28, v49
	v_cvt_i32_f32_e32 v29, v51
	v_cvt_i32_f32_e32 v30, v53
	v_cvt_i32_f32_e32 v31, v55
	v_exp_f32_e32 v44, v48
	v_exp_f32_e32 v45, v50
	;; [unrolled: 1-line block ×4, first 2 shown]
	v_cvt_i32_f32_e32 v48, v57
	v_cvt_i32_f32_e32 v49, v59
	;; [unrolled: 1-line block ×8, first 2 shown]
	v_exp_f32_e32 v56, v56
	v_exp_f32_e32 v57, v58
	;; [unrolled: 1-line block ×8, first 2 shown]
	v_ldexp_f32 v44, v44, v28
	v_ldexp_f32 v45, v45, v29
	;; [unrolled: 1-line block ×4, first 2 shown]
	v_cmp_nlt_f32_e32 vcc, s52, v5
	v_cmp_nlt_f32_e64 s[0:1], s52, v6
	v_cmp_nlt_f32_e64 s[2:3], s52, v7
	;; [unrolled: 1-line block ×7, first 2 shown]
	v_ldexp_f32 v48, v56, v48
	v_cmp_nlt_f32_e64 s[12:13], s52, v16
	v_ldexp_f32 v49, v57, v49
	v_cmp_nlt_f32_e64 s[14:15], s52, v17
	;; [unrolled: 2-line block ×8, first 2 shown]
	v_cndmask_b32_e64 v40, 0, v40, s[28:29]
	v_cndmask_b32_e32 v41, 0, v41, vcc
	v_cmp_ngt_f32_e32 vcc, s53, v5
	v_cndmask_b32_e64 v42, 0, v42, s[0:1]
	v_cmp_ngt_f32_e64 s[0:1], s53, v6
	v_cndmask_b32_e64 v43, 0, v43, s[2:3]
	v_cmp_ngt_f32_e64 s[2:3], s53, v7
	;; [unrolled: 2-line block ×6, first 2 shown]
	v_cmp_ngt_f32_e64 s[28:29], s53, v4
	v_cndmask_b32_e64 v48, 0, v48, s[12:13]
	v_cmp_ngt_f32_e64 s[12:13], s53, v16
	v_cndmask_b32_e64 v49, 0, v49, s[14:15]
	;; [unrolled: 2-line block ×9, first 2 shown]
	v_cndmask_b32_e32 v41, v34, v41, vcc
	v_cndmask_b32_e64 v42, v34, v42, s[0:1]
	v_cndmask_b32_e64 v43, v34, v43, s[2:3]
	;; [unrolled: 1-line block ×14, first 2 shown]
	v_add_f32_e32 v40, 1.0, v40
	v_add_f32_e32 v41, 1.0, v41
	;; [unrolled: 1-line block ×16, first 2 shown]
	v_rcp_f32_e32 v36, v40
	v_rcp_f32_e32 v37, v41
	;; [unrolled: 1-line block ×16, first 2 shown]
	v_pk_mul_f32 v[4:5], v[4:5], v[36:37]
	v_pk_mul_f32 v[6:7], v[6:7], v[38:39]
	;; [unrolled: 1-line block ×4, first 2 shown]
	buffer_load_dwordx4 v[20:23], v35, s[40:43], 16 offen
	buffer_load_dwordx4 v[24:27], v35, s[40:43], 32 offen
	;; [unrolled: 1-line block ×3, first 2 shown]
	v_pk_mul_f32 v[16:17], v[16:17], v[44:45]
	v_pk_mul_f32 v[18:19], v[18:19], v[46:47]
	;; [unrolled: 1-line block ×4, first 2 shown]
	s_waitcnt vmcnt(3)
	;;#ASMSTART
	v_pk_mul_f32 v[0:1], v[4:5], v[8:9]
	;;#ASMEND
	;;#ASMSTART
	v_pk_mul_f32 v[2:3], v[6:7], v[10:11]
	;;#ASMEND
	s_waitcnt vmcnt(2)
	;;#ASMSTART
	v_pk_mul_f32 v[4:5], v[12:13], v[20:21]
	;;#ASMEND
	;;#ASMSTART
	v_pk_mul_f32 v[6:7], v[14:15], v[22:23]
	;;#ASMEND
	;; [unrolled: 7-line block ×4, first 2 shown]
	s_load_dword s0, s[34:35], 0xc
	buffer_store_dwordx4 v[0:3], v35, s[44:47], 0 offen
	buffer_store_dwordx4 v[4:7], v35, s[44:47], 16 offen
	;; [unrolled: 1-line block ×4, first 2 shown]
	s_waitcnt lgkmcnt(0)
	s_and_b32 s0, s0, 0xffff
	s_lshl_b32 s50, s0, 4
	v_lshl_add_u64 v[32:33], s[50:51], 0, v[32:33]
	v_cmp_le_i64_e32 vcc, s[30:31], v[32:33]
	s_or_b64 s[48:49], vcc, s[48:49]
	s_andn2_b64 exec, exec, s[48:49]
	s_cbranch_execnz .LBB38_2
.LBB38_3:
	s_endpgm
	.section	.rodata,"a",@progbits
	.p2align	6, 0x0
	.amdhsa_kernel _ZN5aiter18act_and_mul_kernelIffTnPFfRKT_EXadL_ZNS_11silu_kernelIfEEfS3_EELi16ELb0ELi0EEEvPT0_PS2_if
		.amdhsa_group_segment_fixed_size 0
		.amdhsa_private_segment_fixed_size 0
		.amdhsa_kernarg_size 280
		.amdhsa_user_sgpr_count 2
		.amdhsa_user_sgpr_dispatch_ptr 0
		.amdhsa_user_sgpr_queue_ptr 0
		.amdhsa_user_sgpr_kernarg_segment_ptr 1
		.amdhsa_user_sgpr_dispatch_id 0
		.amdhsa_user_sgpr_kernarg_preload_length 0
		.amdhsa_user_sgpr_kernarg_preload_offset 0
		.amdhsa_user_sgpr_private_segment_size 0
		.amdhsa_uses_dynamic_stack 0
		.amdhsa_enable_private_segment 0
		.amdhsa_system_sgpr_workgroup_id_x 1
		.amdhsa_system_sgpr_workgroup_id_y 0
		.amdhsa_system_sgpr_workgroup_id_z 0
		.amdhsa_system_sgpr_workgroup_info 0
		.amdhsa_system_vgpr_workitem_id 0
		.amdhsa_next_free_vgpr 68
		.amdhsa_next_free_sgpr 54
		.amdhsa_accum_offset 68
		.amdhsa_reserve_vcc 1
		.amdhsa_float_round_mode_32 0
		.amdhsa_float_round_mode_16_64 0
		.amdhsa_float_denorm_mode_32 3
		.amdhsa_float_denorm_mode_16_64 3
		.amdhsa_dx10_clamp 1
		.amdhsa_ieee_mode 1
		.amdhsa_fp16_overflow 0
		.amdhsa_tg_split 0
		.amdhsa_exception_fp_ieee_invalid_op 0
		.amdhsa_exception_fp_denorm_src 0
		.amdhsa_exception_fp_ieee_div_zero 0
		.amdhsa_exception_fp_ieee_overflow 0
		.amdhsa_exception_fp_ieee_underflow 0
		.amdhsa_exception_fp_ieee_inexact 0
		.amdhsa_exception_int_div_zero 0
	.end_amdhsa_kernel
	.section	.text._ZN5aiter18act_and_mul_kernelIffTnPFfRKT_EXadL_ZNS_11silu_kernelIfEEfS3_EELi16ELb0ELi0EEEvPT0_PS2_if,"axG",@progbits,_ZN5aiter18act_and_mul_kernelIffTnPFfRKT_EXadL_ZNS_11silu_kernelIfEEfS3_EELi16ELb0ELi0EEEvPT0_PS2_if,comdat
.Lfunc_end38:
	.size	_ZN5aiter18act_and_mul_kernelIffTnPFfRKT_EXadL_ZNS_11silu_kernelIfEEfS3_EELi16ELb0ELi0EEEvPT0_PS2_if, .Lfunc_end38-_ZN5aiter18act_and_mul_kernelIffTnPFfRKT_EXadL_ZNS_11silu_kernelIfEEfS3_EELi16ELb0ELi0EEEvPT0_PS2_if
                                        ; -- End function
	.section	.AMDGPU.csdata,"",@progbits
; Kernel info:
; codeLenInByte = 1968
; NumSgprs: 60
; NumVgprs: 68
; NumAgprs: 0
; TotalNumVgprs: 68
; ScratchSize: 0
; MemoryBound: 0
; FloatMode: 240
; IeeeMode: 1
; LDSByteSize: 0 bytes/workgroup (compile time only)
; SGPRBlocks: 7
; VGPRBlocks: 8
; NumSGPRsForWavesPerEU: 60
; NumVGPRsForWavesPerEU: 68
; AccumOffset: 68
; Occupancy: 7
; WaveLimiterHint : 0
; COMPUTE_PGM_RSRC2:SCRATCH_EN: 0
; COMPUTE_PGM_RSRC2:USER_SGPR: 2
; COMPUTE_PGM_RSRC2:TRAP_HANDLER: 0
; COMPUTE_PGM_RSRC2:TGID_X_EN: 1
; COMPUTE_PGM_RSRC2:TGID_Y_EN: 0
; COMPUTE_PGM_RSRC2:TGID_Z_EN: 0
; COMPUTE_PGM_RSRC2:TIDIG_COMP_CNT: 0
; COMPUTE_PGM_RSRC3_GFX90A:ACCUM_OFFSET: 16
; COMPUTE_PGM_RSRC3_GFX90A:TG_SPLIT: 0
	.section	.text._ZN5aiter18act_and_mul_kernelIffTnPFfRKT_EXadL_ZNS_11silu_kernelIfEEfS3_EELi8ELb0ELi0EEEvPT0_PS2_if,"axG",@progbits,_ZN5aiter18act_and_mul_kernelIffTnPFfRKT_EXadL_ZNS_11silu_kernelIfEEfS3_EELi8ELb0ELi0EEEvPT0_PS2_if,comdat
	.protected	_ZN5aiter18act_and_mul_kernelIffTnPFfRKT_EXadL_ZNS_11silu_kernelIfEEfS3_EELi8ELb0ELi0EEEvPT0_PS2_if ; -- Begin function _ZN5aiter18act_and_mul_kernelIffTnPFfRKT_EXadL_ZNS_11silu_kernelIfEEfS3_EELi8ELb0ELi0EEEvPT0_PS2_if
	.globl	_ZN5aiter18act_and_mul_kernelIffTnPFfRKT_EXadL_ZNS_11silu_kernelIfEEfS3_EELi8ELb0ELi0EEEvPT0_PS2_if
	.p2align	8
	.type	_ZN5aiter18act_and_mul_kernelIffTnPFfRKT_EXadL_ZNS_11silu_kernelIfEEfS3_EELi8ELb0ELi0EEEvPT0_PS2_if,@function
_ZN5aiter18act_and_mul_kernelIffTnPFfRKT_EXadL_ZNS_11silu_kernelIfEEfS3_EELi8ELb0ELi0EEEvPT0_PS2_if: ; @_ZN5aiter18act_and_mul_kernelIffTnPFfRKT_EXadL_ZNS_11silu_kernelIfEEfS3_EELi8ELb0ELi0EEEvPT0_PS2_if
; %bb.0:
	s_load_dword s14, s[0:1], 0x10
	v_lshlrev_b32_e32 v16, 3, v0
	s_waitcnt lgkmcnt(0)
	v_cmp_gt_i32_e32 vcc, s14, v16
	s_and_saveexec_b64 s[4:5], vcc
	s_cbranch_execz .LBB39_3
; %bb.1:
	s_load_dwordx4 s[4:7], s[0:1], 0x0
	s_ashr_i32 s15, s14, 31
	s_mul_hi_u32 s3, s14, s2
	s_mul_i32 s8, s15, s2
	s_add_i32 s3, s3, s8
	s_mul_i32 s2, s14, s2
	s_lshl_b64 s[8:9], s[2:3], 3
	s_waitcnt lgkmcnt(0)
	s_add_u32 s16, s6, s8
	s_addc_u32 s8, s7, s9
	s_lshl_b64 s[6:7], s[14:15], 2
	s_add_u32 s20, s16, s6
	s_addc_u32 s6, s8, s7
	s_lshl_b32 s18, s14, 2
	s_and_b32 s17, s8, 0xffff
	s_and_b32 s21, s6, 0xffff
	s_lshl_b64 s[2:3], s[2:3], 2
	s_add_u32 s24, s4, s2
	s_addc_u32 s2, s5, s3
	s_and_b32 s25, s2, 0xffff
	s_mov_b32 s19, 0x20000
	s_add_u32 s28, s0, 24
	v_mov_b32_e32 v17, 0
	s_addc_u32 s29, s1, 0
	s_mov_b64 s[30:31], 0
	s_mov_b32 s35, 0
	s_mov_b32 s22, s18
	s_mov_b32 s23, s19
	s_mov_b32 s33, 0xbfb8aa3b
	s_mov_b32 s36, 0x42ce8ed0
	s_mov_b32 s37, 0xc2b17218
	v_mov_b32_e32 v18, 0x7f800000
	s_mov_b32 s26, s18
	s_mov_b32 s27, s19
.LBB39_2:                               ; =>This Inner Loop Header: Depth=1
	v_lshlrev_b32_e32 v19, 2, v16
	buffer_load_dwordx4 v[12:15], v19, s[16:19], 0 offen
	buffer_load_dwordx4 v[0:3], v19, s[16:19], 16 offen
	;; [unrolled: 1-line block ×4, first 2 shown]
	s_waitcnt vmcnt(3)
	v_mul_f32_e32 v20, 0xbfb8aa3b, v12
	v_mul_f32_e32 v21, 0xbfb8aa3b, v13
	;; [unrolled: 1-line block ×4, first 2 shown]
	s_waitcnt vmcnt(2)
	v_mul_f32_e32 v24, 0xbfb8aa3b, v0
	v_mul_f32_e32 v25, 0xbfb8aa3b, v1
	;; [unrolled: 1-line block ×4, first 2 shown]
	v_fma_f32 v28, v12, s33, -v20
	v_rndne_f32_e32 v29, v20
	v_fma_f32 v30, v13, s33, -v21
	v_rndne_f32_e32 v31, v21
	;; [unrolled: 2-line block ×8, first 2 shown]
	v_fmac_f32_e32 v28, 0xb2a5705f, v12
	v_sub_f32_e32 v20, v20, v29
	v_fmac_f32_e32 v30, 0xb2a5705f, v13
	v_sub_f32_e32 v21, v21, v31
	;; [unrolled: 2-line block ×8, first 2 shown]
	v_add_f32_e32 v20, v20, v28
	v_add_f32_e32 v21, v21, v30
	v_add_f32_e32 v22, v22, v32
	v_add_f32_e32 v23, v23, v34
	v_add_f32_e32 v24, v24, v36
	v_add_f32_e32 v25, v25, v38
	v_add_f32_e32 v26, v26, v40
	v_add_f32_e32 v27, v27, v42
	v_cvt_i32_f32_e32 v29, v29
	v_cvt_i32_f32_e32 v31, v31
	;; [unrolled: 1-line block ×8, first 2 shown]
	v_exp_f32_e32 v20, v20
	v_exp_f32_e32 v21, v21
	;; [unrolled: 1-line block ×8, first 2 shown]
	v_ldexp_f32 v20, v20, v29
	v_ldexp_f32 v21, v21, v31
	v_cmp_nlt_f32_e32 vcc, s36, v13
	v_ldexp_f32 v22, v22, v33
	v_cmp_nlt_f32_e64 s[0:1], s36, v14
	v_ldexp_f32 v23, v23, v35
	v_cmp_nlt_f32_e64 s[2:3], s36, v15
	;; [unrolled: 2-line block ×6, first 2 shown]
	v_cmp_nlt_f32_e64 s[12:13], s36, v12
	v_cndmask_b32_e32 v21, 0, v21, vcc
	v_cmp_ngt_f32_e32 vcc, s37, v13
	v_cndmask_b32_e64 v20, 0, v20, s[12:13]
	v_cndmask_b32_e64 v22, 0, v22, s[0:1]
	v_cmp_ngt_f32_e64 s[0:1], s37, v14
	v_cndmask_b32_e64 v23, 0, v23, s[2:3]
	v_cmp_ngt_f32_e64 s[2:3], s37, v15
	;; [unrolled: 2-line block ×6, first 2 shown]
	v_cmp_ngt_f32_e64 s[12:13], s37, v12
	v_cndmask_b32_e32 v21, v18, v21, vcc
	v_cndmask_b32_e64 v22, v18, v22, s[0:1]
	v_cndmask_b32_e64 v20, v18, v20, s[12:13]
	;; [unrolled: 1-line block ×7, first 2 shown]
	v_add_f32_e32 v20, 1.0, v20
	v_add_f32_e32 v21, 1.0, v21
	;; [unrolled: 1-line block ×8, first 2 shown]
	v_rcp_f32_e32 v20, v20
	v_rcp_f32_e32 v21, v21
	;; [unrolled: 1-line block ×8, first 2 shown]
	v_pk_mul_f32 v[12:13], v[12:13], v[20:21]
	v_pk_mul_f32 v[14:15], v[14:15], v[22:23]
	;; [unrolled: 1-line block ×4, first 2 shown]
	s_waitcnt vmcnt(1)
	;;#ASMSTART
	v_pk_mul_f32 v[0:1], v[12:13], v[4:5]
	;;#ASMEND
	;;#ASMSTART
	v_pk_mul_f32 v[2:3], v[14:15], v[6:7]
	;;#ASMEND
	s_waitcnt vmcnt(0)
	;;#ASMSTART
	v_pk_mul_f32 v[4:5], v[20:21], v[8:9]
	;;#ASMEND
	;;#ASMSTART
	v_pk_mul_f32 v[6:7], v[22:23], v[10:11]
	;;#ASMEND
	s_load_dword s0, s[28:29], 0xc
	buffer_store_dwordx4 v[0:3], v19, s[24:27], 0 offen
	buffer_store_dwordx4 v[4:7], v19, s[24:27], 16 offen
	s_waitcnt lgkmcnt(0)
	s_and_b32 s0, s0, 0xffff
	s_lshl_b32 s34, s0, 3
	v_lshl_add_u64 v[16:17], s[34:35], 0, v[16:17]
	v_cmp_le_i64_e32 vcc, s[14:15], v[16:17]
	s_or_b64 s[30:31], vcc, s[30:31]
	s_andn2_b64 exec, exec, s[30:31]
	s_cbranch_execnz .LBB39_2
.LBB39_3:
	s_endpgm
	.section	.rodata,"a",@progbits
	.p2align	6, 0x0
	.amdhsa_kernel _ZN5aiter18act_and_mul_kernelIffTnPFfRKT_EXadL_ZNS_11silu_kernelIfEEfS3_EELi8ELb0ELi0EEEvPT0_PS2_if
		.amdhsa_group_segment_fixed_size 0
		.amdhsa_private_segment_fixed_size 0
		.amdhsa_kernarg_size 280
		.amdhsa_user_sgpr_count 2
		.amdhsa_user_sgpr_dispatch_ptr 0
		.amdhsa_user_sgpr_queue_ptr 0
		.amdhsa_user_sgpr_kernarg_segment_ptr 1
		.amdhsa_user_sgpr_dispatch_id 0
		.amdhsa_user_sgpr_kernarg_preload_length 0
		.amdhsa_user_sgpr_kernarg_preload_offset 0
		.amdhsa_user_sgpr_private_segment_size 0
		.amdhsa_uses_dynamic_stack 0
		.amdhsa_enable_private_segment 0
		.amdhsa_system_sgpr_workgroup_id_x 1
		.amdhsa_system_sgpr_workgroup_id_y 0
		.amdhsa_system_sgpr_workgroup_id_z 0
		.amdhsa_system_sgpr_workgroup_info 0
		.amdhsa_system_vgpr_workitem_id 0
		.amdhsa_next_free_vgpr 44
		.amdhsa_next_free_sgpr 38
		.amdhsa_accum_offset 44
		.amdhsa_reserve_vcc 1
		.amdhsa_float_round_mode_32 0
		.amdhsa_float_round_mode_16_64 0
		.amdhsa_float_denorm_mode_32 3
		.amdhsa_float_denorm_mode_16_64 3
		.amdhsa_dx10_clamp 1
		.amdhsa_ieee_mode 1
		.amdhsa_fp16_overflow 0
		.amdhsa_tg_split 0
		.amdhsa_exception_fp_ieee_invalid_op 0
		.amdhsa_exception_fp_denorm_src 0
		.amdhsa_exception_fp_ieee_div_zero 0
		.amdhsa_exception_fp_ieee_overflow 0
		.amdhsa_exception_fp_ieee_underflow 0
		.amdhsa_exception_fp_ieee_inexact 0
		.amdhsa_exception_int_div_zero 0
	.end_amdhsa_kernel
	.section	.text._ZN5aiter18act_and_mul_kernelIffTnPFfRKT_EXadL_ZNS_11silu_kernelIfEEfS3_EELi8ELb0ELi0EEEvPT0_PS2_if,"axG",@progbits,_ZN5aiter18act_and_mul_kernelIffTnPFfRKT_EXadL_ZNS_11silu_kernelIfEEfS3_EELi8ELb0ELi0EEEvPT0_PS2_if,comdat
.Lfunc_end39:
	.size	_ZN5aiter18act_and_mul_kernelIffTnPFfRKT_EXadL_ZNS_11silu_kernelIfEEfS3_EELi8ELb0ELi0EEEvPT0_PS2_if, .Lfunc_end39-_ZN5aiter18act_and_mul_kernelIffTnPFfRKT_EXadL_ZNS_11silu_kernelIfEEfS3_EELi8ELb0ELi0EEEvPT0_PS2_if
                                        ; -- End function
	.section	.AMDGPU.csdata,"",@progbits
; Kernel info:
; codeLenInByte = 1104
; NumSgprs: 44
; NumVgprs: 44
; NumAgprs: 0
; TotalNumVgprs: 44
; ScratchSize: 0
; MemoryBound: 0
; FloatMode: 240
; IeeeMode: 1
; LDSByteSize: 0 bytes/workgroup (compile time only)
; SGPRBlocks: 5
; VGPRBlocks: 5
; NumSGPRsForWavesPerEU: 44
; NumVGPRsForWavesPerEU: 44
; AccumOffset: 44
; Occupancy: 8
; WaveLimiterHint : 0
; COMPUTE_PGM_RSRC2:SCRATCH_EN: 0
; COMPUTE_PGM_RSRC2:USER_SGPR: 2
; COMPUTE_PGM_RSRC2:TRAP_HANDLER: 0
; COMPUTE_PGM_RSRC2:TGID_X_EN: 1
; COMPUTE_PGM_RSRC2:TGID_Y_EN: 0
; COMPUTE_PGM_RSRC2:TGID_Z_EN: 0
; COMPUTE_PGM_RSRC2:TIDIG_COMP_CNT: 0
; COMPUTE_PGM_RSRC3_GFX90A:ACCUM_OFFSET: 10
; COMPUTE_PGM_RSRC3_GFX90A:TG_SPLIT: 0
	.section	.text._ZN5aiter18act_and_mul_kernelIffTnPFfRKT_EXadL_ZNS_11silu_kernelIfEEfS3_EELi4ELb0ELi0EEEvPT0_PS2_if,"axG",@progbits,_ZN5aiter18act_and_mul_kernelIffTnPFfRKT_EXadL_ZNS_11silu_kernelIfEEfS3_EELi4ELb0ELi0EEEvPT0_PS2_if,comdat
	.protected	_ZN5aiter18act_and_mul_kernelIffTnPFfRKT_EXadL_ZNS_11silu_kernelIfEEfS3_EELi4ELb0ELi0EEEvPT0_PS2_if ; -- Begin function _ZN5aiter18act_and_mul_kernelIffTnPFfRKT_EXadL_ZNS_11silu_kernelIfEEfS3_EELi4ELb0ELi0EEEvPT0_PS2_if
	.globl	_ZN5aiter18act_and_mul_kernelIffTnPFfRKT_EXadL_ZNS_11silu_kernelIfEEfS3_EELi4ELb0ELi0EEEvPT0_PS2_if
	.p2align	8
	.type	_ZN5aiter18act_and_mul_kernelIffTnPFfRKT_EXadL_ZNS_11silu_kernelIfEEfS3_EELi4ELb0ELi0EEEvPT0_PS2_if,@function
_ZN5aiter18act_and_mul_kernelIffTnPFfRKT_EXadL_ZNS_11silu_kernelIfEEfS3_EELi4ELb0ELi0EEEvPT0_PS2_if: ; @_ZN5aiter18act_and_mul_kernelIffTnPFfRKT_EXadL_ZNS_11silu_kernelIfEEfS3_EELi4ELb0ELi0EEEvPT0_PS2_if
; %bb.0:
	s_load_dword s6, s[0:1], 0x10
	v_lshlrev_b32_e32 v8, 2, v0
	s_waitcnt lgkmcnt(0)
	v_cmp_gt_i32_e32 vcc, s6, v8
	s_and_saveexec_b64 s[4:5], vcc
	s_cbranch_execz .LBB40_3
; %bb.1:
	s_load_dwordx4 s[16:19], s[0:1], 0x0
	s_ashr_i32 s7, s6, 31
	s_mul_hi_u32 s3, s6, s2
	s_mul_i32 s4, s7, s2
	s_add_i32 s3, s3, s4
	s_mul_i32 s2, s6, s2
	s_lshl_b64 s[4:5], s[2:3], 3
	s_waitcnt lgkmcnt(0)
	s_add_u32 s8, s18, s4
	s_addc_u32 s9, s19, s5
	s_lshl_b64 s[4:5], s[6:7], 2
	s_add_u32 s12, s8, s4
	s_addc_u32 s4, s9, s5
	s_lshl_b32 s10, s6, 2
	s_and_b32 s9, s9, 0xffff
	s_and_b32 s13, s4, 0xffff
	s_lshl_b64 s[2:3], s[2:3], 2
	s_add_u32 s16, s16, s2
	s_addc_u32 s2, s17, s3
	s_and_b32 s17, s2, 0xffff
	s_mov_b32 s11, 0x20000
	s_add_u32 s20, s0, 24
	v_mov_b32_e32 v9, 0
	s_addc_u32 s21, s1, 0
	s_mov_b64 s[22:23], 0
	s_mov_b32 s25, 0
	s_mov_b32 s14, s10
	;; [unrolled: 1-line block ×6, first 2 shown]
	v_mov_b32_e32 v10, 0x7f800000
	s_mov_b32 s18, s10
	s_mov_b32 s19, s11
.LBB40_2:                               ; =>This Inner Loop Header: Depth=1
	v_lshlrev_b32_e32 v11, 2, v8
	buffer_load_dwordx4 v[4:7], v11, s[8:11], 0 offen
	buffer_load_dwordx4 v[0:3], v11, s[12:15], 0 offen
	s_waitcnt vmcnt(1)
	v_mul_f32_e32 v12, 0xbfb8aa3b, v4
	v_mul_f32_e32 v13, 0xbfb8aa3b, v5
	;; [unrolled: 1-line block ×4, first 2 shown]
	v_fma_f32 v16, v4, s26, -v12
	v_rndne_f32_e32 v17, v12
	v_fma_f32 v18, v5, s26, -v13
	v_rndne_f32_e32 v19, v13
	;; [unrolled: 2-line block ×4, first 2 shown]
	v_fmac_f32_e32 v16, 0xb2a5705f, v4
	v_sub_f32_e32 v12, v12, v17
	v_fmac_f32_e32 v18, 0xb2a5705f, v5
	v_sub_f32_e32 v13, v13, v19
	;; [unrolled: 2-line block ×4, first 2 shown]
	v_add_f32_e32 v12, v12, v16
	v_add_f32_e32 v13, v13, v18
	v_add_f32_e32 v14, v14, v20
	v_add_f32_e32 v15, v15, v22
	v_cvt_i32_f32_e32 v17, v17
	v_cvt_i32_f32_e32 v19, v19
	;; [unrolled: 1-line block ×4, first 2 shown]
	v_exp_f32_e32 v12, v12
	v_exp_f32_e32 v13, v13
	;; [unrolled: 1-line block ×4, first 2 shown]
	v_ldexp_f32 v12, v12, v17
	v_ldexp_f32 v13, v13, v19
	v_cmp_nlt_f32_e32 vcc, s27, v5
	v_ldexp_f32 v14, v14, v21
	v_cmp_nlt_f32_e64 s[0:1], s27, v6
	v_ldexp_f32 v15, v15, v23
	v_cmp_nlt_f32_e64 s[2:3], s27, v7
	v_cmp_nlt_f32_e64 s[4:5], s27, v4
	v_cndmask_b32_e32 v13, 0, v13, vcc
	v_cmp_ngt_f32_e32 vcc, s28, v5
	v_cndmask_b32_e64 v12, 0, v12, s[4:5]
	v_cndmask_b32_e64 v14, 0, v14, s[0:1]
	v_cmp_ngt_f32_e64 s[0:1], s28, v6
	v_cndmask_b32_e64 v15, 0, v15, s[2:3]
	v_cmp_ngt_f32_e64 s[2:3], s28, v7
	v_cmp_ngt_f32_e64 s[4:5], s28, v4
	v_cndmask_b32_e32 v13, v10, v13, vcc
	v_cndmask_b32_e64 v14, v10, v14, s[0:1]
	v_cndmask_b32_e64 v12, v10, v12, s[4:5]
	;; [unrolled: 1-line block ×3, first 2 shown]
	v_add_f32_e32 v12, 1.0, v12
	v_add_f32_e32 v13, 1.0, v13
	;; [unrolled: 1-line block ×4, first 2 shown]
	v_rcp_f32_e32 v12, v12
	v_rcp_f32_e32 v13, v13
	;; [unrolled: 1-line block ×4, first 2 shown]
	v_pk_mul_f32 v[4:5], v[4:5], v[12:13]
	s_waitcnt vmcnt(0)
	;;#ASMSTART
	v_pk_mul_f32 v[0:1], v[4:5], v[0:1]
	;;#ASMEND
	v_pk_mul_f32 v[6:7], v[6:7], v[14:15]
	s_nop 0
	;;#ASMSTART
	v_pk_mul_f32 v[2:3], v[6:7], v[2:3]
	;;#ASMEND
	s_load_dword s0, s[20:21], 0xc
	buffer_store_dwordx4 v[0:3], v11, s[16:19], 0 offen
	s_waitcnt lgkmcnt(0)
	s_and_b32 s0, s0, 0xffff
	s_lshl_b32 s24, s0, 2
	v_lshl_add_u64 v[8:9], s[24:25], 0, v[8:9]
	v_cmp_le_i64_e32 vcc, s[6:7], v[8:9]
	s_or_b64 s[22:23], vcc, s[22:23]
	s_andn2_b64 exec, exec, s[22:23]
	s_cbranch_execnz .LBB40_2
.LBB40_3:
	s_endpgm
	.section	.rodata,"a",@progbits
	.p2align	6, 0x0
	.amdhsa_kernel _ZN5aiter18act_and_mul_kernelIffTnPFfRKT_EXadL_ZNS_11silu_kernelIfEEfS3_EELi4ELb0ELi0EEEvPT0_PS2_if
		.amdhsa_group_segment_fixed_size 0
		.amdhsa_private_segment_fixed_size 0
		.amdhsa_kernarg_size 280
		.amdhsa_user_sgpr_count 2
		.amdhsa_user_sgpr_dispatch_ptr 0
		.amdhsa_user_sgpr_queue_ptr 0
		.amdhsa_user_sgpr_kernarg_segment_ptr 1
		.amdhsa_user_sgpr_dispatch_id 0
		.amdhsa_user_sgpr_kernarg_preload_length 0
		.amdhsa_user_sgpr_kernarg_preload_offset 0
		.amdhsa_user_sgpr_private_segment_size 0
		.amdhsa_uses_dynamic_stack 0
		.amdhsa_enable_private_segment 0
		.amdhsa_system_sgpr_workgroup_id_x 1
		.amdhsa_system_sgpr_workgroup_id_y 0
		.amdhsa_system_sgpr_workgroup_id_z 0
		.amdhsa_system_sgpr_workgroup_info 0
		.amdhsa_system_vgpr_workitem_id 0
		.amdhsa_next_free_vgpr 24
		.amdhsa_next_free_sgpr 29
		.amdhsa_accum_offset 24
		.amdhsa_reserve_vcc 1
		.amdhsa_float_round_mode_32 0
		.amdhsa_float_round_mode_16_64 0
		.amdhsa_float_denorm_mode_32 3
		.amdhsa_float_denorm_mode_16_64 3
		.amdhsa_dx10_clamp 1
		.amdhsa_ieee_mode 1
		.amdhsa_fp16_overflow 0
		.amdhsa_tg_split 0
		.amdhsa_exception_fp_ieee_invalid_op 0
		.amdhsa_exception_fp_denorm_src 0
		.amdhsa_exception_fp_ieee_div_zero 0
		.amdhsa_exception_fp_ieee_overflow 0
		.amdhsa_exception_fp_ieee_underflow 0
		.amdhsa_exception_fp_ieee_inexact 0
		.amdhsa_exception_int_div_zero 0
	.end_amdhsa_kernel
	.section	.text._ZN5aiter18act_and_mul_kernelIffTnPFfRKT_EXadL_ZNS_11silu_kernelIfEEfS3_EELi4ELb0ELi0EEEvPT0_PS2_if,"axG",@progbits,_ZN5aiter18act_and_mul_kernelIffTnPFfRKT_EXadL_ZNS_11silu_kernelIfEEfS3_EELi4ELb0ELi0EEEvPT0_PS2_if,comdat
.Lfunc_end40:
	.size	_ZN5aiter18act_and_mul_kernelIffTnPFfRKT_EXadL_ZNS_11silu_kernelIfEEfS3_EELi4ELb0ELi0EEEvPT0_PS2_if, .Lfunc_end40-_ZN5aiter18act_and_mul_kernelIffTnPFfRKT_EXadL_ZNS_11silu_kernelIfEEfS3_EELi4ELb0ELi0EEEvPT0_PS2_if
                                        ; -- End function
	.section	.AMDGPU.csdata,"",@progbits
; Kernel info:
; codeLenInByte = 676
; NumSgprs: 35
; NumVgprs: 24
; NumAgprs: 0
; TotalNumVgprs: 24
; ScratchSize: 0
; MemoryBound: 0
; FloatMode: 240
; IeeeMode: 1
; LDSByteSize: 0 bytes/workgroup (compile time only)
; SGPRBlocks: 4
; VGPRBlocks: 2
; NumSGPRsForWavesPerEU: 35
; NumVGPRsForWavesPerEU: 24
; AccumOffset: 24
; Occupancy: 8
; WaveLimiterHint : 0
; COMPUTE_PGM_RSRC2:SCRATCH_EN: 0
; COMPUTE_PGM_RSRC2:USER_SGPR: 2
; COMPUTE_PGM_RSRC2:TRAP_HANDLER: 0
; COMPUTE_PGM_RSRC2:TGID_X_EN: 1
; COMPUTE_PGM_RSRC2:TGID_Y_EN: 0
; COMPUTE_PGM_RSRC2:TGID_Z_EN: 0
; COMPUTE_PGM_RSRC2:TIDIG_COMP_CNT: 0
; COMPUTE_PGM_RSRC3_GFX90A:ACCUM_OFFSET: 5
; COMPUTE_PGM_RSRC3_GFX90A:TG_SPLIT: 0
	.section	.text._ZN5aiter18act_and_mul_kernelIffTnPFfRKT_EXadL_ZNS_11silu_kernelIfEEfS3_EELi2ELb0ELi0EEEvPT0_PS2_if,"axG",@progbits,_ZN5aiter18act_and_mul_kernelIffTnPFfRKT_EXadL_ZNS_11silu_kernelIfEEfS3_EELi2ELb0ELi0EEEvPT0_PS2_if,comdat
	.protected	_ZN5aiter18act_and_mul_kernelIffTnPFfRKT_EXadL_ZNS_11silu_kernelIfEEfS3_EELi2ELb0ELi0EEEvPT0_PS2_if ; -- Begin function _ZN5aiter18act_and_mul_kernelIffTnPFfRKT_EXadL_ZNS_11silu_kernelIfEEfS3_EELi2ELb0ELi0EEEvPT0_PS2_if
	.globl	_ZN5aiter18act_and_mul_kernelIffTnPFfRKT_EXadL_ZNS_11silu_kernelIfEEfS3_EELi2ELb0ELi0EEEvPT0_PS2_if
	.p2align	8
	.type	_ZN5aiter18act_and_mul_kernelIffTnPFfRKT_EXadL_ZNS_11silu_kernelIfEEfS3_EELi2ELb0ELi0EEEvPT0_PS2_if,@function
_ZN5aiter18act_and_mul_kernelIffTnPFfRKT_EXadL_ZNS_11silu_kernelIfEEfS3_EELi2ELb0ELi0EEEvPT0_PS2_if: ; @_ZN5aiter18act_and_mul_kernelIffTnPFfRKT_EXadL_ZNS_11silu_kernelIfEEfS3_EELi2ELb0ELi0EEEvPT0_PS2_if
; %bb.0:
	s_load_dword s16, s[0:1], 0x10
	v_lshlrev_b32_e32 v0, 1, v0
	s_waitcnt lgkmcnt(0)
	v_cmp_gt_i32_e32 vcc, s16, v0
	s_and_saveexec_b64 s[4:5], vcc
	s_cbranch_execz .LBB41_3
; %bb.1:
	s_load_dwordx4 s[12:15], s[0:1], 0x0
	s_ashr_i32 s17, s16, 31
	s_mul_hi_u32 s3, s16, s2
	s_mul_i32 s4, s17, s2
	s_add_i32 s3, s3, s4
	s_mul_i32 s2, s16, s2
	s_lshl_b64 s[4:5], s[2:3], 3
	s_waitcnt lgkmcnt(0)
	s_add_u32 s4, s14, s4
	s_addc_u32 s5, s15, s5
	s_lshl_b64 s[6:7], s[16:17], 2
	s_add_u32 s8, s4, s6
	s_addc_u32 s9, s5, s7
	s_lshl_b32 s6, s16, 2
	s_and_b32 s5, s5, 0xffff
	s_and_b32 s9, s9, 0xffff
	s_lshl_b64 s[2:3], s[2:3], 2
	s_add_u32 s12, s12, s2
	s_addc_u32 s2, s13, s3
	s_and_b32 s13, s2, 0xffff
	s_mov_b32 s7, 0x20000
	s_add_u32 s2, s0, 24
	v_mov_b32_e32 v1, 0
	s_addc_u32 s3, s1, 0
	s_mov_b64 s[18:19], 0
	s_mov_b32 s21, 0
	s_mov_b32 s10, s6
	;; [unrolled: 1-line block ×6, first 2 shown]
	v_mov_b32_e32 v2, 0x7f800000
	s_mov_b32 s14, s6
	s_mov_b32 s15, s7
.LBB41_2:                               ; =>This Inner Loop Header: Depth=1
	v_lshlrev_b32_e32 v3, 2, v0
	buffer_load_dwordx2 v[4:5], v3, s[4:7], 0 offen
	buffer_load_dwordx2 v[6:7], v3, s[8:11], 0 offen
	s_waitcnt vmcnt(1)
	v_mul_f32_e32 v8, 0xbfb8aa3b, v5
	v_mul_f32_e32 v9, 0xbfb8aa3b, v4
	v_fma_f32 v10, v5, s22, -v8
	v_rndne_f32_e32 v11, v8
	v_fma_f32 v12, v4, s22, -v9
	v_rndne_f32_e32 v13, v9
	v_fmac_f32_e32 v10, 0xb2a5705f, v5
	v_sub_f32_e32 v8, v8, v11
	v_fmac_f32_e32 v12, 0xb2a5705f, v4
	v_sub_f32_e32 v9, v9, v13
	v_add_f32_e32 v8, v8, v10
	v_add_f32_e32 v9, v9, v12
	v_cvt_i32_f32_e32 v11, v11
	v_cvt_i32_f32_e32 v13, v13
	v_exp_f32_e32 v8, v8
	v_exp_f32_e32 v9, v9
	v_cmp_nlt_f32_e32 vcc, s23, v4
	v_cmp_nlt_f32_e64 s[0:1], s23, v5
	v_ldexp_f32 v8, v8, v11
	v_ldexp_f32 v9, v9, v13
	v_cndmask_b32_e64 v8, 0, v8, s[0:1]
	v_cndmask_b32_e32 v9, 0, v9, vcc
	v_cmp_ngt_f32_e32 vcc, s24, v4
	v_cmp_ngt_f32_e64 s[0:1], s24, v5
	s_nop 0
	v_cndmask_b32_e32 v9, v2, v9, vcc
	v_cndmask_b32_e64 v8, v2, v8, s[0:1]
	v_add_f32_e32 v8, 1.0, v8
	v_add_f32_e32 v10, 1.0, v9
	v_rcp_f32_e32 v9, v8
	v_rcp_f32_e32 v8, v10
	s_nop 0
	v_pk_mul_f32 v[4:5], v[8:9], v[4:5]
	s_waitcnt vmcnt(0)
	;;#ASMSTART
	v_pk_mul_f32 v[4:5], v[4:5], v[6:7]
	;;#ASMEND
	s_load_dword s0, s[2:3], 0xc
	buffer_store_dwordx2 v[4:5], v3, s[12:15], 0 offen
	s_waitcnt lgkmcnt(0)
	s_and_b32 s0, s0, 0xffff
	s_lshl_b32 s20, s0, 1
	v_lshl_add_u64 v[0:1], s[20:21], 0, v[0:1]
	v_cmp_le_i64_e32 vcc, s[16:17], v[0:1]
	s_or_b64 s[18:19], vcc, s[18:19]
	s_andn2_b64 exec, exec, s[18:19]
	s_cbranch_execnz .LBB41_2
.LBB41_3:
	s_endpgm
	.section	.rodata,"a",@progbits
	.p2align	6, 0x0
	.amdhsa_kernel _ZN5aiter18act_and_mul_kernelIffTnPFfRKT_EXadL_ZNS_11silu_kernelIfEEfS3_EELi2ELb0ELi0EEEvPT0_PS2_if
		.amdhsa_group_segment_fixed_size 0
		.amdhsa_private_segment_fixed_size 0
		.amdhsa_kernarg_size 280
		.amdhsa_user_sgpr_count 2
		.amdhsa_user_sgpr_dispatch_ptr 0
		.amdhsa_user_sgpr_queue_ptr 0
		.amdhsa_user_sgpr_kernarg_segment_ptr 1
		.amdhsa_user_sgpr_dispatch_id 0
		.amdhsa_user_sgpr_kernarg_preload_length 0
		.amdhsa_user_sgpr_kernarg_preload_offset 0
		.amdhsa_user_sgpr_private_segment_size 0
		.amdhsa_uses_dynamic_stack 0
		.amdhsa_enable_private_segment 0
		.amdhsa_system_sgpr_workgroup_id_x 1
		.amdhsa_system_sgpr_workgroup_id_y 0
		.amdhsa_system_sgpr_workgroup_id_z 0
		.amdhsa_system_sgpr_workgroup_info 0
		.amdhsa_system_vgpr_workitem_id 0
		.amdhsa_next_free_vgpr 14
		.amdhsa_next_free_sgpr 25
		.amdhsa_accum_offset 16
		.amdhsa_reserve_vcc 1
		.amdhsa_float_round_mode_32 0
		.amdhsa_float_round_mode_16_64 0
		.amdhsa_float_denorm_mode_32 3
		.amdhsa_float_denorm_mode_16_64 3
		.amdhsa_dx10_clamp 1
		.amdhsa_ieee_mode 1
		.amdhsa_fp16_overflow 0
		.amdhsa_tg_split 0
		.amdhsa_exception_fp_ieee_invalid_op 0
		.amdhsa_exception_fp_denorm_src 0
		.amdhsa_exception_fp_ieee_div_zero 0
		.amdhsa_exception_fp_ieee_overflow 0
		.amdhsa_exception_fp_ieee_underflow 0
		.amdhsa_exception_fp_ieee_inexact 0
		.amdhsa_exception_int_div_zero 0
	.end_amdhsa_kernel
	.section	.text._ZN5aiter18act_and_mul_kernelIffTnPFfRKT_EXadL_ZNS_11silu_kernelIfEEfS3_EELi2ELb0ELi0EEEvPT0_PS2_if,"axG",@progbits,_ZN5aiter18act_and_mul_kernelIffTnPFfRKT_EXadL_ZNS_11silu_kernelIfEEfS3_EELi2ELb0ELi0EEEvPT0_PS2_if,comdat
.Lfunc_end41:
	.size	_ZN5aiter18act_and_mul_kernelIffTnPFfRKT_EXadL_ZNS_11silu_kernelIfEEfS3_EELi2ELb0ELi0EEEvPT0_PS2_if, .Lfunc_end41-_ZN5aiter18act_and_mul_kernelIffTnPFfRKT_EXadL_ZNS_11silu_kernelIfEEfS3_EELi2ELb0ELi0EEEvPT0_PS2_if
                                        ; -- End function
	.section	.AMDGPU.csdata,"",@progbits
; Kernel info:
; codeLenInByte = 480
; NumSgprs: 31
; NumVgprs: 14
; NumAgprs: 0
; TotalNumVgprs: 14
; ScratchSize: 0
; MemoryBound: 0
; FloatMode: 240
; IeeeMode: 1
; LDSByteSize: 0 bytes/workgroup (compile time only)
; SGPRBlocks: 3
; VGPRBlocks: 1
; NumSGPRsForWavesPerEU: 31
; NumVGPRsForWavesPerEU: 14
; AccumOffset: 16
; Occupancy: 8
; WaveLimiterHint : 0
; COMPUTE_PGM_RSRC2:SCRATCH_EN: 0
; COMPUTE_PGM_RSRC2:USER_SGPR: 2
; COMPUTE_PGM_RSRC2:TRAP_HANDLER: 0
; COMPUTE_PGM_RSRC2:TGID_X_EN: 1
; COMPUTE_PGM_RSRC2:TGID_Y_EN: 0
; COMPUTE_PGM_RSRC2:TGID_Z_EN: 0
; COMPUTE_PGM_RSRC2:TIDIG_COMP_CNT: 0
; COMPUTE_PGM_RSRC3_GFX90A:ACCUM_OFFSET: 3
; COMPUTE_PGM_RSRC3_GFX90A:TG_SPLIT: 0
	.section	.text._ZN5aiter18act_and_mul_kernelIffTnPFfRKT_EXadL_ZNS_11silu_kernelIfEEfS3_EELi1ELb0ELi0EEEvPT0_PS2_if,"axG",@progbits,_ZN5aiter18act_and_mul_kernelIffTnPFfRKT_EXadL_ZNS_11silu_kernelIfEEfS3_EELi1ELb0ELi0EEEvPT0_PS2_if,comdat
	.protected	_ZN5aiter18act_and_mul_kernelIffTnPFfRKT_EXadL_ZNS_11silu_kernelIfEEfS3_EELi1ELb0ELi0EEEvPT0_PS2_if ; -- Begin function _ZN5aiter18act_and_mul_kernelIffTnPFfRKT_EXadL_ZNS_11silu_kernelIfEEfS3_EELi1ELb0ELi0EEEvPT0_PS2_if
	.globl	_ZN5aiter18act_and_mul_kernelIffTnPFfRKT_EXadL_ZNS_11silu_kernelIfEEfS3_EELi1ELb0ELi0EEEvPT0_PS2_if
	.p2align	8
	.type	_ZN5aiter18act_and_mul_kernelIffTnPFfRKT_EXadL_ZNS_11silu_kernelIfEEfS3_EELi1ELb0ELi0EEEvPT0_PS2_if,@function
_ZN5aiter18act_and_mul_kernelIffTnPFfRKT_EXadL_ZNS_11silu_kernelIfEEfS3_EELi1ELb0ELi0EEEvPT0_PS2_if: ; @_ZN5aiter18act_and_mul_kernelIffTnPFfRKT_EXadL_ZNS_11silu_kernelIfEEfS3_EELi1ELb0ELi0EEEvPT0_PS2_if
; %bb.0:
	s_load_dword s12, s[0:1], 0x10
	s_waitcnt lgkmcnt(0)
	v_cmp_gt_i32_e32 vcc, s12, v0
	s_and_saveexec_b64 s[4:5], vcc
	s_cbranch_execz .LBB42_3
; %bb.1:
	s_load_dwordx4 s[8:11], s[0:1], 0x0
	s_load_dword s14, s[0:1], 0x24
	s_ashr_i32 s13, s12, 31
	s_mul_hi_u32 s3, s12, s2
	s_mul_i32 s4, s13, s2
	s_add_i32 s7, s3, s4
	s_mul_i32 s6, s12, s2
	s_lshl_b64 s[2:3], s[6:7], 3
	s_waitcnt lgkmcnt(0)
	s_add_u32 s0, s10, s2
	s_addc_u32 s1, s11, s3
	s_lshl_b64 s[2:3], s[12:13], 2
	s_add_u32 s4, s0, s2
	s_addc_u32 s5, s1, s3
	s_lshl_b32 s2, s12, 2
	s_and_b32 s1, s1, 0xffff
	s_and_b32 s5, s5, 0xffff
	s_lshl_b64 s[6:7], s[6:7], 2
	s_add_u32 s8, s8, s6
	s_mov_b32 s3, 0x20000
	s_addc_u32 s6, s9, s7
	s_and_b32 s14, s14, 0xffff
	s_and_b32 s9, s6, 0xffff
	s_mov_b32 s15, 0
	v_mov_b32_e32 v1, 0
	v_lshlrev_b32_e32 v2, 2, v0
	s_lshl_b32 s18, s14, 2
	s_mov_b64 s[16:17], 0
	s_mov_b32 s6, s2
	s_mov_b32 s7, s3
	s_mov_b32 s19, 0xbfb8aa3b
	s_mov_b32 s20, 0x42ce8ed0
	s_mov_b32 s21, 0xc2b17218
	v_mov_b32_e32 v3, 0x7f800000
	s_mov_b32 s10, s2
	s_mov_b32 s11, s3
.LBB42_2:                               ; =>This Inner Loop Header: Depth=1
	buffer_load_dword v4, v2, s[0:3], 0 offen
	buffer_load_dword v5, v2, s[4:7], 0 offen
	v_lshl_add_u64 v[0:1], v[0:1], 0, s[14:15]
	s_waitcnt vmcnt(1)
	v_mul_f32_e32 v6, 0xbfb8aa3b, v4
	v_fma_f32 v7, v4, s19, -v6
	v_rndne_f32_e32 v8, v6
	v_fmac_f32_e32 v7, 0xb2a5705f, v4
	v_sub_f32_e32 v6, v6, v8
	v_add_f32_e32 v6, v6, v7
	v_cvt_i32_f32_e32 v8, v8
	v_exp_f32_e32 v6, v6
	v_cmp_nlt_f32_e32 vcc, s20, v4
	v_ldexp_f32 v6, v6, v8
	s_nop 0
	v_cndmask_b32_e32 v6, 0, v6, vcc
	v_cmp_ngt_f32_e32 vcc, s21, v4
	s_nop 1
	v_cndmask_b32_e32 v6, v3, v6, vcc
	v_add_f32_e32 v6, 1.0, v6
	v_rcp_f32_e32 v6, v6
	v_cmp_le_i64_e32 vcc, s[12:13], v[0:1]
	s_or_b64 s[16:17], vcc, s[16:17]
	v_mul_f32_e32 v4, v6, v4
	s_waitcnt vmcnt(0)
	v_mul_f32_e32 v4, v4, v5
	buffer_store_dword v4, v2, s[8:11], 0 offen
	v_add_u32_e32 v2, s18, v2
	s_andn2_b64 exec, exec, s[16:17]
	s_cbranch_execnz .LBB42_2
.LBB42_3:
	s_endpgm
	.section	.rodata,"a",@progbits
	.p2align	6, 0x0
	.amdhsa_kernel _ZN5aiter18act_and_mul_kernelIffTnPFfRKT_EXadL_ZNS_11silu_kernelIfEEfS3_EELi1ELb0ELi0EEEvPT0_PS2_if
		.amdhsa_group_segment_fixed_size 0
		.amdhsa_private_segment_fixed_size 0
		.amdhsa_kernarg_size 280
		.amdhsa_user_sgpr_count 2
		.amdhsa_user_sgpr_dispatch_ptr 0
		.amdhsa_user_sgpr_queue_ptr 0
		.amdhsa_user_sgpr_kernarg_segment_ptr 1
		.amdhsa_user_sgpr_dispatch_id 0
		.amdhsa_user_sgpr_kernarg_preload_length 0
		.amdhsa_user_sgpr_kernarg_preload_offset 0
		.amdhsa_user_sgpr_private_segment_size 0
		.amdhsa_uses_dynamic_stack 0
		.amdhsa_enable_private_segment 0
		.amdhsa_system_sgpr_workgroup_id_x 1
		.amdhsa_system_sgpr_workgroup_id_y 0
		.amdhsa_system_sgpr_workgroup_id_z 0
		.amdhsa_system_sgpr_workgroup_info 0
		.amdhsa_system_vgpr_workitem_id 0
		.amdhsa_next_free_vgpr 9
		.amdhsa_next_free_sgpr 22
		.amdhsa_accum_offset 12
		.amdhsa_reserve_vcc 1
		.amdhsa_float_round_mode_32 0
		.amdhsa_float_round_mode_16_64 0
		.amdhsa_float_denorm_mode_32 3
		.amdhsa_float_denorm_mode_16_64 3
		.amdhsa_dx10_clamp 1
		.amdhsa_ieee_mode 1
		.amdhsa_fp16_overflow 0
		.amdhsa_tg_split 0
		.amdhsa_exception_fp_ieee_invalid_op 0
		.amdhsa_exception_fp_denorm_src 0
		.amdhsa_exception_fp_ieee_div_zero 0
		.amdhsa_exception_fp_ieee_overflow 0
		.amdhsa_exception_fp_ieee_underflow 0
		.amdhsa_exception_fp_ieee_inexact 0
		.amdhsa_exception_int_div_zero 0
	.end_amdhsa_kernel
	.section	.text._ZN5aiter18act_and_mul_kernelIffTnPFfRKT_EXadL_ZNS_11silu_kernelIfEEfS3_EELi1ELb0ELi0EEEvPT0_PS2_if,"axG",@progbits,_ZN5aiter18act_and_mul_kernelIffTnPFfRKT_EXadL_ZNS_11silu_kernelIfEEfS3_EELi1ELb0ELi0EEEvPT0_PS2_if,comdat
.Lfunc_end42:
	.size	_ZN5aiter18act_and_mul_kernelIffTnPFfRKT_EXadL_ZNS_11silu_kernelIfEEfS3_EELi1ELb0ELi0EEEvPT0_PS2_if, .Lfunc_end42-_ZN5aiter18act_and_mul_kernelIffTnPFfRKT_EXadL_ZNS_11silu_kernelIfEEfS3_EELi1ELb0ELi0EEEvPT0_PS2_if
                                        ; -- End function
	.section	.AMDGPU.csdata,"",@progbits
; Kernel info:
; codeLenInByte = 368
; NumSgprs: 28
; NumVgprs: 9
; NumAgprs: 0
; TotalNumVgprs: 9
; ScratchSize: 0
; MemoryBound: 0
; FloatMode: 240
; IeeeMode: 1
; LDSByteSize: 0 bytes/workgroup (compile time only)
; SGPRBlocks: 3
; VGPRBlocks: 1
; NumSGPRsForWavesPerEU: 28
; NumVGPRsForWavesPerEU: 9
; AccumOffset: 12
; Occupancy: 8
; WaveLimiterHint : 0
; COMPUTE_PGM_RSRC2:SCRATCH_EN: 0
; COMPUTE_PGM_RSRC2:USER_SGPR: 2
; COMPUTE_PGM_RSRC2:TRAP_HANDLER: 0
; COMPUTE_PGM_RSRC2:TGID_X_EN: 1
; COMPUTE_PGM_RSRC2:TGID_Y_EN: 0
; COMPUTE_PGM_RSRC2:TGID_Z_EN: 0
; COMPUTE_PGM_RSRC2:TIDIG_COMP_CNT: 0
; COMPUTE_PGM_RSRC3_GFX90A:ACCUM_OFFSET: 2
; COMPUTE_PGM_RSRC3_GFX90A:TG_SPLIT: 0
	.section	.text._ZN5aiter18act_and_mul_kernelIDF16_DF16_TnPFfRKT_EXadL_ZNS_11silu_kernelIDF16_EEfS3_EELi32ELb0ELi3EEEvPT0_PS2_if,"axG",@progbits,_ZN5aiter18act_and_mul_kernelIDF16_DF16_TnPFfRKT_EXadL_ZNS_11silu_kernelIDF16_EEfS3_EELi32ELb0ELi3EEEvPT0_PS2_if,comdat
	.protected	_ZN5aiter18act_and_mul_kernelIDF16_DF16_TnPFfRKT_EXadL_ZNS_11silu_kernelIDF16_EEfS3_EELi32ELb0ELi3EEEvPT0_PS2_if ; -- Begin function _ZN5aiter18act_and_mul_kernelIDF16_DF16_TnPFfRKT_EXadL_ZNS_11silu_kernelIDF16_EEfS3_EELi32ELb0ELi3EEEvPT0_PS2_if
	.globl	_ZN5aiter18act_and_mul_kernelIDF16_DF16_TnPFfRKT_EXadL_ZNS_11silu_kernelIDF16_EEfS3_EELi32ELb0ELi3EEEvPT0_PS2_if
	.p2align	8
	.type	_ZN5aiter18act_and_mul_kernelIDF16_DF16_TnPFfRKT_EXadL_ZNS_11silu_kernelIDF16_EEfS3_EELi32ELb0ELi3EEEvPT0_PS2_if,@function
_ZN5aiter18act_and_mul_kernelIDF16_DF16_TnPFfRKT_EXadL_ZNS_11silu_kernelIDF16_EEfS3_EELi32ELb0ELi3EEEvPT0_PS2_if: ; @_ZN5aiter18act_and_mul_kernelIDF16_DF16_TnPFfRKT_EXadL_ZNS_11silu_kernelIDF16_EEfS3_EELi32ELb0ELi3EEEvPT0_PS2_if
; %bb.0:
	s_load_dword s16, s[0:1], 0x10
	v_lshlrev_b32_e32 v32, 5, v0
	s_waitcnt lgkmcnt(0)
	v_cmp_gt_i32_e32 vcc, s16, v32
	s_and_saveexec_b64 s[4:5], vcc
	s_cbranch_execz .LBB43_3
; %bb.1:
	s_load_dwordx4 s[12:15], s[0:1], 0x0
	s_ashr_i32 s17, s16, 31
	s_mul_hi_u32 s3, s16, s2
	s_mul_i32 s4, s17, s2
	s_add_i32 s3, s3, s4
	s_mul_i32 s2, s16, s2
	s_lshl_b64 s[10:11], s[2:3], 1
	s_lshl_b64 s[2:3], s[2:3], 2
	s_waitcnt lgkmcnt(0)
	s_add_u32 s4, s14, s2
	s_addc_u32 s5, s15, s3
	s_lshl_b64 s[2:3], s[16:17], 1
	s_add_u32 s8, s4, s2
	s_addc_u32 s2, s5, s3
	s_add_i32 s3, s16, 1
	s_lshr_b32 s6, s3, 31
	s_add_i32 s3, s3, s6
	s_lshl_b32 s3, s3, 1
	s_and_b32 s6, s3, -4
	s_and_b32 s5, s5, 0xffff
	s_and_b32 s9, s2, 0xffff
	s_add_u32 s12, s12, s10
	s_addc_u32 s2, s13, s11
	s_and_b32 s13, s2, 0xffff
	s_mov_b32 s7, 0x20000
	s_add_u32 s0, s0, 24
	v_mov_b32_e32 v33, 0
	s_addc_u32 s1, s1, 0
	s_mov_b64 s[2:3], 0
	s_mov_b32 s19, 0
	s_mov_b32 s20, 0xbfb8aa3b
	;; [unrolled: 1-line block ×5, first 2 shown]
	v_mov_b32_e32 v34, 0x7f800000
	s_mov_b32 s10, s6
	s_mov_b32 s11, s7
	s_mov_b32 s14, s6
	s_mov_b32 s15, s7
.LBB43_2:                               ; =>This Inner Loop Header: Depth=1
	v_lshlrev_b32_e32 v35, 1, v32
	buffer_load_dwordx4 v[24:27], v35, s[4:7], 0 offen sc0 nt
	buffer_load_dwordx4 v[16:19], v35, s[4:7], 16 offen sc0 nt
	;; [unrolled: 1-line block ×8, first 2 shown]
	s_waitcnt vmcnt(7)
	v_cvt_f32_f16_e32 v38, v24
	v_cvt_f32_f16_sdwa v39, v24 dst_sel:DWORD dst_unused:UNUSED_PAD src0_sel:WORD_1
	s_waitcnt vmcnt(3)
	v_cvt_f32_f16_e32 v36, v28
	v_cvt_f32_f16_sdwa v37, v28 dst_sel:DWORD dst_unused:UNUSED_PAD src0_sel:WORD_1
	v_mul_f32_e32 v28, 0xbfb8aa3b, v38
	v_fma_mix_f32 v40, v24, s20, -v28 op_sel_hi:[1,0,0]
	v_rndne_f32_e32 v41, v28
	v_fma_mix_f32 v40, v24, s21, v40 op_sel_hi:[1,0,0]
	v_sub_f32_e32 v28, v28, v41
	v_add_f32_e32 v28, v28, v40
	v_exp_f32_e32 v28, v28
	v_cvt_i32_f32_e32 v40, v41
	v_cmp_nlt_f32_e32 vcc, s22, v38
	v_ldexp_f32 v28, v28, v40
	s_nop 0
	v_cndmask_b32_e32 v28, 0, v28, vcc
	v_cmp_ngt_f32_e32 vcc, s23, v38
	s_nop 1
	v_cndmask_b32_e32 v28, v34, v28, vcc
	v_add_f32_e32 v28, 1.0, v28
	v_rcp_f32_e32 v40, v28
	v_mul_f32_e32 v28, 0xbfb8aa3b, v39
	v_fma_mix_f32 v41, v24, s20, -v28 op_sel:[1,0,0] op_sel_hi:[1,0,0]
	v_cmp_nlt_f32_e32 vcc, s22, v39
	v_fma_mix_f32 v24, v24, s21, v41 op_sel:[1,0,0] op_sel_hi:[1,0,0]
	v_rndne_f32_e32 v41, v28
	v_sub_f32_e32 v28, v28, v41
	v_add_f32_e32 v24, v28, v24
	v_exp_f32_e32 v24, v24
	v_cvt_i32_f32_e32 v28, v41
	v_ldexp_f32 v24, v24, v28
	v_cndmask_b32_e32 v24, 0, v24, vcc
	v_cmp_ngt_f32_e32 vcc, s23, v39
	s_nop 1
	v_cndmask_b32_e32 v24, v34, v24, vcc
	v_add_f32_e32 v24, 1.0, v24
	v_rcp_f32_e32 v41, v24
	s_nop 0
	v_pk_mul_f32 v[38:39], v[40:41], v[38:39]
	s_nop 0
	;;#ASMSTART
	v_pk_mul_f32 v[36:37], v[38:39], v[36:37]
	;;#ASMEND
	v_cvt_f32_f16_e32 v38, v25
	v_cvt_f16_f32_e32 v24, v36
	v_cvt_f16_f32_e32 v28, v37
	v_cvt_f32_f16_e32 v36, v29
	v_cvt_f32_f16_sdwa v37, v29 dst_sel:DWORD dst_unused:UNUSED_PAD src0_sel:WORD_1
	v_mul_f32_e32 v29, 0xbfb8aa3b, v38
	v_fma_mix_f32 v40, v25, s20, -v29 op_sel_hi:[1,0,0]
	v_rndne_f32_e32 v41, v29
	v_fma_mix_f32 v40, v25, s21, v40 op_sel_hi:[1,0,0]
	v_sub_f32_e32 v29, v29, v41
	v_add_f32_e32 v29, v29, v40
	v_exp_f32_e32 v29, v29
	v_cvt_i32_f32_e32 v40, v41
	v_cvt_f32_f16_sdwa v39, v25 dst_sel:DWORD dst_unused:UNUSED_PAD src0_sel:WORD_1
	v_cmp_nlt_f32_e32 vcc, s22, v38
	v_ldexp_f32 v29, v29, v40
	s_nop 0
	v_cndmask_b32_e32 v29, 0, v29, vcc
	v_cmp_ngt_f32_e32 vcc, s23, v38
	s_nop 1
	v_cndmask_b32_e32 v29, v34, v29, vcc
	v_add_f32_e32 v29, 1.0, v29
	v_rcp_f32_e32 v40, v29
	v_mul_f32_e32 v29, 0xbfb8aa3b, v39
	v_fma_mix_f32 v41, v25, s20, -v29 op_sel:[1,0,0] op_sel_hi:[1,0,0]
	v_cmp_nlt_f32_e32 vcc, s22, v39
	v_fma_mix_f32 v25, v25, s21, v41 op_sel:[1,0,0] op_sel_hi:[1,0,0]
	v_rndne_f32_e32 v41, v29
	v_sub_f32_e32 v29, v29, v41
	v_add_f32_e32 v25, v29, v25
	v_exp_f32_e32 v25, v25
	v_cvt_i32_f32_e32 v29, v41
	v_ldexp_f32 v25, v25, v29
	v_cndmask_b32_e32 v25, 0, v25, vcc
	v_cmp_ngt_f32_e32 vcc, s23, v39
	s_nop 1
	v_cndmask_b32_e32 v25, v34, v25, vcc
	v_add_f32_e32 v25, 1.0, v25
	v_rcp_f32_e32 v41, v25
	s_nop 0
	v_pk_mul_f32 v[38:39], v[40:41], v[38:39]
	s_nop 0
	;;#ASMSTART
	v_pk_mul_f32 v[36:37], v[38:39], v[36:37]
	;;#ASMEND
	v_cvt_f32_f16_e32 v38, v26
	v_cvt_f16_f32_e32 v25, v36
	v_cvt_f16_f32_e32 v29, v37
	v_cvt_f32_f16_e32 v36, v30
	v_cvt_f32_f16_sdwa v37, v30 dst_sel:DWORD dst_unused:UNUSED_PAD src0_sel:WORD_1
	v_mul_f32_e32 v30, 0xbfb8aa3b, v38
	v_fma_mix_f32 v40, v26, s20, -v30 op_sel_hi:[1,0,0]
	v_rndne_f32_e32 v41, v30
	v_fma_mix_f32 v40, v26, s21, v40 op_sel_hi:[1,0,0]
	v_sub_f32_e32 v30, v30, v41
	v_add_f32_e32 v30, v30, v40
	v_exp_f32_e32 v30, v30
	v_cvt_i32_f32_e32 v40, v41
	v_cvt_f32_f16_sdwa v39, v26 dst_sel:DWORD dst_unused:UNUSED_PAD src0_sel:WORD_1
	;; [unrolled: 45-line block ×3, first 2 shown]
	v_cmp_nlt_f32_e32 vcc, s22, v38
	v_ldexp_f32 v31, v31, v40
	s_nop 0
	v_cndmask_b32_e32 v31, 0, v31, vcc
	v_cmp_ngt_f32_e32 vcc, s23, v38
	s_nop 1
	v_cndmask_b32_e32 v31, v34, v31, vcc
	v_add_f32_e32 v31, 1.0, v31
	v_rcp_f32_e32 v40, v31
	v_mul_f32_e32 v31, 0xbfb8aa3b, v39
	v_fma_mix_f32 v41, v27, s20, -v31 op_sel:[1,0,0] op_sel_hi:[1,0,0]
	v_cmp_nlt_f32_e32 vcc, s22, v39
	v_fma_mix_f32 v27, v27, s21, v41 op_sel:[1,0,0] op_sel_hi:[1,0,0]
	v_rndne_f32_e32 v41, v31
	v_sub_f32_e32 v31, v31, v41
	v_add_f32_e32 v27, v31, v27
	v_exp_f32_e32 v27, v27
	v_cvt_i32_f32_e32 v31, v41
	v_ldexp_f32 v27, v27, v31
	v_cndmask_b32_e32 v27, 0, v27, vcc
	v_cmp_ngt_f32_e32 vcc, s23, v39
	s_nop 1
	v_cndmask_b32_e32 v27, v34, v27, vcc
	v_add_f32_e32 v27, 1.0, v27
	v_rcp_f32_e32 v41, v27
	s_nop 0
	v_pk_mul_f32 v[38:39], v[40:41], v[38:39]
	s_nop 0
	;;#ASMSTART
	v_pk_mul_f32 v[36:37], v[38:39], v[36:37]
	;;#ASMEND
	v_cvt_f32_f16_e32 v38, v16
	v_cvt_f16_f32_e32 v27, v36
	v_cvt_f16_f32_e32 v31, v37
	s_waitcnt vmcnt(2)
	v_cvt_f32_f16_e32 v36, v20
	v_cvt_f32_f16_sdwa v37, v20 dst_sel:DWORD dst_unused:UNUSED_PAD src0_sel:WORD_1
	v_mul_f32_e32 v20, 0xbfb8aa3b, v38
	v_fma_mix_f32 v40, v16, s20, -v20 op_sel_hi:[1,0,0]
	v_rndne_f32_e32 v41, v20
	v_fma_mix_f32 v40, v16, s21, v40 op_sel_hi:[1,0,0]
	v_sub_f32_e32 v20, v20, v41
	v_add_f32_e32 v20, v20, v40
	v_exp_f32_e32 v20, v20
	v_cvt_i32_f32_e32 v40, v41
	v_cvt_f32_f16_sdwa v39, v16 dst_sel:DWORD dst_unused:UNUSED_PAD src0_sel:WORD_1
	v_cmp_nlt_f32_e32 vcc, s22, v38
	v_ldexp_f32 v20, v20, v40
	s_nop 0
	v_cndmask_b32_e32 v20, 0, v20, vcc
	v_cmp_ngt_f32_e32 vcc, s23, v38
	s_nop 1
	v_cndmask_b32_e32 v20, v34, v20, vcc
	v_add_f32_e32 v20, 1.0, v20
	v_rcp_f32_e32 v40, v20
	v_mul_f32_e32 v20, 0xbfb8aa3b, v39
	v_fma_mix_f32 v41, v16, s20, -v20 op_sel:[1,0,0] op_sel_hi:[1,0,0]
	v_cmp_nlt_f32_e32 vcc, s22, v39
	v_fma_mix_f32 v16, v16, s21, v41 op_sel:[1,0,0] op_sel_hi:[1,0,0]
	v_rndne_f32_e32 v41, v20
	v_sub_f32_e32 v20, v20, v41
	v_add_f32_e32 v16, v20, v16
	v_exp_f32_e32 v16, v16
	v_cvt_i32_f32_e32 v20, v41
	v_ldexp_f32 v16, v16, v20
	v_cndmask_b32_e32 v16, 0, v16, vcc
	v_cmp_ngt_f32_e32 vcc, s23, v39
	s_nop 1
	v_cndmask_b32_e32 v16, v34, v16, vcc
	v_add_f32_e32 v16, 1.0, v16
	v_rcp_f32_e32 v41, v16
	s_nop 0
	v_pk_mul_f32 v[38:39], v[40:41], v[38:39]
	s_nop 0
	;;#ASMSTART
	v_pk_mul_f32 v[36:37], v[38:39], v[36:37]
	;;#ASMEND
	v_cvt_f32_f16_e32 v38, v17
	v_cvt_f16_f32_e32 v16, v36
	v_cvt_f16_f32_e32 v20, v37
	v_cvt_f32_f16_e32 v36, v21
	v_cvt_f32_f16_sdwa v37, v21 dst_sel:DWORD dst_unused:UNUSED_PAD src0_sel:WORD_1
	v_mul_f32_e32 v21, 0xbfb8aa3b, v38
	v_fma_mix_f32 v40, v17, s20, -v21 op_sel_hi:[1,0,0]
	v_rndne_f32_e32 v41, v21
	v_fma_mix_f32 v40, v17, s21, v40 op_sel_hi:[1,0,0]
	v_sub_f32_e32 v21, v21, v41
	v_add_f32_e32 v21, v21, v40
	v_exp_f32_e32 v21, v21
	v_cvt_i32_f32_e32 v40, v41
	v_cvt_f32_f16_sdwa v39, v17 dst_sel:DWORD dst_unused:UNUSED_PAD src0_sel:WORD_1
	v_cmp_nlt_f32_e32 vcc, s22, v38
	v_ldexp_f32 v21, v21, v40
	s_nop 0
	v_cndmask_b32_e32 v21, 0, v21, vcc
	v_cmp_ngt_f32_e32 vcc, s23, v38
	s_nop 1
	v_cndmask_b32_e32 v21, v34, v21, vcc
	v_add_f32_e32 v21, 1.0, v21
	v_rcp_f32_e32 v40, v21
	v_mul_f32_e32 v21, 0xbfb8aa3b, v39
	v_fma_mix_f32 v41, v17, s20, -v21 op_sel:[1,0,0] op_sel_hi:[1,0,0]
	v_cmp_nlt_f32_e32 vcc, s22, v39
	v_fma_mix_f32 v17, v17, s21, v41 op_sel:[1,0,0] op_sel_hi:[1,0,0]
	v_rndne_f32_e32 v41, v21
	v_sub_f32_e32 v21, v21, v41
	v_add_f32_e32 v17, v21, v17
	v_exp_f32_e32 v17, v17
	v_cvt_i32_f32_e32 v21, v41
	v_ldexp_f32 v17, v17, v21
	v_cndmask_b32_e32 v17, 0, v17, vcc
	v_cmp_ngt_f32_e32 vcc, s23, v39
	s_nop 1
	v_cndmask_b32_e32 v17, v34, v17, vcc
	v_add_f32_e32 v17, 1.0, v17
	v_rcp_f32_e32 v41, v17
	s_nop 0
	v_pk_mul_f32 v[38:39], v[40:41], v[38:39]
	s_nop 0
	;;#ASMSTART
	v_pk_mul_f32 v[36:37], v[38:39], v[36:37]
	;;#ASMEND
	v_cvt_f32_f16_e32 v38, v18
	v_cvt_f16_f32_e32 v17, v36
	v_cvt_f16_f32_e32 v21, v37
	;; [unrolled: 45-line block ×4, first 2 shown]
	s_waitcnt vmcnt(1)
	v_cvt_f32_f16_e32 v36, v12
	v_cvt_f32_f16_sdwa v37, v12 dst_sel:DWORD dst_unused:UNUSED_PAD src0_sel:WORD_1
	v_mul_f32_e32 v12, 0xbfb8aa3b, v38
	v_fma_mix_f32 v40, v8, s20, -v12 op_sel_hi:[1,0,0]
	v_rndne_f32_e32 v41, v12
	v_fma_mix_f32 v40, v8, s21, v40 op_sel_hi:[1,0,0]
	v_sub_f32_e32 v12, v12, v41
	v_add_f32_e32 v12, v12, v40
	v_exp_f32_e32 v12, v12
	v_cvt_i32_f32_e32 v40, v41
	v_cvt_f32_f16_sdwa v39, v8 dst_sel:DWORD dst_unused:UNUSED_PAD src0_sel:WORD_1
	v_cmp_nlt_f32_e32 vcc, s22, v38
	v_ldexp_f32 v12, v12, v40
	s_nop 0
	v_cndmask_b32_e32 v12, 0, v12, vcc
	v_cmp_ngt_f32_e32 vcc, s23, v38
	s_nop 1
	v_cndmask_b32_e32 v12, v34, v12, vcc
	v_add_f32_e32 v12, 1.0, v12
	v_rcp_f32_e32 v40, v12
	v_mul_f32_e32 v12, 0xbfb8aa3b, v39
	v_fma_mix_f32 v41, v8, s20, -v12 op_sel:[1,0,0] op_sel_hi:[1,0,0]
	v_cmp_nlt_f32_e32 vcc, s22, v39
	v_fma_mix_f32 v8, v8, s21, v41 op_sel:[1,0,0] op_sel_hi:[1,0,0]
	v_rndne_f32_e32 v41, v12
	v_sub_f32_e32 v12, v12, v41
	v_add_f32_e32 v8, v12, v8
	v_exp_f32_e32 v8, v8
	v_cvt_i32_f32_e32 v12, v41
	v_ldexp_f32 v8, v8, v12
	v_cndmask_b32_e32 v8, 0, v8, vcc
	v_cmp_ngt_f32_e32 vcc, s23, v39
	s_nop 1
	v_cndmask_b32_e32 v8, v34, v8, vcc
	v_add_f32_e32 v8, 1.0, v8
	v_rcp_f32_e32 v41, v8
	s_nop 0
	v_pk_mul_f32 v[38:39], v[40:41], v[38:39]
	s_nop 0
	;;#ASMSTART
	v_pk_mul_f32 v[36:37], v[38:39], v[36:37]
	;;#ASMEND
	v_cvt_f32_f16_e32 v38, v9
	v_cvt_f16_f32_e32 v8, v36
	v_cvt_f16_f32_e32 v12, v37
	v_cvt_f32_f16_e32 v36, v13
	v_cvt_f32_f16_sdwa v37, v13 dst_sel:DWORD dst_unused:UNUSED_PAD src0_sel:WORD_1
	v_mul_f32_e32 v13, 0xbfb8aa3b, v38
	v_fma_mix_f32 v40, v9, s20, -v13 op_sel_hi:[1,0,0]
	v_rndne_f32_e32 v41, v13
	v_fma_mix_f32 v40, v9, s21, v40 op_sel_hi:[1,0,0]
	v_sub_f32_e32 v13, v13, v41
	v_add_f32_e32 v13, v13, v40
	v_exp_f32_e32 v13, v13
	v_cvt_i32_f32_e32 v40, v41
	v_cvt_f32_f16_sdwa v39, v9 dst_sel:DWORD dst_unused:UNUSED_PAD src0_sel:WORD_1
	v_cmp_nlt_f32_e32 vcc, s22, v38
	v_ldexp_f32 v13, v13, v40
	s_nop 0
	v_cndmask_b32_e32 v13, 0, v13, vcc
	v_cmp_ngt_f32_e32 vcc, s23, v38
	s_nop 1
	v_cndmask_b32_e32 v13, v34, v13, vcc
	v_add_f32_e32 v13, 1.0, v13
	v_rcp_f32_e32 v40, v13
	v_mul_f32_e32 v13, 0xbfb8aa3b, v39
	v_fma_mix_f32 v41, v9, s20, -v13 op_sel:[1,0,0] op_sel_hi:[1,0,0]
	v_cmp_nlt_f32_e32 vcc, s22, v39
	v_fma_mix_f32 v9, v9, s21, v41 op_sel:[1,0,0] op_sel_hi:[1,0,0]
	v_rndne_f32_e32 v41, v13
	v_sub_f32_e32 v13, v13, v41
	v_add_f32_e32 v9, v13, v9
	v_exp_f32_e32 v9, v9
	v_cvt_i32_f32_e32 v13, v41
	v_ldexp_f32 v9, v9, v13
	v_cndmask_b32_e32 v9, 0, v9, vcc
	v_cmp_ngt_f32_e32 vcc, s23, v39
	s_nop 1
	v_cndmask_b32_e32 v9, v34, v9, vcc
	v_add_f32_e32 v9, 1.0, v9
	v_rcp_f32_e32 v41, v9
	s_nop 0
	v_pk_mul_f32 v[38:39], v[40:41], v[38:39]
	s_nop 0
	;;#ASMSTART
	v_pk_mul_f32 v[36:37], v[38:39], v[36:37]
	;;#ASMEND
	v_cvt_f32_f16_e32 v38, v10
	v_cvt_f16_f32_e32 v9, v36
	v_cvt_f16_f32_e32 v13, v37
	;; [unrolled: 45-line block ×4, first 2 shown]
	s_waitcnt vmcnt(0)
	v_cvt_f32_f16_e32 v36, v4
	v_cvt_f32_f16_sdwa v37, v4 dst_sel:DWORD dst_unused:UNUSED_PAD src0_sel:WORD_1
	v_mul_f32_e32 v4, 0xbfb8aa3b, v38
	v_fma_mix_f32 v40, v0, s20, -v4 op_sel_hi:[1,0,0]
	v_rndne_f32_e32 v41, v4
	v_fma_mix_f32 v40, v0, s21, v40 op_sel_hi:[1,0,0]
	v_sub_f32_e32 v4, v4, v41
	v_add_f32_e32 v4, v4, v40
	v_exp_f32_e32 v4, v4
	v_cvt_i32_f32_e32 v40, v41
	v_cvt_f32_f16_sdwa v39, v0 dst_sel:DWORD dst_unused:UNUSED_PAD src0_sel:WORD_1
	v_cmp_nlt_f32_e32 vcc, s22, v38
	v_ldexp_f32 v4, v4, v40
	s_nop 0
	v_cndmask_b32_e32 v4, 0, v4, vcc
	v_cmp_ngt_f32_e32 vcc, s23, v38
	s_nop 1
	v_cndmask_b32_e32 v4, v34, v4, vcc
	v_add_f32_e32 v4, 1.0, v4
	v_rcp_f32_e32 v40, v4
	v_mul_f32_e32 v4, 0xbfb8aa3b, v39
	v_fma_mix_f32 v41, v0, s20, -v4 op_sel:[1,0,0] op_sel_hi:[1,0,0]
	v_cmp_nlt_f32_e32 vcc, s22, v39
	v_fma_mix_f32 v0, v0, s21, v41 op_sel:[1,0,0] op_sel_hi:[1,0,0]
	v_rndne_f32_e32 v41, v4
	v_sub_f32_e32 v4, v4, v41
	v_add_f32_e32 v0, v4, v0
	v_exp_f32_e32 v0, v0
	v_cvt_i32_f32_e32 v4, v41
	v_ldexp_f32 v0, v0, v4
	v_cndmask_b32_e32 v0, 0, v0, vcc
	v_cmp_ngt_f32_e32 vcc, s23, v39
	v_cvt_f32_f16_e32 v4, v5
	v_cvt_f32_f16_sdwa v5, v5 dst_sel:DWORD dst_unused:UNUSED_PAD src0_sel:WORD_1
	v_cndmask_b32_e32 v0, v34, v0, vcc
	v_add_f32_e32 v0, 1.0, v0
	v_rcp_f32_e32 v41, v0
	s_nop 0
	v_pk_mul_f32 v[38:39], v[40:41], v[38:39]
	s_nop 0
	;;#ASMSTART
	v_pk_mul_f32 v[36:37], v[38:39], v[36:37]
	;;#ASMEND
	v_cvt_f32_f16_e32 v38, v1
	v_cvt_f32_f16_sdwa v39, v1 dst_sel:DWORD dst_unused:UNUSED_PAD src0_sel:WORD_1
	v_cvt_f16_f32_e32 v36, v36
	v_cvt_f16_f32_e32 v37, v37
	v_mul_f32_e32 v0, 0xbfb8aa3b, v38
	v_fma_mix_f32 v40, v1, s20, -v0 op_sel_hi:[1,0,0]
	v_rndne_f32_e32 v41, v0
	v_fma_mix_f32 v40, v1, s21, v40 op_sel_hi:[1,0,0]
	v_sub_f32_e32 v0, v0, v41
	v_add_f32_e32 v0, v0, v40
	v_exp_f32_e32 v0, v0
	v_cvt_i32_f32_e32 v40, v41
	v_cmp_nlt_f32_e32 vcc, s22, v38
	v_ldexp_f32 v0, v0, v40
	v_mul_f32_e32 v40, 0xbfb8aa3b, v39
	v_fma_mix_f32 v41, v1, s20, -v40 op_sel:[1,0,0] op_sel_hi:[1,0,0]
	v_cndmask_b32_e32 v0, 0, v0, vcc
	v_fma_mix_f32 v1, v1, s21, v41 op_sel:[1,0,0] op_sel_hi:[1,0,0]
	v_rndne_f32_e32 v41, v40
	v_sub_f32_e32 v40, v40, v41
	v_add_f32_e32 v1, v40, v1
	v_exp_f32_e32 v1, v1
	v_cvt_i32_f32_e32 v40, v41
	v_cmp_ngt_f32_e32 vcc, s23, v38
	v_ldexp_f32 v1, v1, v40
	s_nop 0
	v_cndmask_b32_e32 v0, v34, v0, vcc
	v_cmp_nlt_f32_e32 vcc, s22, v39
	v_add_f32_e32 v0, 1.0, v0
	v_rcp_f32_e32 v0, v0
	v_cndmask_b32_e32 v1, 0, v1, vcc
	v_cmp_ngt_f32_e32 vcc, s23, v39
	s_nop 1
	v_cndmask_b32_e32 v1, v34, v1, vcc
	v_add_f32_e32 v1, 1.0, v1
	v_rcp_f32_e32 v1, v1
	s_nop 0
	v_pk_mul_f32 v[0:1], v[0:1], v[38:39]
	s_nop 0
	;;#ASMSTART
	v_pk_mul_f32 v[0:1], v[0:1], v[4:5]
	;;#ASMEND
	v_cvt_f32_f16_e32 v4, v2
	v_cvt_f16_f32_e32 v38, v0
	v_cvt_f16_f32_e32 v39, v1
	v_cvt_f32_f16_e32 v0, v6
	v_cvt_f32_f16_sdwa v1, v6 dst_sel:DWORD dst_unused:UNUSED_PAD src0_sel:WORD_1
	v_mul_f32_e32 v6, 0xbfb8aa3b, v4
	v_fma_mix_f32 v40, v2, s20, -v6 op_sel_hi:[1,0,0]
	v_rndne_f32_e32 v41, v6
	v_fma_mix_f32 v40, v2, s21, v40 op_sel_hi:[1,0,0]
	v_sub_f32_e32 v6, v6, v41
	v_add_f32_e32 v6, v6, v40
	v_exp_f32_e32 v6, v6
	v_cvt_i32_f32_e32 v40, v41
	v_cvt_f32_f16_sdwa v5, v2 dst_sel:DWORD dst_unused:UNUSED_PAD src0_sel:WORD_1
	v_cmp_nlt_f32_e32 vcc, s22, v4
	v_ldexp_f32 v6, v6, v40
	s_nop 0
	v_cndmask_b32_e32 v6, 0, v6, vcc
	v_cmp_ngt_f32_e32 vcc, s23, v4
	s_nop 1
	v_cndmask_b32_e32 v6, v34, v6, vcc
	v_add_f32_e32 v6, 1.0, v6
	v_rcp_f32_e32 v40, v6
	v_mul_f32_e32 v6, 0xbfb8aa3b, v5
	v_fma_mix_f32 v41, v2, s20, -v6 op_sel:[1,0,0] op_sel_hi:[1,0,0]
	v_cmp_nlt_f32_e32 vcc, s22, v5
	v_fma_mix_f32 v2, v2, s21, v41 op_sel:[1,0,0] op_sel_hi:[1,0,0]
	v_rndne_f32_e32 v41, v6
	v_sub_f32_e32 v6, v6, v41
	v_add_f32_e32 v2, v6, v2
	v_exp_f32_e32 v2, v2
	v_cvt_i32_f32_e32 v6, v41
	v_ldexp_f32 v2, v2, v6
	v_cndmask_b32_e32 v2, 0, v2, vcc
	v_cmp_ngt_f32_e32 vcc, s23, v5
	s_nop 1
	v_cndmask_b32_e32 v2, v34, v2, vcc
	v_add_f32_e32 v2, 1.0, v2
	v_rcp_f32_e32 v41, v2
	s_nop 0
	v_pk_mul_f32 v[4:5], v[40:41], v[4:5]
	s_nop 0
	;;#ASMSTART
	v_pk_mul_f32 v[0:1], v[4:5], v[0:1]
	;;#ASMEND
	v_cvt_f32_f16_e32 v4, v3
	v_cvt_f16_f32_e32 v6, v0
	v_cvt_f16_f32_e32 v40, v1
	v_cvt_f32_f16_e32 v0, v7
	v_mul_f32_e32 v2, 0xbfb8aa3b, v4
	v_cvt_f32_f16_sdwa v1, v7 dst_sel:DWORD dst_unused:UNUSED_PAD src0_sel:WORD_1
	v_fma_mix_f32 v7, v3, s20, -v2 op_sel_hi:[1,0,0]
	v_rndne_f32_e32 v41, v2
	v_fma_mix_f32 v7, v3, s21, v7 op_sel_hi:[1,0,0]
	v_sub_f32_e32 v2, v2, v41
	v_add_f32_e32 v2, v2, v7
	v_cvt_f32_f16_sdwa v5, v3 dst_sel:DWORD dst_unused:UNUSED_PAD src0_sel:WORD_1
	v_exp_f32_e32 v2, v2
	v_cvt_i32_f32_e32 v7, v41
	v_cmp_nlt_f32_e32 vcc, s22, v4
	v_ldexp_f32 v2, v2, v7
	v_mul_f32_e32 v7, 0xbfb8aa3b, v5
	v_fma_mix_f32 v41, v3, s20, -v7 op_sel:[1,0,0] op_sel_hi:[1,0,0]
	v_cndmask_b32_e32 v2, 0, v2, vcc
	v_fma_mix_f32 v3, v3, s21, v41 op_sel:[1,0,0] op_sel_hi:[1,0,0]
	v_rndne_f32_e32 v41, v7
	v_sub_f32_e32 v7, v7, v41
	v_add_f32_e32 v3, v7, v3
	v_exp_f32_e32 v3, v3
	v_cvt_i32_f32_e32 v7, v41
	v_cmp_ngt_f32_e32 vcc, s23, v4
	v_ldexp_f32 v3, v3, v7
	s_nop 0
	v_cndmask_b32_e32 v2, v34, v2, vcc
	v_cmp_nlt_f32_e32 vcc, s22, v5
	v_add_f32_e32 v2, 1.0, v2
	v_rcp_f32_e32 v2, v2
	v_cndmask_b32_e32 v3, 0, v3, vcc
	v_cmp_ngt_f32_e32 vcc, s23, v5
	s_nop 1
	v_cndmask_b32_e32 v3, v34, v3, vcc
	v_add_f32_e32 v3, 1.0, v3
	v_rcp_f32_e32 v3, v3
	s_nop 0
	v_pk_mul_f32 v[2:3], v[2:3], v[4:5]
	s_nop 0
	;;#ASMSTART
	v_pk_mul_f32 v[0:1], v[2:3], v[0:1]
	;;#ASMEND
	s_load_dword s18, s[0:1], 0xc
	v_cvt_f16_f32_e32 v4, v0
	v_cvt_f16_f32_e32 v5, v1
	v_pack_b32_f16 v0, v24, v28
	v_pack_b32_f16 v1, v25, v29
	s_waitcnt lgkmcnt(0)
	s_and_b32 s18, s18, 0xffff
	v_pack_b32_f16 v2, v26, v30
	v_pack_b32_f16 v3, v27, v31
	s_lshl_b32 s18, s18, 5
	buffer_store_dwordx4 v[0:3], v35, s[12:15], 0 offen
	v_lshl_add_u64 v[32:33], s[18:19], 0, v[32:33]
	v_cmp_le_i64_e32 vcc, s[16:17], v[32:33]
	v_pack_b32_f16 v0, v16, v20
	v_pack_b32_f16 v1, v17, v21
	;; [unrolled: 1-line block ×4, first 2 shown]
	buffer_store_dwordx4 v[0:3], v35, s[12:15], 16 offen
	s_or_b64 s[2:3], vcc, s[2:3]
	s_nop 0
	v_pack_b32_f16 v0, v8, v12
	v_pack_b32_f16 v1, v9, v13
	;; [unrolled: 1-line block ×4, first 2 shown]
	buffer_store_dwordx4 v[0:3], v35, s[12:15], 32 offen
	s_nop 1
	v_pack_b32_f16 v0, v36, v37
	v_pack_b32_f16 v1, v38, v39
	;; [unrolled: 1-line block ×4, first 2 shown]
	buffer_store_dwordx4 v[0:3], v35, s[12:15], 48 offen
	s_andn2_b64 exec, exec, s[2:3]
	s_cbranch_execnz .LBB43_2
.LBB43_3:
	s_endpgm
	.section	.rodata,"a",@progbits
	.p2align	6, 0x0
	.amdhsa_kernel _ZN5aiter18act_and_mul_kernelIDF16_DF16_TnPFfRKT_EXadL_ZNS_11silu_kernelIDF16_EEfS3_EELi32ELb0ELi3EEEvPT0_PS2_if
		.amdhsa_group_segment_fixed_size 0
		.amdhsa_private_segment_fixed_size 0
		.amdhsa_kernarg_size 280
		.amdhsa_user_sgpr_count 2
		.amdhsa_user_sgpr_dispatch_ptr 0
		.amdhsa_user_sgpr_queue_ptr 0
		.amdhsa_user_sgpr_kernarg_segment_ptr 1
		.amdhsa_user_sgpr_dispatch_id 0
		.amdhsa_user_sgpr_kernarg_preload_length 0
		.amdhsa_user_sgpr_kernarg_preload_offset 0
		.amdhsa_user_sgpr_private_segment_size 0
		.amdhsa_uses_dynamic_stack 0
		.amdhsa_enable_private_segment 0
		.amdhsa_system_sgpr_workgroup_id_x 1
		.amdhsa_system_sgpr_workgroup_id_y 0
		.amdhsa_system_sgpr_workgroup_id_z 0
		.amdhsa_system_sgpr_workgroup_info 0
		.amdhsa_system_vgpr_workitem_id 0
		.amdhsa_next_free_vgpr 42
		.amdhsa_next_free_sgpr 24
		.amdhsa_accum_offset 44
		.amdhsa_reserve_vcc 1
		.amdhsa_float_round_mode_32 0
		.amdhsa_float_round_mode_16_64 0
		.amdhsa_float_denorm_mode_32 3
		.amdhsa_float_denorm_mode_16_64 3
		.amdhsa_dx10_clamp 1
		.amdhsa_ieee_mode 1
		.amdhsa_fp16_overflow 0
		.amdhsa_tg_split 0
		.amdhsa_exception_fp_ieee_invalid_op 0
		.amdhsa_exception_fp_denorm_src 0
		.amdhsa_exception_fp_ieee_div_zero 0
		.amdhsa_exception_fp_ieee_overflow 0
		.amdhsa_exception_fp_ieee_underflow 0
		.amdhsa_exception_fp_ieee_inexact 0
		.amdhsa_exception_int_div_zero 0
	.end_amdhsa_kernel
	.section	.text._ZN5aiter18act_and_mul_kernelIDF16_DF16_TnPFfRKT_EXadL_ZNS_11silu_kernelIDF16_EEfS3_EELi32ELb0ELi3EEEvPT0_PS2_if,"axG",@progbits,_ZN5aiter18act_and_mul_kernelIDF16_DF16_TnPFfRKT_EXadL_ZNS_11silu_kernelIDF16_EEfS3_EELi32ELb0ELi3EEEvPT0_PS2_if,comdat
.Lfunc_end43:
	.size	_ZN5aiter18act_and_mul_kernelIDF16_DF16_TnPFfRKT_EXadL_ZNS_11silu_kernelIDF16_EEfS3_EELi32ELb0ELi3EEEvPT0_PS2_if, .Lfunc_end43-_ZN5aiter18act_and_mul_kernelIDF16_DF16_TnPFfRKT_EXadL_ZNS_11silu_kernelIDF16_EEfS3_EELi32ELb0ELi3EEEvPT0_PS2_if
                                        ; -- End function
	.section	.AMDGPU.csdata,"",@progbits
; Kernel info:
; codeLenInByte = 4040
; NumSgprs: 30
; NumVgprs: 42
; NumAgprs: 0
; TotalNumVgprs: 42
; ScratchSize: 0
; MemoryBound: 0
; FloatMode: 240
; IeeeMode: 1
; LDSByteSize: 0 bytes/workgroup (compile time only)
; SGPRBlocks: 3
; VGPRBlocks: 5
; NumSGPRsForWavesPerEU: 30
; NumVGPRsForWavesPerEU: 42
; AccumOffset: 44
; Occupancy: 8
; WaveLimiterHint : 0
; COMPUTE_PGM_RSRC2:SCRATCH_EN: 0
; COMPUTE_PGM_RSRC2:USER_SGPR: 2
; COMPUTE_PGM_RSRC2:TRAP_HANDLER: 0
; COMPUTE_PGM_RSRC2:TGID_X_EN: 1
; COMPUTE_PGM_RSRC2:TGID_Y_EN: 0
; COMPUTE_PGM_RSRC2:TGID_Z_EN: 0
; COMPUTE_PGM_RSRC2:TIDIG_COMP_CNT: 0
; COMPUTE_PGM_RSRC3_GFX90A:ACCUM_OFFSET: 10
; COMPUTE_PGM_RSRC3_GFX90A:TG_SPLIT: 0
	.section	.text._ZN5aiter18act_and_mul_kernelIDF16_DF16_TnPFfRKT_EXadL_ZNS_11silu_kernelIDF16_EEfS3_EELi16ELb0ELi3EEEvPT0_PS2_if,"axG",@progbits,_ZN5aiter18act_and_mul_kernelIDF16_DF16_TnPFfRKT_EXadL_ZNS_11silu_kernelIDF16_EEfS3_EELi16ELb0ELi3EEEvPT0_PS2_if,comdat
	.protected	_ZN5aiter18act_and_mul_kernelIDF16_DF16_TnPFfRKT_EXadL_ZNS_11silu_kernelIDF16_EEfS3_EELi16ELb0ELi3EEEvPT0_PS2_if ; -- Begin function _ZN5aiter18act_and_mul_kernelIDF16_DF16_TnPFfRKT_EXadL_ZNS_11silu_kernelIDF16_EEfS3_EELi16ELb0ELi3EEEvPT0_PS2_if
	.globl	_ZN5aiter18act_and_mul_kernelIDF16_DF16_TnPFfRKT_EXadL_ZNS_11silu_kernelIDF16_EEfS3_EELi16ELb0ELi3EEEvPT0_PS2_if
	.p2align	8
	.type	_ZN5aiter18act_and_mul_kernelIDF16_DF16_TnPFfRKT_EXadL_ZNS_11silu_kernelIDF16_EEfS3_EELi16ELb0ELi3EEEvPT0_PS2_if,@function
_ZN5aiter18act_and_mul_kernelIDF16_DF16_TnPFfRKT_EXadL_ZNS_11silu_kernelIDF16_EEfS3_EELi16ELb0ELi3EEEvPT0_PS2_if: ; @_ZN5aiter18act_and_mul_kernelIDF16_DF16_TnPFfRKT_EXadL_ZNS_11silu_kernelIDF16_EEfS3_EELi16ELb0ELi3EEEvPT0_PS2_if
; %bb.0:
	s_load_dword s16, s[0:1], 0x10
	v_lshlrev_b32_e32 v16, 4, v0
	s_waitcnt lgkmcnt(0)
	v_cmp_gt_i32_e32 vcc, s16, v16
	s_and_saveexec_b64 s[4:5], vcc
	s_cbranch_execz .LBB44_3
; %bb.1:
	s_load_dwordx4 s[12:15], s[0:1], 0x0
	s_ashr_i32 s17, s16, 31
	s_mul_hi_u32 s3, s16, s2
	s_mul_i32 s4, s17, s2
	s_add_i32 s3, s3, s4
	s_mul_i32 s2, s16, s2
	s_lshl_b64 s[10:11], s[2:3], 1
	s_lshl_b64 s[2:3], s[2:3], 2
	s_waitcnt lgkmcnt(0)
	s_add_u32 s4, s14, s2
	s_addc_u32 s5, s15, s3
	s_lshl_b64 s[2:3], s[16:17], 1
	s_add_u32 s8, s4, s2
	s_addc_u32 s2, s5, s3
	s_add_i32 s3, s16, 1
	s_lshr_b32 s6, s3, 31
	s_add_i32 s3, s3, s6
	s_lshl_b32 s3, s3, 1
	s_and_b32 s6, s3, -4
	s_and_b32 s5, s5, 0xffff
	s_and_b32 s9, s2, 0xffff
	s_add_u32 s12, s12, s10
	s_addc_u32 s2, s13, s11
	s_and_b32 s13, s2, 0xffff
	s_mov_b32 s7, 0x20000
	s_add_u32 s0, s0, 24
	v_mov_b32_e32 v17, 0
	s_addc_u32 s1, s1, 0
	s_mov_b64 s[2:3], 0
	s_mov_b32 s19, 0
	s_mov_b32 s10, s6
	;; [unrolled: 1-line block ×7, first 2 shown]
	v_mov_b32_e32 v18, 0x7f800000
	s_mov_b32 s14, s6
	s_mov_b32 s15, s7
.LBB44_2:                               ; =>This Inner Loop Header: Depth=1
	v_lshlrev_b32_e32 v19, 1, v16
	buffer_load_dwordx4 v[8:11], v19, s[4:7], 0 offen sc0 nt
	buffer_load_dwordx4 v[0:3], v19, s[4:7], 16 offen sc0 nt
	;; [unrolled: 1-line block ×4, first 2 shown]
	s_waitcnt vmcnt(3)
	v_cvt_f32_f16_e32 v22, v8
	v_cvt_f32_f16_sdwa v23, v8 dst_sel:DWORD dst_unused:UNUSED_PAD src0_sel:WORD_1
	s_waitcnt vmcnt(1)
	v_cvt_f32_f16_e32 v20, v12
	v_cvt_f32_f16_sdwa v21, v12 dst_sel:DWORD dst_unused:UNUSED_PAD src0_sel:WORD_1
	v_mul_f32_e32 v12, 0xbfb8aa3b, v22
	v_fma_mix_f32 v24, v8, s20, -v12 op_sel_hi:[1,0,0]
	v_rndne_f32_e32 v25, v12
	v_fma_mix_f32 v24, v8, s21, v24 op_sel_hi:[1,0,0]
	v_sub_f32_e32 v12, v12, v25
	v_add_f32_e32 v12, v12, v24
	v_exp_f32_e32 v12, v12
	v_cvt_i32_f32_e32 v24, v25
	v_cmp_nlt_f32_e32 vcc, s22, v22
	v_ldexp_f32 v12, v12, v24
	s_nop 0
	v_cndmask_b32_e32 v12, 0, v12, vcc
	v_cmp_ngt_f32_e32 vcc, s23, v22
	s_nop 1
	v_cndmask_b32_e32 v12, v18, v12, vcc
	v_add_f32_e32 v12, 1.0, v12
	v_rcp_f32_e32 v24, v12
	v_mul_f32_e32 v12, 0xbfb8aa3b, v23
	v_fma_mix_f32 v25, v8, s20, -v12 op_sel:[1,0,0] op_sel_hi:[1,0,0]
	v_cmp_nlt_f32_e32 vcc, s22, v23
	v_fma_mix_f32 v8, v8, s21, v25 op_sel:[1,0,0] op_sel_hi:[1,0,0]
	v_rndne_f32_e32 v25, v12
	v_sub_f32_e32 v12, v12, v25
	v_add_f32_e32 v8, v12, v8
	v_exp_f32_e32 v8, v8
	v_cvt_i32_f32_e32 v12, v25
	v_ldexp_f32 v8, v8, v12
	v_cndmask_b32_e32 v8, 0, v8, vcc
	v_cmp_ngt_f32_e32 vcc, s23, v23
	s_nop 1
	v_cndmask_b32_e32 v8, v18, v8, vcc
	v_add_f32_e32 v8, 1.0, v8
	v_rcp_f32_e32 v25, v8
	s_nop 0
	v_pk_mul_f32 v[22:23], v[24:25], v[22:23]
	s_nop 0
	;;#ASMSTART
	v_pk_mul_f32 v[20:21], v[22:23], v[20:21]
	;;#ASMEND
	v_cvt_f32_f16_e32 v22, v9
	v_cvt_f16_f32_e32 v8, v20
	v_cvt_f16_f32_e32 v12, v21
	v_cvt_f32_f16_e32 v20, v13
	v_cvt_f32_f16_sdwa v21, v13 dst_sel:DWORD dst_unused:UNUSED_PAD src0_sel:WORD_1
	v_mul_f32_e32 v13, 0xbfb8aa3b, v22
	v_fma_mix_f32 v24, v9, s20, -v13 op_sel_hi:[1,0,0]
	v_rndne_f32_e32 v25, v13
	v_fma_mix_f32 v24, v9, s21, v24 op_sel_hi:[1,0,0]
	v_sub_f32_e32 v13, v13, v25
	v_add_f32_e32 v13, v13, v24
	v_exp_f32_e32 v13, v13
	v_cvt_i32_f32_e32 v24, v25
	v_cvt_f32_f16_sdwa v23, v9 dst_sel:DWORD dst_unused:UNUSED_PAD src0_sel:WORD_1
	v_cmp_nlt_f32_e32 vcc, s22, v22
	v_ldexp_f32 v13, v13, v24
	s_nop 0
	v_cndmask_b32_e32 v13, 0, v13, vcc
	v_cmp_ngt_f32_e32 vcc, s23, v22
	s_nop 1
	v_cndmask_b32_e32 v13, v18, v13, vcc
	v_add_f32_e32 v13, 1.0, v13
	v_rcp_f32_e32 v24, v13
	v_mul_f32_e32 v13, 0xbfb8aa3b, v23
	v_fma_mix_f32 v25, v9, s20, -v13 op_sel:[1,0,0] op_sel_hi:[1,0,0]
	v_cmp_nlt_f32_e32 vcc, s22, v23
	v_fma_mix_f32 v9, v9, s21, v25 op_sel:[1,0,0] op_sel_hi:[1,0,0]
	v_rndne_f32_e32 v25, v13
	v_sub_f32_e32 v13, v13, v25
	v_add_f32_e32 v9, v13, v9
	v_exp_f32_e32 v9, v9
	v_cvt_i32_f32_e32 v13, v25
	v_ldexp_f32 v9, v9, v13
	v_cndmask_b32_e32 v9, 0, v9, vcc
	v_cmp_ngt_f32_e32 vcc, s23, v23
	s_nop 1
	v_cndmask_b32_e32 v9, v18, v9, vcc
	v_add_f32_e32 v9, 1.0, v9
	v_rcp_f32_e32 v25, v9
	s_nop 0
	v_pk_mul_f32 v[22:23], v[24:25], v[22:23]
	s_nop 0
	;;#ASMSTART
	v_pk_mul_f32 v[20:21], v[22:23], v[20:21]
	;;#ASMEND
	v_cvt_f32_f16_e32 v22, v10
	v_cvt_f16_f32_e32 v9, v20
	v_cvt_f16_f32_e32 v13, v21
	v_cvt_f32_f16_e32 v20, v14
	v_cvt_f32_f16_sdwa v21, v14 dst_sel:DWORD dst_unused:UNUSED_PAD src0_sel:WORD_1
	v_mul_f32_e32 v14, 0xbfb8aa3b, v22
	v_fma_mix_f32 v24, v10, s20, -v14 op_sel_hi:[1,0,0]
	v_rndne_f32_e32 v25, v14
	v_fma_mix_f32 v24, v10, s21, v24 op_sel_hi:[1,0,0]
	v_sub_f32_e32 v14, v14, v25
	v_add_f32_e32 v14, v14, v24
	v_exp_f32_e32 v14, v14
	v_cvt_i32_f32_e32 v24, v25
	v_cvt_f32_f16_sdwa v23, v10 dst_sel:DWORD dst_unused:UNUSED_PAD src0_sel:WORD_1
	;; [unrolled: 45-line block ×3, first 2 shown]
	v_cmp_nlt_f32_e32 vcc, s22, v22
	v_ldexp_f32 v15, v15, v24
	s_nop 0
	v_cndmask_b32_e32 v15, 0, v15, vcc
	v_cmp_ngt_f32_e32 vcc, s23, v22
	s_nop 1
	v_cndmask_b32_e32 v15, v18, v15, vcc
	v_add_f32_e32 v15, 1.0, v15
	v_rcp_f32_e32 v24, v15
	v_mul_f32_e32 v15, 0xbfb8aa3b, v23
	v_fma_mix_f32 v25, v11, s20, -v15 op_sel:[1,0,0] op_sel_hi:[1,0,0]
	v_cmp_nlt_f32_e32 vcc, s22, v23
	v_fma_mix_f32 v11, v11, s21, v25 op_sel:[1,0,0] op_sel_hi:[1,0,0]
	v_rndne_f32_e32 v25, v15
	v_sub_f32_e32 v15, v15, v25
	v_add_f32_e32 v11, v15, v11
	v_exp_f32_e32 v11, v11
	v_cvt_i32_f32_e32 v15, v25
	v_ldexp_f32 v11, v11, v15
	v_cndmask_b32_e32 v11, 0, v11, vcc
	v_cmp_ngt_f32_e32 vcc, s23, v23
	s_nop 1
	v_cndmask_b32_e32 v11, v18, v11, vcc
	v_add_f32_e32 v11, 1.0, v11
	v_rcp_f32_e32 v25, v11
	s_nop 0
	v_pk_mul_f32 v[22:23], v[24:25], v[22:23]
	s_nop 0
	;;#ASMSTART
	v_pk_mul_f32 v[20:21], v[22:23], v[20:21]
	;;#ASMEND
	v_cvt_f32_f16_e32 v22, v0
	v_cvt_f16_f32_e32 v11, v20
	v_cvt_f16_f32_e32 v15, v21
	s_waitcnt vmcnt(0)
	v_cvt_f32_f16_e32 v20, v4
	v_cvt_f32_f16_sdwa v21, v4 dst_sel:DWORD dst_unused:UNUSED_PAD src0_sel:WORD_1
	v_mul_f32_e32 v4, 0xbfb8aa3b, v22
	v_fma_mix_f32 v24, v0, s20, -v4 op_sel_hi:[1,0,0]
	v_rndne_f32_e32 v25, v4
	v_fma_mix_f32 v24, v0, s21, v24 op_sel_hi:[1,0,0]
	v_sub_f32_e32 v4, v4, v25
	v_add_f32_e32 v4, v4, v24
	v_exp_f32_e32 v4, v4
	v_cvt_i32_f32_e32 v24, v25
	v_cvt_f32_f16_sdwa v23, v0 dst_sel:DWORD dst_unused:UNUSED_PAD src0_sel:WORD_1
	v_cmp_nlt_f32_e32 vcc, s22, v22
	v_ldexp_f32 v4, v4, v24
	s_nop 0
	v_cndmask_b32_e32 v4, 0, v4, vcc
	v_cmp_ngt_f32_e32 vcc, s23, v22
	s_nop 1
	v_cndmask_b32_e32 v4, v18, v4, vcc
	v_add_f32_e32 v4, 1.0, v4
	v_rcp_f32_e32 v24, v4
	v_mul_f32_e32 v4, 0xbfb8aa3b, v23
	v_fma_mix_f32 v25, v0, s20, -v4 op_sel:[1,0,0] op_sel_hi:[1,0,0]
	v_cmp_nlt_f32_e32 vcc, s22, v23
	v_fma_mix_f32 v0, v0, s21, v25 op_sel:[1,0,0] op_sel_hi:[1,0,0]
	v_rndne_f32_e32 v25, v4
	v_sub_f32_e32 v4, v4, v25
	v_add_f32_e32 v0, v4, v0
	v_exp_f32_e32 v0, v0
	v_cvt_i32_f32_e32 v4, v25
	v_ldexp_f32 v0, v0, v4
	v_cndmask_b32_e32 v0, 0, v0, vcc
	v_cmp_ngt_f32_e32 vcc, s23, v23
	v_cvt_f32_f16_e32 v4, v5
	v_cvt_f32_f16_sdwa v5, v5 dst_sel:DWORD dst_unused:UNUSED_PAD src0_sel:WORD_1
	v_cndmask_b32_e32 v0, v18, v0, vcc
	v_add_f32_e32 v0, 1.0, v0
	v_rcp_f32_e32 v25, v0
	s_nop 0
	v_pk_mul_f32 v[22:23], v[24:25], v[22:23]
	s_nop 0
	;;#ASMSTART
	v_pk_mul_f32 v[20:21], v[22:23], v[20:21]
	;;#ASMEND
	v_cvt_f32_f16_e32 v22, v1
	v_cvt_f32_f16_sdwa v23, v1 dst_sel:DWORD dst_unused:UNUSED_PAD src0_sel:WORD_1
	v_cvt_f16_f32_e32 v20, v20
	v_cvt_f16_f32_e32 v21, v21
	v_mul_f32_e32 v0, 0xbfb8aa3b, v22
	v_fma_mix_f32 v24, v1, s20, -v0 op_sel_hi:[1,0,0]
	v_rndne_f32_e32 v25, v0
	v_fma_mix_f32 v24, v1, s21, v24 op_sel_hi:[1,0,0]
	v_sub_f32_e32 v0, v0, v25
	v_add_f32_e32 v0, v0, v24
	v_exp_f32_e32 v0, v0
	v_cvt_i32_f32_e32 v24, v25
	v_cmp_nlt_f32_e32 vcc, s22, v22
	v_ldexp_f32 v0, v0, v24
	v_mul_f32_e32 v24, 0xbfb8aa3b, v23
	v_fma_mix_f32 v25, v1, s20, -v24 op_sel:[1,0,0] op_sel_hi:[1,0,0]
	v_cndmask_b32_e32 v0, 0, v0, vcc
	v_fma_mix_f32 v1, v1, s21, v25 op_sel:[1,0,0] op_sel_hi:[1,0,0]
	v_rndne_f32_e32 v25, v24
	v_sub_f32_e32 v24, v24, v25
	v_add_f32_e32 v1, v24, v1
	v_exp_f32_e32 v1, v1
	v_cvt_i32_f32_e32 v24, v25
	v_cmp_ngt_f32_e32 vcc, s23, v22
	v_ldexp_f32 v1, v1, v24
	s_nop 0
	v_cndmask_b32_e32 v0, v18, v0, vcc
	v_cmp_nlt_f32_e32 vcc, s22, v23
	v_add_f32_e32 v0, 1.0, v0
	v_rcp_f32_e32 v0, v0
	v_cndmask_b32_e32 v1, 0, v1, vcc
	v_cmp_ngt_f32_e32 vcc, s23, v23
	s_nop 1
	v_cndmask_b32_e32 v1, v18, v1, vcc
	v_add_f32_e32 v1, 1.0, v1
	v_rcp_f32_e32 v1, v1
	s_nop 0
	v_pk_mul_f32 v[0:1], v[0:1], v[22:23]
	s_nop 0
	;;#ASMSTART
	v_pk_mul_f32 v[0:1], v[0:1], v[4:5]
	;;#ASMEND
	v_cvt_f32_f16_e32 v4, v2
	v_cvt_f16_f32_e32 v22, v0
	v_cvt_f16_f32_e32 v23, v1
	v_cvt_f32_f16_e32 v0, v6
	v_cvt_f32_f16_sdwa v1, v6 dst_sel:DWORD dst_unused:UNUSED_PAD src0_sel:WORD_1
	v_mul_f32_e32 v6, 0xbfb8aa3b, v4
	v_fma_mix_f32 v24, v2, s20, -v6 op_sel_hi:[1,0,0]
	v_rndne_f32_e32 v25, v6
	v_fma_mix_f32 v24, v2, s21, v24 op_sel_hi:[1,0,0]
	v_sub_f32_e32 v6, v6, v25
	v_add_f32_e32 v6, v6, v24
	v_exp_f32_e32 v6, v6
	v_cvt_i32_f32_e32 v24, v25
	v_cvt_f32_f16_sdwa v5, v2 dst_sel:DWORD dst_unused:UNUSED_PAD src0_sel:WORD_1
	v_cmp_nlt_f32_e32 vcc, s22, v4
	v_ldexp_f32 v6, v6, v24
	s_nop 0
	v_cndmask_b32_e32 v6, 0, v6, vcc
	v_cmp_ngt_f32_e32 vcc, s23, v4
	s_nop 1
	v_cndmask_b32_e32 v6, v18, v6, vcc
	v_add_f32_e32 v6, 1.0, v6
	v_rcp_f32_e32 v24, v6
	v_mul_f32_e32 v6, 0xbfb8aa3b, v5
	v_fma_mix_f32 v25, v2, s20, -v6 op_sel:[1,0,0] op_sel_hi:[1,0,0]
	v_cmp_nlt_f32_e32 vcc, s22, v5
	v_fma_mix_f32 v2, v2, s21, v25 op_sel:[1,0,0] op_sel_hi:[1,0,0]
	v_rndne_f32_e32 v25, v6
	v_sub_f32_e32 v6, v6, v25
	v_add_f32_e32 v2, v6, v2
	v_exp_f32_e32 v2, v2
	v_cvt_i32_f32_e32 v6, v25
	v_ldexp_f32 v2, v2, v6
	v_cndmask_b32_e32 v2, 0, v2, vcc
	v_cmp_ngt_f32_e32 vcc, s23, v5
	s_nop 1
	v_cndmask_b32_e32 v2, v18, v2, vcc
	v_add_f32_e32 v2, 1.0, v2
	v_rcp_f32_e32 v25, v2
	s_nop 0
	v_pk_mul_f32 v[4:5], v[24:25], v[4:5]
	s_nop 0
	;;#ASMSTART
	v_pk_mul_f32 v[0:1], v[4:5], v[0:1]
	;;#ASMEND
	v_cvt_f32_f16_e32 v4, v3
	v_cvt_f16_f32_e32 v6, v0
	v_cvt_f16_f32_e32 v24, v1
	v_cvt_f32_f16_e32 v0, v7
	v_mul_f32_e32 v2, 0xbfb8aa3b, v4
	v_cvt_f32_f16_sdwa v1, v7 dst_sel:DWORD dst_unused:UNUSED_PAD src0_sel:WORD_1
	v_fma_mix_f32 v7, v3, s20, -v2 op_sel_hi:[1,0,0]
	v_rndne_f32_e32 v25, v2
	v_fma_mix_f32 v7, v3, s21, v7 op_sel_hi:[1,0,0]
	v_sub_f32_e32 v2, v2, v25
	v_add_f32_e32 v2, v2, v7
	v_cvt_f32_f16_sdwa v5, v3 dst_sel:DWORD dst_unused:UNUSED_PAD src0_sel:WORD_1
	v_exp_f32_e32 v2, v2
	v_cvt_i32_f32_e32 v7, v25
	v_cmp_nlt_f32_e32 vcc, s22, v4
	v_ldexp_f32 v2, v2, v7
	v_mul_f32_e32 v7, 0xbfb8aa3b, v5
	v_fma_mix_f32 v25, v3, s20, -v7 op_sel:[1,0,0] op_sel_hi:[1,0,0]
	v_cndmask_b32_e32 v2, 0, v2, vcc
	v_fma_mix_f32 v3, v3, s21, v25 op_sel:[1,0,0] op_sel_hi:[1,0,0]
	v_rndne_f32_e32 v25, v7
	v_sub_f32_e32 v7, v7, v25
	v_add_f32_e32 v3, v7, v3
	v_exp_f32_e32 v3, v3
	v_cvt_i32_f32_e32 v7, v25
	v_cmp_ngt_f32_e32 vcc, s23, v4
	v_ldexp_f32 v3, v3, v7
	s_nop 0
	v_cndmask_b32_e32 v2, v18, v2, vcc
	v_cmp_nlt_f32_e32 vcc, s22, v5
	v_add_f32_e32 v2, 1.0, v2
	v_rcp_f32_e32 v2, v2
	v_cndmask_b32_e32 v3, 0, v3, vcc
	v_cmp_ngt_f32_e32 vcc, s23, v5
	s_nop 1
	v_cndmask_b32_e32 v3, v18, v3, vcc
	v_add_f32_e32 v3, 1.0, v3
	v_rcp_f32_e32 v3, v3
	s_nop 0
	v_pk_mul_f32 v[2:3], v[2:3], v[4:5]
	s_nop 0
	;;#ASMSTART
	v_pk_mul_f32 v[0:1], v[2:3], v[0:1]
	;;#ASMEND
	s_load_dword s18, s[0:1], 0xc
	v_cvt_f16_f32_e32 v4, v0
	v_cvt_f16_f32_e32 v5, v1
	v_pack_b32_f16 v0, v8, v12
	v_pack_b32_f16 v1, v9, v13
	s_waitcnt lgkmcnt(0)
	s_and_b32 s18, s18, 0xffff
	s_lshl_b32 s18, s18, 4
	v_lshl_add_u64 v[16:17], s[18:19], 0, v[16:17]
	v_pack_b32_f16 v2, v10, v14
	v_pack_b32_f16 v3, v11, v15
	v_cmp_le_i64_e32 vcc, s[16:17], v[16:17]
	buffer_store_dwordx4 v[0:3], v19, s[12:15], 0 offen
	s_or_b64 s[2:3], vcc, s[2:3]
	s_nop 0
	v_pack_b32_f16 v0, v20, v21
	v_pack_b32_f16 v1, v22, v23
	;; [unrolled: 1-line block ×4, first 2 shown]
	buffer_store_dwordx4 v[0:3], v19, s[12:15], 16 offen
	s_andn2_b64 exec, exec, s[2:3]
	s_cbranch_execnz .LBB44_2
.LBB44_3:
	s_endpgm
	.section	.rodata,"a",@progbits
	.p2align	6, 0x0
	.amdhsa_kernel _ZN5aiter18act_and_mul_kernelIDF16_DF16_TnPFfRKT_EXadL_ZNS_11silu_kernelIDF16_EEfS3_EELi16ELb0ELi3EEEvPT0_PS2_if
		.amdhsa_group_segment_fixed_size 0
		.amdhsa_private_segment_fixed_size 0
		.amdhsa_kernarg_size 280
		.amdhsa_user_sgpr_count 2
		.amdhsa_user_sgpr_dispatch_ptr 0
		.amdhsa_user_sgpr_queue_ptr 0
		.amdhsa_user_sgpr_kernarg_segment_ptr 1
		.amdhsa_user_sgpr_dispatch_id 0
		.amdhsa_user_sgpr_kernarg_preload_length 0
		.amdhsa_user_sgpr_kernarg_preload_offset 0
		.amdhsa_user_sgpr_private_segment_size 0
		.amdhsa_uses_dynamic_stack 0
		.amdhsa_enable_private_segment 0
		.amdhsa_system_sgpr_workgroup_id_x 1
		.amdhsa_system_sgpr_workgroup_id_y 0
		.amdhsa_system_sgpr_workgroup_id_z 0
		.amdhsa_system_sgpr_workgroup_info 0
		.amdhsa_system_vgpr_workitem_id 0
		.amdhsa_next_free_vgpr 26
		.amdhsa_next_free_sgpr 24
		.amdhsa_accum_offset 28
		.amdhsa_reserve_vcc 1
		.amdhsa_float_round_mode_32 0
		.amdhsa_float_round_mode_16_64 0
		.amdhsa_float_denorm_mode_32 3
		.amdhsa_float_denorm_mode_16_64 3
		.amdhsa_dx10_clamp 1
		.amdhsa_ieee_mode 1
		.amdhsa_fp16_overflow 0
		.amdhsa_tg_split 0
		.amdhsa_exception_fp_ieee_invalid_op 0
		.amdhsa_exception_fp_denorm_src 0
		.amdhsa_exception_fp_ieee_div_zero 0
		.amdhsa_exception_fp_ieee_overflow 0
		.amdhsa_exception_fp_ieee_underflow 0
		.amdhsa_exception_fp_ieee_inexact 0
		.amdhsa_exception_int_div_zero 0
	.end_amdhsa_kernel
	.section	.text._ZN5aiter18act_and_mul_kernelIDF16_DF16_TnPFfRKT_EXadL_ZNS_11silu_kernelIDF16_EEfS3_EELi16ELb0ELi3EEEvPT0_PS2_if,"axG",@progbits,_ZN5aiter18act_and_mul_kernelIDF16_DF16_TnPFfRKT_EXadL_ZNS_11silu_kernelIDF16_EEfS3_EELi16ELb0ELi3EEEvPT0_PS2_if,comdat
.Lfunc_end44:
	.size	_ZN5aiter18act_and_mul_kernelIDF16_DF16_TnPFfRKT_EXadL_ZNS_11silu_kernelIDF16_EEfS3_EELi16ELb0ELi3EEEvPT0_PS2_if, .Lfunc_end44-_ZN5aiter18act_and_mul_kernelIDF16_DF16_TnPFfRKT_EXadL_ZNS_11silu_kernelIDF16_EEfS3_EELi16ELb0ELi3EEEvPT0_PS2_if
                                        ; -- End function
	.section	.AMDGPU.csdata,"",@progbits
; Kernel info:
; codeLenInByte = 2156
; NumSgprs: 30
; NumVgprs: 26
; NumAgprs: 0
; TotalNumVgprs: 26
; ScratchSize: 0
; MemoryBound: 0
; FloatMode: 240
; IeeeMode: 1
; LDSByteSize: 0 bytes/workgroup (compile time only)
; SGPRBlocks: 3
; VGPRBlocks: 3
; NumSGPRsForWavesPerEU: 30
; NumVGPRsForWavesPerEU: 26
; AccumOffset: 28
; Occupancy: 8
; WaveLimiterHint : 0
; COMPUTE_PGM_RSRC2:SCRATCH_EN: 0
; COMPUTE_PGM_RSRC2:USER_SGPR: 2
; COMPUTE_PGM_RSRC2:TRAP_HANDLER: 0
; COMPUTE_PGM_RSRC2:TGID_X_EN: 1
; COMPUTE_PGM_RSRC2:TGID_Y_EN: 0
; COMPUTE_PGM_RSRC2:TGID_Z_EN: 0
; COMPUTE_PGM_RSRC2:TIDIG_COMP_CNT: 0
; COMPUTE_PGM_RSRC3_GFX90A:ACCUM_OFFSET: 6
; COMPUTE_PGM_RSRC3_GFX90A:TG_SPLIT: 0
	.section	.text._ZN5aiter18act_and_mul_kernelIDF16_DF16_TnPFfRKT_EXadL_ZNS_11silu_kernelIDF16_EEfS3_EELi8ELb0ELi3EEEvPT0_PS2_if,"axG",@progbits,_ZN5aiter18act_and_mul_kernelIDF16_DF16_TnPFfRKT_EXadL_ZNS_11silu_kernelIDF16_EEfS3_EELi8ELb0ELi3EEEvPT0_PS2_if,comdat
	.protected	_ZN5aiter18act_and_mul_kernelIDF16_DF16_TnPFfRKT_EXadL_ZNS_11silu_kernelIDF16_EEfS3_EELi8ELb0ELi3EEEvPT0_PS2_if ; -- Begin function _ZN5aiter18act_and_mul_kernelIDF16_DF16_TnPFfRKT_EXadL_ZNS_11silu_kernelIDF16_EEfS3_EELi8ELb0ELi3EEEvPT0_PS2_if
	.globl	_ZN5aiter18act_and_mul_kernelIDF16_DF16_TnPFfRKT_EXadL_ZNS_11silu_kernelIDF16_EEfS3_EELi8ELb0ELi3EEEvPT0_PS2_if
	.p2align	8
	.type	_ZN5aiter18act_and_mul_kernelIDF16_DF16_TnPFfRKT_EXadL_ZNS_11silu_kernelIDF16_EEfS3_EELi8ELb0ELi3EEEvPT0_PS2_if,@function
_ZN5aiter18act_and_mul_kernelIDF16_DF16_TnPFfRKT_EXadL_ZNS_11silu_kernelIDF16_EEfS3_EELi8ELb0ELi3EEEvPT0_PS2_if: ; @_ZN5aiter18act_and_mul_kernelIDF16_DF16_TnPFfRKT_EXadL_ZNS_11silu_kernelIDF16_EEfS3_EELi8ELb0ELi3EEEvPT0_PS2_if
; %bb.0:
	s_load_dword s14, s[0:1], 0x10
	v_lshlrev_b32_e32 v8, 3, v0
	s_waitcnt lgkmcnt(0)
	v_cmp_gt_i32_e32 vcc, s14, v8
	s_and_saveexec_b64 s[4:5], vcc
	s_cbranch_execz .LBB45_3
; %bb.1:
	s_load_dwordx4 s[4:7], s[0:1], 0x0
	s_ashr_i32 s15, s14, 31
	s_mul_hi_u32 s3, s14, s2
	s_mul_i32 s8, s15, s2
	s_add_i32 s3, s3, s8
	s_mul_i32 s2, s14, s2
	s_lshl_b64 s[8:9], s[2:3], 1
	s_lshl_b64 s[2:3], s[2:3], 2
	s_waitcnt lgkmcnt(0)
	s_add_u32 s16, s6, s2
	s_addc_u32 s6, s7, s3
	s_lshl_b64 s[2:3], s[14:15], 1
	s_add_u32 s20, s16, s2
	s_addc_u32 s2, s6, s3
	s_add_i32 s3, s14, 1
	s_lshr_b32 s7, s3, 31
	s_add_i32 s3, s3, s7
	s_lshl_b32 s3, s3, 1
	s_and_b32 s18, s3, -4
	s_and_b32 s17, s6, 0xffff
	s_and_b32 s21, s2, 0xffff
	s_add_u32 s24, s4, s8
	s_addc_u32 s2, s5, s9
	s_and_b32 s25, s2, 0xffff
	s_mov_b32 s19, 0x20000
	s_add_u32 s28, s0, 24
	v_mov_b32_e32 v9, 0
	s_addc_u32 s29, s1, 0
	s_mov_b64 s[30:31], 0
	s_mov_b32 s35, 0
	s_mov_b32 s22, s18
	;; [unrolled: 1-line block ×7, first 2 shown]
	v_mov_b32_e32 v22, 0x7f800000
	s_mov_b32 s26, s18
	s_mov_b32 s27, s19
.LBB45_2:                               ; =>This Inner Loop Header: Depth=1
	v_lshlrev_b32_e32 v23, 1, v8
	buffer_load_dwordx4 v[4:7], v23, s[20:23], 0 offen sc0 nt
	buffer_load_dwordx4 v[0:3], v23, s[16:19], 0 offen sc0 nt
	s_waitcnt vmcnt(1)
	v_cvt_f32_f16_e32 v10, v4
	s_waitcnt vmcnt(0)
	v_cvt_f32_f16_e32 v12, v0
	v_cvt_f32_f16_sdwa v13, v0 dst_sel:DWORD dst_unused:UNUSED_PAD src0_sel:WORD_1
	v_cvt_f32_f16_e32 v14, v1
	v_cvt_f32_f16_sdwa v15, v1 dst_sel:DWORD dst_unused:UNUSED_PAD src0_sel:WORD_1
	;; [unrolled: 2-line block ×4, first 2 shown]
	v_mul_f32_e32 v24, 0xbfb8aa3b, v12
	v_mul_f32_e32 v25, 0xbfb8aa3b, v13
	;; [unrolled: 1-line block ×8, first 2 shown]
	v_fma_mix_f32 v32, v0, s33, -v24 op_sel_hi:[1,0,0]
	v_rndne_f32_e32 v33, v24
	v_fma_mix_f32 v34, v0, s33, -v25 op_sel:[1,0,0] op_sel_hi:[1,0,0]
	v_rndne_f32_e32 v35, v25
	v_fma_mix_f32 v36, v1, s33, -v26 op_sel_hi:[1,0,0]
	v_rndne_f32_e32 v37, v26
	v_fma_mix_f32 v38, v1, s33, -v27 op_sel:[1,0,0] op_sel_hi:[1,0,0]
	v_rndne_f32_e32 v39, v27
	;; [unrolled: 4-line block ×4, first 2 shown]
	v_fma_mix_f32 v32, v0, s36, v32 op_sel_hi:[1,0,0]
	v_sub_f32_e32 v24, v24, v33
	v_fma_mix_f32 v0, v0, s36, v34 op_sel:[1,0,0] op_sel_hi:[1,0,0]
	v_sub_f32_e32 v25, v25, v35
	v_cvt_i32_f32_e32 v34, v35
	v_fma_mix_f32 v35, v1, s36, v36 op_sel_hi:[1,0,0]
	v_sub_f32_e32 v26, v26, v37
	v_fma_mix_f32 v1, v1, s36, v38 op_sel:[1,0,0] op_sel_hi:[1,0,0]
	v_sub_f32_e32 v27, v27, v39
	v_cvt_i32_f32_e32 v36, v37
	v_cvt_i32_f32_e32 v37, v39
	v_fma_mix_f32 v38, v2, s36, v40 op_sel_hi:[1,0,0]
	v_sub_f32_e32 v28, v28, v41
	v_cvt_i32_f32_e32 v39, v41
	v_fma_mix_f32 v2, v2, s36, v42 op_sel:[1,0,0] op_sel_hi:[1,0,0]
	v_sub_f32_e32 v29, v29, v43
	v_fma_mix_f32 v41, v3, s36, v44 op_sel_hi:[1,0,0]
	v_sub_f32_e32 v30, v30, v45
	v_fma_mix_f32 v3, v3, s36, v46 op_sel:[1,0,0] op_sel_hi:[1,0,0]
	v_sub_f32_e32 v31, v31, v47
	v_add_f32_e32 v24, v24, v32
	v_add_f32_e32 v0, v25, v0
	;; [unrolled: 1-line block ×4, first 2 shown]
	v_cvt_i32_f32_e32 v33, v33
	v_add_f32_e32 v26, v28, v38
	v_add_f32_e32 v2, v29, v2
	;; [unrolled: 1-line block ×4, first 2 shown]
	v_exp_f32_e32 v24, v24
	v_exp_f32_e32 v0, v0
	;; [unrolled: 1-line block ×4, first 2 shown]
	v_cvt_i32_f32_e32 v40, v43
	v_cvt_i32_f32_e32 v42, v45
	;; [unrolled: 1-line block ×3, first 2 shown]
	v_exp_f32_e32 v26, v26
	v_exp_f32_e32 v2, v2
	;; [unrolled: 1-line block ×4, first 2 shown]
	v_ldexp_f32 v24, v24, v33
	v_ldexp_f32 v0, v0, v34
	v_cmp_nlt_f32_e32 vcc, s37, v13
	v_ldexp_f32 v25, v25, v36
	v_cmp_nlt_f32_e64 s[0:1], s37, v14
	v_ldexp_f32 v1, v1, v37
	v_cmp_nlt_f32_e64 s[2:3], s37, v15
	v_cmp_nlt_f32_e64 s[12:13], s37, v12
	v_ldexp_f32 v26, v26, v39
	v_cmp_nlt_f32_e64 s[4:5], s37, v18
	v_ldexp_f32 v2, v2, v40
	;; [unrolled: 2-line block ×4, first 2 shown]
	v_cmp_nlt_f32_e64 s[10:11], s37, v21
	v_cndmask_b32_e64 v24, 0, v24, s[12:13]
	v_cndmask_b32_e32 v0, 0, v0, vcc
	v_cmp_ngt_f32_e32 vcc, s38, v13
	v_cndmask_b32_e64 v25, 0, v25, s[0:1]
	v_cmp_ngt_f32_e64 s[0:1], s38, v14
	v_cndmask_b32_e64 v1, 0, v1, s[2:3]
	v_cmp_ngt_f32_e64 s[2:3], s38, v15
	v_cmp_ngt_f32_e64 s[12:13], s38, v12
	v_cndmask_b32_e64 v26, 0, v26, s[4:5]
	v_cmp_ngt_f32_e64 s[4:5], s38, v18
	v_cndmask_b32_e64 v2, 0, v2, s[6:7]
	;; [unrolled: 2-line block ×5, first 2 shown]
	v_cndmask_b32_e32 v0, v22, v0, vcc
	v_cndmask_b32_e64 v25, v22, v25, s[0:1]
	v_cndmask_b32_e64 v1, v22, v1, s[2:3]
	;; [unrolled: 1-line block ×6, first 2 shown]
	v_add_f32_e32 v24, 1.0, v24
	v_add_f32_e32 v28, 1.0, v0
	;; [unrolled: 1-line block ×8, first 2 shown]
	v_rcp_f32_e32 v0, v24
	v_rcp_f32_e32 v1, v28
	;; [unrolled: 1-line block ×8, first 2 shown]
	v_cvt_f32_f16_sdwa v11, v4 dst_sel:DWORD dst_unused:UNUSED_PAD src0_sel:WORD_1
	v_cvt_f32_f16_e32 v4, v5
	v_cvt_f32_f16_sdwa v5, v5 dst_sel:DWORD dst_unused:UNUSED_PAD src0_sel:WORD_1
	v_cvt_f32_f16_e32 v16, v6
	;; [unrolled: 2-line block ×3, first 2 shown]
	v_cvt_f32_f16_sdwa v7, v7 dst_sel:DWORD dst_unused:UNUSED_PAD src0_sel:WORD_1
	v_pk_mul_f32 v[0:1], v[0:1], v[12:13]
	v_pk_mul_f32 v[2:3], v[2:3], v[14:15]
	;; [unrolled: 1-line block ×4, first 2 shown]
	;;#ASMSTART
	v_pk_mul_f32 v[0:1], v[0:1], v[10:11]
	;;#ASMEND
	;;#ASMSTART
	v_pk_mul_f32 v[2:3], v[2:3], v[4:5]
	;;#ASMEND
	;; [unrolled: 3-line block ×3, first 2 shown]
	s_nop 0
	;;#ASMSTART
	v_pk_mul_f32 v[6:7], v[14:15], v[6:7]
	;;#ASMEND
	s_load_dword s0, s[28:29], 0xc
	v_cvt_f16_f32_e32 v0, v0
	v_cvt_f16_f32_e32 v1, v1
	;; [unrolled: 1-line block ×8, first 2 shown]
	s_waitcnt lgkmcnt(0)
	s_and_b32 s0, s0, 0xffff
	s_lshl_b32 s34, s0, 3
	v_lshl_add_u64 v[8:9], s[34:35], 0, v[8:9]
	v_cmp_le_i64_e32 vcc, s[14:15], v[8:9]
	v_pack_b32_f16 v0, v0, v1
	v_pack_b32_f16 v1, v2, v3
	;; [unrolled: 1-line block ×4, first 2 shown]
	s_or_b64 s[30:31], vcc, s[30:31]
	buffer_store_dwordx4 v[0:3], v23, s[24:27], 0 offen
	s_andn2_b64 exec, exec, s[30:31]
	s_cbranch_execnz .LBB45_2
.LBB45_3:
	s_endpgm
	.section	.rodata,"a",@progbits
	.p2align	6, 0x0
	.amdhsa_kernel _ZN5aiter18act_and_mul_kernelIDF16_DF16_TnPFfRKT_EXadL_ZNS_11silu_kernelIDF16_EEfS3_EELi8ELb0ELi3EEEvPT0_PS2_if
		.amdhsa_group_segment_fixed_size 0
		.amdhsa_private_segment_fixed_size 0
		.amdhsa_kernarg_size 280
		.amdhsa_user_sgpr_count 2
		.amdhsa_user_sgpr_dispatch_ptr 0
		.amdhsa_user_sgpr_queue_ptr 0
		.amdhsa_user_sgpr_kernarg_segment_ptr 1
		.amdhsa_user_sgpr_dispatch_id 0
		.amdhsa_user_sgpr_kernarg_preload_length 0
		.amdhsa_user_sgpr_kernarg_preload_offset 0
		.amdhsa_user_sgpr_private_segment_size 0
		.amdhsa_uses_dynamic_stack 0
		.amdhsa_enable_private_segment 0
		.amdhsa_system_sgpr_workgroup_id_x 1
		.amdhsa_system_sgpr_workgroup_id_y 0
		.amdhsa_system_sgpr_workgroup_id_z 0
		.amdhsa_system_sgpr_workgroup_info 0
		.amdhsa_system_vgpr_workitem_id 0
		.amdhsa_next_free_vgpr 48
		.amdhsa_next_free_sgpr 39
		.amdhsa_accum_offset 48
		.amdhsa_reserve_vcc 1
		.amdhsa_float_round_mode_32 0
		.amdhsa_float_round_mode_16_64 0
		.amdhsa_float_denorm_mode_32 3
		.amdhsa_float_denorm_mode_16_64 3
		.amdhsa_dx10_clamp 1
		.amdhsa_ieee_mode 1
		.amdhsa_fp16_overflow 0
		.amdhsa_tg_split 0
		.amdhsa_exception_fp_ieee_invalid_op 0
		.amdhsa_exception_fp_denorm_src 0
		.amdhsa_exception_fp_ieee_div_zero 0
		.amdhsa_exception_fp_ieee_overflow 0
		.amdhsa_exception_fp_ieee_underflow 0
		.amdhsa_exception_fp_ieee_inexact 0
		.amdhsa_exception_int_div_zero 0
	.end_amdhsa_kernel
	.section	.text._ZN5aiter18act_and_mul_kernelIDF16_DF16_TnPFfRKT_EXadL_ZNS_11silu_kernelIDF16_EEfS3_EELi8ELb0ELi3EEEvPT0_PS2_if,"axG",@progbits,_ZN5aiter18act_and_mul_kernelIDF16_DF16_TnPFfRKT_EXadL_ZNS_11silu_kernelIDF16_EEfS3_EELi8ELb0ELi3EEEvPT0_PS2_if,comdat
.Lfunc_end45:
	.size	_ZN5aiter18act_and_mul_kernelIDF16_DF16_TnPFfRKT_EXadL_ZNS_11silu_kernelIDF16_EEfS3_EELi8ELb0ELi3EEEvPT0_PS2_if, .Lfunc_end45-_ZN5aiter18act_and_mul_kernelIDF16_DF16_TnPFfRKT_EXadL_ZNS_11silu_kernelIDF16_EEfS3_EELi8ELb0ELi3EEEvPT0_PS2_if
                                        ; -- End function
	.section	.AMDGPU.csdata,"",@progbits
; Kernel info:
; codeLenInByte = 1260
; NumSgprs: 45
; NumVgprs: 48
; NumAgprs: 0
; TotalNumVgprs: 48
; ScratchSize: 0
; MemoryBound: 0
; FloatMode: 240
; IeeeMode: 1
; LDSByteSize: 0 bytes/workgroup (compile time only)
; SGPRBlocks: 5
; VGPRBlocks: 5
; NumSGPRsForWavesPerEU: 45
; NumVGPRsForWavesPerEU: 48
; AccumOffset: 48
; Occupancy: 8
; WaveLimiterHint : 0
; COMPUTE_PGM_RSRC2:SCRATCH_EN: 0
; COMPUTE_PGM_RSRC2:USER_SGPR: 2
; COMPUTE_PGM_RSRC2:TRAP_HANDLER: 0
; COMPUTE_PGM_RSRC2:TGID_X_EN: 1
; COMPUTE_PGM_RSRC2:TGID_Y_EN: 0
; COMPUTE_PGM_RSRC2:TGID_Z_EN: 0
; COMPUTE_PGM_RSRC2:TIDIG_COMP_CNT: 0
; COMPUTE_PGM_RSRC3_GFX90A:ACCUM_OFFSET: 11
; COMPUTE_PGM_RSRC3_GFX90A:TG_SPLIT: 0
	.section	.text._ZN5aiter18act_and_mul_kernelIDF16_DF16_TnPFfRKT_EXadL_ZNS_11silu_kernelIDF16_EEfS3_EELi4ELb0ELi3EEEvPT0_PS2_if,"axG",@progbits,_ZN5aiter18act_and_mul_kernelIDF16_DF16_TnPFfRKT_EXadL_ZNS_11silu_kernelIDF16_EEfS3_EELi4ELb0ELi3EEEvPT0_PS2_if,comdat
	.protected	_ZN5aiter18act_and_mul_kernelIDF16_DF16_TnPFfRKT_EXadL_ZNS_11silu_kernelIDF16_EEfS3_EELi4ELb0ELi3EEEvPT0_PS2_if ; -- Begin function _ZN5aiter18act_and_mul_kernelIDF16_DF16_TnPFfRKT_EXadL_ZNS_11silu_kernelIDF16_EEfS3_EELi4ELb0ELi3EEEvPT0_PS2_if
	.globl	_ZN5aiter18act_and_mul_kernelIDF16_DF16_TnPFfRKT_EXadL_ZNS_11silu_kernelIDF16_EEfS3_EELi4ELb0ELi3EEEvPT0_PS2_if
	.p2align	8
	.type	_ZN5aiter18act_and_mul_kernelIDF16_DF16_TnPFfRKT_EXadL_ZNS_11silu_kernelIDF16_EEfS3_EELi4ELb0ELi3EEEvPT0_PS2_if,@function
_ZN5aiter18act_and_mul_kernelIDF16_DF16_TnPFfRKT_EXadL_ZNS_11silu_kernelIDF16_EEfS3_EELi4ELb0ELi3EEEvPT0_PS2_if: ; @_ZN5aiter18act_and_mul_kernelIDF16_DF16_TnPFfRKT_EXadL_ZNS_11silu_kernelIDF16_EEfS3_EELi4ELb0ELi3EEEvPT0_PS2_if
; %bb.0:
	s_load_dword s6, s[0:1], 0x10
	v_lshlrev_b32_e32 v0, 2, v0
	s_waitcnt lgkmcnt(0)
	v_cmp_gt_i32_e32 vcc, s6, v0
	s_and_saveexec_b64 s[4:5], vcc
	s_cbranch_execz .LBB46_3
; %bb.1:
	s_load_dwordx4 s[16:19], s[0:1], 0x0
	s_ashr_i32 s7, s6, 31
	s_mul_hi_u32 s3, s6, s2
	s_mul_i32 s4, s7, s2
	s_add_i32 s3, s3, s4
	s_mul_i32 s2, s6, s2
	s_lshl_b64 s[4:5], s[2:3], 1
	s_lshl_b64 s[2:3], s[2:3], 2
	s_waitcnt lgkmcnt(0)
	s_add_u32 s8, s18, s2
	s_addc_u32 s9, s19, s3
	s_lshl_b64 s[2:3], s[6:7], 1
	s_add_u32 s12, s8, s2
	s_addc_u32 s2, s9, s3
	s_add_i32 s3, s6, 1
	s_lshr_b32 s10, s3, 31
	s_add_i32 s3, s3, s10
	s_lshl_b32 s3, s3, 1
	s_and_b32 s10, s3, -4
	s_and_b32 s9, s9, 0xffff
	s_and_b32 s13, s2, 0xffff
	s_add_u32 s16, s16, s4
	s_addc_u32 s2, s17, s5
	s_and_b32 s17, s2, 0xffff
	s_mov_b32 s11, 0x20000
	s_add_u32 s20, s0, 24
	v_mov_b32_e32 v1, 0
	s_addc_u32 s21, s1, 0
	s_mov_b64 s[22:23], 0
	s_mov_b32 s25, 0
	s_mov_b32 s14, s10
	;; [unrolled: 1-line block ×7, first 2 shown]
	v_mov_b32_e32 v4, 0x7f800000
	s_mov_b32 s18, s10
	s_mov_b32 s19, s11
.LBB46_2:                               ; =>This Inner Loop Header: Depth=1
	v_lshlrev_b32_e32 v5, 1, v0
	buffer_load_dwordx2 v[6:7], v5, s[8:11], 0 offen sc0 nt
	buffer_load_dwordx2 v[8:9], v5, s[12:15], 0 offen sc0 nt
	s_waitcnt vmcnt(1)
	v_cvt_f32_f16_e32 v10, v6
	v_cvt_f32_f16_sdwa v11, v6 dst_sel:DWORD dst_unused:UNUSED_PAD src0_sel:WORD_1
	v_cvt_f32_f16_e32 v12, v7
	v_cvt_f32_f16_sdwa v13, v7 dst_sel:DWORD dst_unused:UNUSED_PAD src0_sel:WORD_1
	v_mul_f32_e32 v14, 0xbfb8aa3b, v10
	v_mul_f32_e32 v15, 0xbfb8aa3b, v11
	;; [unrolled: 1-line block ×4, first 2 shown]
	v_fma_mix_f32 v18, v6, s26, -v14 op_sel_hi:[1,0,0]
	v_rndne_f32_e32 v19, v14
	v_fma_mix_f32 v20, v6, s26, -v15 op_sel:[1,0,0] op_sel_hi:[1,0,0]
	v_rndne_f32_e32 v21, v15
	v_fma_mix_f32 v22, v7, s26, -v16 op_sel_hi:[1,0,0]
	v_rndne_f32_e32 v23, v16
	v_fma_mix_f32 v24, v7, s26, -v17 op_sel:[1,0,0] op_sel_hi:[1,0,0]
	v_rndne_f32_e32 v25, v17
	v_fma_mix_f32 v18, v6, s27, v18 op_sel_hi:[1,0,0]
	v_sub_f32_e32 v14, v14, v19
	v_fma_mix_f32 v6, v6, s27, v20 op_sel:[1,0,0] op_sel_hi:[1,0,0]
	v_sub_f32_e32 v15, v15, v21
	v_cvt_i32_f32_e32 v20, v21
	v_fma_mix_f32 v21, v7, s27, v22 op_sel_hi:[1,0,0]
	v_sub_f32_e32 v16, v16, v23
	v_fma_mix_f32 v7, v7, s27, v24 op_sel:[1,0,0] op_sel_hi:[1,0,0]
	v_sub_f32_e32 v17, v17, v25
	v_add_f32_e32 v14, v14, v18
	v_add_f32_e32 v6, v15, v6
	v_cvt_i32_f32_e32 v19, v19
	v_add_f32_e32 v15, v16, v21
	v_add_f32_e32 v7, v17, v7
	v_exp_f32_e32 v14, v14
	v_exp_f32_e32 v6, v6
	v_cvt_i32_f32_e32 v22, v23
	v_cvt_i32_f32_e32 v23, v25
	v_exp_f32_e32 v15, v15
	v_exp_f32_e32 v7, v7
	v_ldexp_f32 v14, v14, v19
	v_ldexp_f32 v6, v6, v20
	v_cmp_nlt_f32_e32 vcc, s28, v11
	v_cmp_nlt_f32_e64 s[4:5], s28, v10
	v_ldexp_f32 v15, v15, v22
	v_cmp_nlt_f32_e64 s[0:1], s28, v12
	v_ldexp_f32 v7, v7, v23
	v_cmp_nlt_f32_e64 s[2:3], s28, v13
	v_cndmask_b32_e64 v14, 0, v14, s[4:5]
	v_cndmask_b32_e32 v6, 0, v6, vcc
	v_cmp_ngt_f32_e32 vcc, s29, v11
	v_cmp_ngt_f32_e64 s[4:5], s29, v10
	v_cndmask_b32_e64 v15, 0, v15, s[0:1]
	v_cmp_ngt_f32_e64 s[0:1], s29, v12
	v_cndmask_b32_e64 v7, 0, v7, s[2:3]
	;; [unrolled: 2-line block ×3, first 2 shown]
	v_cndmask_b32_e32 v6, v4, v6, vcc
	v_cndmask_b32_e64 v15, v4, v15, s[0:1]
	v_cndmask_b32_e64 v7, v4, v7, s[2:3]
	v_add_f32_e32 v14, 1.0, v14
	v_add_f32_e32 v16, 1.0, v6
	;; [unrolled: 1-line block ×4, first 2 shown]
	v_rcp_f32_e32 v6, v14
	v_rcp_f32_e32 v7, v16
	;; [unrolled: 1-line block ×4, first 2 shown]
	s_waitcnt vmcnt(0)
	v_cvt_f32_f16_e32 v2, v8
	v_cvt_f32_f16_sdwa v3, v8 dst_sel:DWORD dst_unused:UNUSED_PAD src0_sel:WORD_1
	v_pk_mul_f32 v[6:7], v[6:7], v[10:11]
	v_cvt_f32_f16_e32 v8, v9
	v_cvt_f32_f16_sdwa v9, v9 dst_sel:DWORD dst_unused:UNUSED_PAD src0_sel:WORD_1
	v_pk_mul_f32 v[10:11], v[14:15], v[12:13]
	;;#ASMSTART
	v_pk_mul_f32 v[2:3], v[6:7], v[2:3]
	;;#ASMEND
	s_nop 0
	;;#ASMSTART
	v_pk_mul_f32 v[6:7], v[10:11], v[8:9]
	;;#ASMEND
	s_load_dword s0, s[20:21], 0xc
	v_cvt_f16_f32_e32 v2, v2
	v_cvt_f16_f32_e32 v3, v3
	;; [unrolled: 1-line block ×4, first 2 shown]
	s_waitcnt lgkmcnt(0)
	s_and_b32 s0, s0, 0xffff
	s_lshl_b32 s24, s0, 2
	v_lshl_add_u64 v[0:1], s[24:25], 0, v[0:1]
	v_cmp_le_i64_e32 vcc, s[6:7], v[0:1]
	v_pack_b32_f16 v2, v2, v3
	v_pack_b32_f16 v3, v6, v7
	s_or_b64 s[22:23], vcc, s[22:23]
	buffer_store_dwordx2 v[2:3], v5, s[16:19], 0 offen
	s_andn2_b64 exec, exec, s[22:23]
	s_cbranch_execnz .LBB46_2
.LBB46_3:
	s_endpgm
	.section	.rodata,"a",@progbits
	.p2align	6, 0x0
	.amdhsa_kernel _ZN5aiter18act_and_mul_kernelIDF16_DF16_TnPFfRKT_EXadL_ZNS_11silu_kernelIDF16_EEfS3_EELi4ELb0ELi3EEEvPT0_PS2_if
		.amdhsa_group_segment_fixed_size 0
		.amdhsa_private_segment_fixed_size 0
		.amdhsa_kernarg_size 280
		.amdhsa_user_sgpr_count 2
		.amdhsa_user_sgpr_dispatch_ptr 0
		.amdhsa_user_sgpr_queue_ptr 0
		.amdhsa_user_sgpr_kernarg_segment_ptr 1
		.amdhsa_user_sgpr_dispatch_id 0
		.amdhsa_user_sgpr_kernarg_preload_length 0
		.amdhsa_user_sgpr_kernarg_preload_offset 0
		.amdhsa_user_sgpr_private_segment_size 0
		.amdhsa_uses_dynamic_stack 0
		.amdhsa_enable_private_segment 0
		.amdhsa_system_sgpr_workgroup_id_x 1
		.amdhsa_system_sgpr_workgroup_id_y 0
		.amdhsa_system_sgpr_workgroup_id_z 0
		.amdhsa_system_sgpr_workgroup_info 0
		.amdhsa_system_vgpr_workitem_id 0
		.amdhsa_next_free_vgpr 26
		.amdhsa_next_free_sgpr 30
		.amdhsa_accum_offset 28
		.amdhsa_reserve_vcc 1
		.amdhsa_float_round_mode_32 0
		.amdhsa_float_round_mode_16_64 0
		.amdhsa_float_denorm_mode_32 3
		.amdhsa_float_denorm_mode_16_64 3
		.amdhsa_dx10_clamp 1
		.amdhsa_ieee_mode 1
		.amdhsa_fp16_overflow 0
		.amdhsa_tg_split 0
		.amdhsa_exception_fp_ieee_invalid_op 0
		.amdhsa_exception_fp_denorm_src 0
		.amdhsa_exception_fp_ieee_div_zero 0
		.amdhsa_exception_fp_ieee_overflow 0
		.amdhsa_exception_fp_ieee_underflow 0
		.amdhsa_exception_fp_ieee_inexact 0
		.amdhsa_exception_int_div_zero 0
	.end_amdhsa_kernel
	.section	.text._ZN5aiter18act_and_mul_kernelIDF16_DF16_TnPFfRKT_EXadL_ZNS_11silu_kernelIDF16_EEfS3_EELi4ELb0ELi3EEEvPT0_PS2_if,"axG",@progbits,_ZN5aiter18act_and_mul_kernelIDF16_DF16_TnPFfRKT_EXadL_ZNS_11silu_kernelIDF16_EEfS3_EELi4ELb0ELi3EEEvPT0_PS2_if,comdat
.Lfunc_end46:
	.size	_ZN5aiter18act_and_mul_kernelIDF16_DF16_TnPFfRKT_EXadL_ZNS_11silu_kernelIDF16_EEfS3_EELi4ELb0ELi3EEEvPT0_PS2_if, .Lfunc_end46-_ZN5aiter18act_and_mul_kernelIDF16_DF16_TnPFfRKT_EXadL_ZNS_11silu_kernelIDF16_EEfS3_EELi4ELb0ELi3EEEvPT0_PS2_if
                                        ; -- End function
	.section	.AMDGPU.csdata,"",@progbits
; Kernel info:
; codeLenInByte = 780
; NumSgprs: 36
; NumVgprs: 26
; NumAgprs: 0
; TotalNumVgprs: 26
; ScratchSize: 0
; MemoryBound: 0
; FloatMode: 240
; IeeeMode: 1
; LDSByteSize: 0 bytes/workgroup (compile time only)
; SGPRBlocks: 4
; VGPRBlocks: 3
; NumSGPRsForWavesPerEU: 36
; NumVGPRsForWavesPerEU: 26
; AccumOffset: 28
; Occupancy: 8
; WaveLimiterHint : 0
; COMPUTE_PGM_RSRC2:SCRATCH_EN: 0
; COMPUTE_PGM_RSRC2:USER_SGPR: 2
; COMPUTE_PGM_RSRC2:TRAP_HANDLER: 0
; COMPUTE_PGM_RSRC2:TGID_X_EN: 1
; COMPUTE_PGM_RSRC2:TGID_Y_EN: 0
; COMPUTE_PGM_RSRC2:TGID_Z_EN: 0
; COMPUTE_PGM_RSRC2:TIDIG_COMP_CNT: 0
; COMPUTE_PGM_RSRC3_GFX90A:ACCUM_OFFSET: 6
; COMPUTE_PGM_RSRC3_GFX90A:TG_SPLIT: 0
	.section	.text._ZN5aiter18act_and_mul_kernelIDF16_DF16_TnPFfRKT_EXadL_ZNS_11silu_kernelIDF16_EEfS3_EELi2ELb0ELi3EEEvPT0_PS2_if,"axG",@progbits,_ZN5aiter18act_and_mul_kernelIDF16_DF16_TnPFfRKT_EXadL_ZNS_11silu_kernelIDF16_EEfS3_EELi2ELb0ELi3EEEvPT0_PS2_if,comdat
	.protected	_ZN5aiter18act_and_mul_kernelIDF16_DF16_TnPFfRKT_EXadL_ZNS_11silu_kernelIDF16_EEfS3_EELi2ELb0ELi3EEEvPT0_PS2_if ; -- Begin function _ZN5aiter18act_and_mul_kernelIDF16_DF16_TnPFfRKT_EXadL_ZNS_11silu_kernelIDF16_EEfS3_EELi2ELb0ELi3EEEvPT0_PS2_if
	.globl	_ZN5aiter18act_and_mul_kernelIDF16_DF16_TnPFfRKT_EXadL_ZNS_11silu_kernelIDF16_EEfS3_EELi2ELb0ELi3EEEvPT0_PS2_if
	.p2align	8
	.type	_ZN5aiter18act_and_mul_kernelIDF16_DF16_TnPFfRKT_EXadL_ZNS_11silu_kernelIDF16_EEfS3_EELi2ELb0ELi3EEEvPT0_PS2_if,@function
_ZN5aiter18act_and_mul_kernelIDF16_DF16_TnPFfRKT_EXadL_ZNS_11silu_kernelIDF16_EEfS3_EELi2ELb0ELi3EEEvPT0_PS2_if: ; @_ZN5aiter18act_and_mul_kernelIDF16_DF16_TnPFfRKT_EXadL_ZNS_11silu_kernelIDF16_EEfS3_EELi2ELb0ELi3EEEvPT0_PS2_if
; %bb.0:
	s_load_dword s16, s[0:1], 0x10
	v_lshlrev_b32_e32 v0, 1, v0
	s_waitcnt lgkmcnt(0)
	v_cmp_gt_i32_e32 vcc, s16, v0
	s_and_saveexec_b64 s[4:5], vcc
	s_cbranch_execz .LBB47_3
; %bb.1:
	s_load_dwordx4 s[12:15], s[0:1], 0x0
	s_ashr_i32 s17, s16, 31
	s_mul_hi_u32 s3, s16, s2
	s_mul_i32 s4, s17, s2
	s_add_i32 s3, s3, s4
	s_mul_i32 s2, s16, s2
	s_lshl_b64 s[10:11], s[2:3], 1
	s_lshl_b64 s[2:3], s[2:3], 2
	s_waitcnt lgkmcnt(0)
	s_add_u32 s4, s14, s2
	s_addc_u32 s5, s15, s3
	s_lshl_b64 s[2:3], s[16:17], 1
	s_add_u32 s8, s4, s2
	s_addc_u32 s2, s5, s3
	s_add_i32 s3, s16, 1
	s_lshr_b32 s6, s3, 31
	s_add_i32 s3, s3, s6
	s_lshl_b32 s3, s3, 1
	s_and_b32 s6, s3, -4
	s_and_b32 s5, s5, 0xffff
	s_and_b32 s9, s2, 0xffff
	s_add_u32 s12, s12, s10
	s_addc_u32 s2, s13, s11
	s_and_b32 s13, s2, 0xffff
	s_mov_b32 s7, 0x20000
	s_add_u32 s2, s0, 24
	v_mov_b32_e32 v1, 0
	s_addc_u32 s3, s1, 0
	s_mov_b64 s[18:19], 0
	s_mov_b32 s21, 0
	s_mov_b32 s10, s6
	;; [unrolled: 1-line block ×7, first 2 shown]
	v_mov_b32_e32 v2, 0x7f800000
	s_mov_b32 s14, s6
	s_mov_b32 s15, s7
.LBB47_2:                               ; =>This Inner Loop Header: Depth=1
	v_lshlrev_b32_e32 v3, 1, v0
	buffer_load_dword v8, v3, s[4:7], 0 offen sc0 nt
	buffer_load_dword v7, v3, s[8:11], 0 offen sc0 nt
	s_waitcnt vmcnt(1)
	v_cvt_f32_f16_sdwa v5, v8 dst_sel:DWORD dst_unused:UNUSED_PAD src0_sel:WORD_1
	v_cvt_f32_f16_e32 v4, v8
	s_waitcnt vmcnt(0)
	v_cvt_f32_f16_e32 v6, v7
	v_cvt_f32_f16_sdwa v7, v7 dst_sel:DWORD dst_unused:UNUSED_PAD src0_sel:WORD_1
	v_mul_f32_e32 v9, 0xbfb8aa3b, v5
	v_mul_f32_e32 v10, 0xbfb8aa3b, v4
	v_fma_mix_f32 v11, v8, s22, -v9 op_sel:[1,0,0] op_sel_hi:[1,0,0]
	v_rndne_f32_e32 v12, v9
	v_fma_mix_f32 v13, v8, s22, -v10 op_sel_hi:[1,0,0]
	v_rndne_f32_e32 v14, v10
	v_fma_mix_f32 v11, v8, s23, v11 op_sel:[1,0,0] op_sel_hi:[1,0,0]
	v_sub_f32_e32 v9, v9, v12
	v_fma_mix_f32 v8, v8, s23, v13 op_sel_hi:[1,0,0]
	v_sub_f32_e32 v10, v10, v14
	v_add_f32_e32 v9, v9, v11
	v_add_f32_e32 v8, v10, v8
	v_cvt_i32_f32_e32 v12, v12
	v_cvt_i32_f32_e32 v13, v14
	v_exp_f32_e32 v9, v9
	v_exp_f32_e32 v8, v8
	v_cmp_nlt_f32_e32 vcc, s24, v4
	v_cmp_nlt_f32_e64 s[0:1], s24, v5
	v_ldexp_f32 v9, v9, v12
	v_ldexp_f32 v8, v8, v13
	v_cndmask_b32_e64 v9, 0, v9, s[0:1]
	v_cndmask_b32_e32 v8, 0, v8, vcc
	v_cmp_ngt_f32_e32 vcc, s25, v4
	v_cmp_ngt_f32_e64 s[0:1], s25, v5
	s_nop 0
	v_cndmask_b32_e32 v8, v2, v8, vcc
	v_cndmask_b32_e64 v9, v2, v9, s[0:1]
	v_add_f32_e32 v9, 1.0, v9
	v_add_f32_e32 v8, 1.0, v8
	v_rcp_f32_e32 v9, v9
	v_rcp_f32_e32 v8, v8
	s_nop 0
	v_pk_mul_f32 v[4:5], v[8:9], v[4:5]
	s_nop 0
	;;#ASMSTART
	v_pk_mul_f32 v[4:5], v[4:5], v[6:7]
	;;#ASMEND
	s_load_dword s0, s[2:3], 0xc
	v_cvt_f16_f32_e32 v4, v4
	v_cvt_f16_f32_e32 v5, v5
	s_waitcnt lgkmcnt(0)
	s_and_b32 s0, s0, 0xffff
	s_lshl_b32 s20, s0, 1
	v_lshl_add_u64 v[0:1], s[20:21], 0, v[0:1]
	v_cmp_le_i64_e32 vcc, s[16:17], v[0:1]
	v_pack_b32_f16 v4, v4, v5
	s_or_b64 s[18:19], vcc, s[18:19]
	buffer_store_dword v4, v3, s[12:15], 0 offen
	s_andn2_b64 exec, exec, s[18:19]
	s_cbranch_execnz .LBB47_2
.LBB47_3:
	s_endpgm
	.section	.rodata,"a",@progbits
	.p2align	6, 0x0
	.amdhsa_kernel _ZN5aiter18act_and_mul_kernelIDF16_DF16_TnPFfRKT_EXadL_ZNS_11silu_kernelIDF16_EEfS3_EELi2ELb0ELi3EEEvPT0_PS2_if
		.amdhsa_group_segment_fixed_size 0
		.amdhsa_private_segment_fixed_size 0
		.amdhsa_kernarg_size 280
		.amdhsa_user_sgpr_count 2
		.amdhsa_user_sgpr_dispatch_ptr 0
		.amdhsa_user_sgpr_queue_ptr 0
		.amdhsa_user_sgpr_kernarg_segment_ptr 1
		.amdhsa_user_sgpr_dispatch_id 0
		.amdhsa_user_sgpr_kernarg_preload_length 0
		.amdhsa_user_sgpr_kernarg_preload_offset 0
		.amdhsa_user_sgpr_private_segment_size 0
		.amdhsa_uses_dynamic_stack 0
		.amdhsa_enable_private_segment 0
		.amdhsa_system_sgpr_workgroup_id_x 1
		.amdhsa_system_sgpr_workgroup_id_y 0
		.amdhsa_system_sgpr_workgroup_id_z 0
		.amdhsa_system_sgpr_workgroup_info 0
		.amdhsa_system_vgpr_workitem_id 0
		.amdhsa_next_free_vgpr 15
		.amdhsa_next_free_sgpr 26
		.amdhsa_accum_offset 16
		.amdhsa_reserve_vcc 1
		.amdhsa_float_round_mode_32 0
		.amdhsa_float_round_mode_16_64 0
		.amdhsa_float_denorm_mode_32 3
		.amdhsa_float_denorm_mode_16_64 3
		.amdhsa_dx10_clamp 1
		.amdhsa_ieee_mode 1
		.amdhsa_fp16_overflow 0
		.amdhsa_tg_split 0
		.amdhsa_exception_fp_ieee_invalid_op 0
		.amdhsa_exception_fp_denorm_src 0
		.amdhsa_exception_fp_ieee_div_zero 0
		.amdhsa_exception_fp_ieee_overflow 0
		.amdhsa_exception_fp_ieee_underflow 0
		.amdhsa_exception_fp_ieee_inexact 0
		.amdhsa_exception_int_div_zero 0
	.end_amdhsa_kernel
	.section	.text._ZN5aiter18act_and_mul_kernelIDF16_DF16_TnPFfRKT_EXadL_ZNS_11silu_kernelIDF16_EEfS3_EELi2ELb0ELi3EEEvPT0_PS2_if,"axG",@progbits,_ZN5aiter18act_and_mul_kernelIDF16_DF16_TnPFfRKT_EXadL_ZNS_11silu_kernelIDF16_EEfS3_EELi2ELb0ELi3EEEvPT0_PS2_if,comdat
.Lfunc_end47:
	.size	_ZN5aiter18act_and_mul_kernelIDF16_DF16_TnPFfRKT_EXadL_ZNS_11silu_kernelIDF16_EEfS3_EELi2ELb0ELi3EEEvPT0_PS2_if, .Lfunc_end47-_ZN5aiter18act_and_mul_kernelIDF16_DF16_TnPFfRKT_EXadL_ZNS_11silu_kernelIDF16_EEfS3_EELi2ELb0ELi3EEEvPT0_PS2_if
                                        ; -- End function
	.section	.AMDGPU.csdata,"",@progbits
; Kernel info:
; codeLenInByte = 548
; NumSgprs: 32
; NumVgprs: 15
; NumAgprs: 0
; TotalNumVgprs: 15
; ScratchSize: 0
; MemoryBound: 0
; FloatMode: 240
; IeeeMode: 1
; LDSByteSize: 0 bytes/workgroup (compile time only)
; SGPRBlocks: 3
; VGPRBlocks: 1
; NumSGPRsForWavesPerEU: 32
; NumVGPRsForWavesPerEU: 15
; AccumOffset: 16
; Occupancy: 8
; WaveLimiterHint : 0
; COMPUTE_PGM_RSRC2:SCRATCH_EN: 0
; COMPUTE_PGM_RSRC2:USER_SGPR: 2
; COMPUTE_PGM_RSRC2:TRAP_HANDLER: 0
; COMPUTE_PGM_RSRC2:TGID_X_EN: 1
; COMPUTE_PGM_RSRC2:TGID_Y_EN: 0
; COMPUTE_PGM_RSRC2:TGID_Z_EN: 0
; COMPUTE_PGM_RSRC2:TIDIG_COMP_CNT: 0
; COMPUTE_PGM_RSRC3_GFX90A:ACCUM_OFFSET: 3
; COMPUTE_PGM_RSRC3_GFX90A:TG_SPLIT: 0
	.section	.text._ZN5aiter18act_and_mul_kernelIDF16_DF16_TnPFfRKT_EXadL_ZNS_11silu_kernelIDF16_EEfS3_EELi1ELb0ELi3EEEvPT0_PS2_if,"axG",@progbits,_ZN5aiter18act_and_mul_kernelIDF16_DF16_TnPFfRKT_EXadL_ZNS_11silu_kernelIDF16_EEfS3_EELi1ELb0ELi3EEEvPT0_PS2_if,comdat
	.protected	_ZN5aiter18act_and_mul_kernelIDF16_DF16_TnPFfRKT_EXadL_ZNS_11silu_kernelIDF16_EEfS3_EELi1ELb0ELi3EEEvPT0_PS2_if ; -- Begin function _ZN5aiter18act_and_mul_kernelIDF16_DF16_TnPFfRKT_EXadL_ZNS_11silu_kernelIDF16_EEfS3_EELi1ELb0ELi3EEEvPT0_PS2_if
	.globl	_ZN5aiter18act_and_mul_kernelIDF16_DF16_TnPFfRKT_EXadL_ZNS_11silu_kernelIDF16_EEfS3_EELi1ELb0ELi3EEEvPT0_PS2_if
	.p2align	8
	.type	_ZN5aiter18act_and_mul_kernelIDF16_DF16_TnPFfRKT_EXadL_ZNS_11silu_kernelIDF16_EEfS3_EELi1ELb0ELi3EEEvPT0_PS2_if,@function
_ZN5aiter18act_and_mul_kernelIDF16_DF16_TnPFfRKT_EXadL_ZNS_11silu_kernelIDF16_EEfS3_EELi1ELb0ELi3EEEvPT0_PS2_if: ; @_ZN5aiter18act_and_mul_kernelIDF16_DF16_TnPFfRKT_EXadL_ZNS_11silu_kernelIDF16_EEfS3_EELi1ELb0ELi3EEEvPT0_PS2_if
; %bb.0:
	s_load_dword s12, s[0:1], 0x10
	s_waitcnt lgkmcnt(0)
	v_cmp_gt_i32_e32 vcc, s12, v0
	s_and_saveexec_b64 s[4:5], vcc
	s_cbranch_execz .LBB48_3
; %bb.1:
	s_load_dwordx4 s[8:11], s[0:1], 0x0
	s_load_dword s14, s[0:1], 0x24
	s_ashr_i32 s13, s12, 31
	s_mul_hi_u32 s3, s12, s2
	s_mul_i32 s4, s13, s2
	s_add_i32 s3, s3, s4
	s_mul_i32 s2, s12, s2
	s_lshl_b64 s[6:7], s[2:3], 1
	s_lshl_b64 s[2:3], s[2:3], 2
	s_waitcnt lgkmcnt(0)
	s_add_u32 s0, s10, s2
	s_addc_u32 s1, s11, s3
	s_lshl_b64 s[2:3], s[12:13], 1
	s_add_u32 s4, s0, s2
	s_addc_u32 s5, s1, s3
	s_add_i32 s2, s12, 1
	s_lshr_b32 s3, s2, 31
	s_add_i32 s2, s2, s3
	s_lshl_b32 s2, s2, 1
	s_and_b32 s2, s2, -4
	s_and_b32 s1, s1, 0xffff
	s_and_b32 s5, s5, 0xffff
	s_add_u32 s8, s8, s6
	s_mov_b32 s3, 0x20000
	s_addc_u32 s6, s9, s7
	s_and_b32 s14, s14, 0xffff
	s_and_b32 s9, s6, 0xffff
	s_mov_b32 s15, 0
	v_mov_b32_e32 v1, 0
	v_lshlrev_b32_e32 v2, 1, v0
	s_lshl_b32 s18, s14, 1
	s_mov_b64 s[16:17], 0
	s_mov_b32 s6, s2
	s_mov_b32 s7, s3
	;; [unrolled: 1-line block ×6, first 2 shown]
	v_mov_b32_e32 v3, 0x7f800000
	s_mov_b32 s10, s2
	s_mov_b32 s11, s3
.LBB48_2:                               ; =>This Inner Loop Header: Depth=1
	buffer_load_ushort v4, v2, s[0:3], 0 offen sc0 nt
	buffer_load_ushort v5, v2, s[4:7], 0 offen sc0 nt
	v_lshl_add_u64 v[0:1], v[0:1], 0, s[14:15]
	s_waitcnt vmcnt(1)
	v_cvt_f32_f16_e32 v6, v4
	v_mul_f32_e32 v7, 0xbfb8aa3b, v6
	v_fma_mix_f32 v8, v4, s19, -v7 op_sel_hi:[1,0,0]
	v_rndne_f32_e32 v9, v7
	v_fma_mix_f32 v4, v4, s20, v8 op_sel_hi:[1,0,0]
	v_sub_f32_e32 v7, v7, v9
	v_add_f32_e32 v4, v7, v4
	v_cvt_i32_f32_e32 v8, v9
	v_exp_f32_e32 v4, v4
	v_cmp_nlt_f32_e32 vcc, s21, v6
	v_ldexp_f32 v4, v4, v8
	s_nop 0
	v_cndmask_b32_e32 v4, 0, v4, vcc
	v_cmp_ngt_f32_e32 vcc, s22, v6
	s_nop 1
	v_cndmask_b32_e32 v4, v3, v4, vcc
	v_add_f32_e32 v4, 1.0, v4
	v_rcp_f32_e32 v4, v4
	v_cmp_le_i64_e32 vcc, s[12:13], v[0:1]
	s_or_b64 s[16:17], vcc, s[16:17]
	v_mul_f32_e32 v4, v4, v6
	s_waitcnt vmcnt(0)
	v_fma_mixlo_f16 v4, v4, v5, 0 op_sel_hi:[0,1,0]
	buffer_store_short v4, v2, s[8:11], 0 offen
	v_add_u32_e32 v2, s18, v2
	s_andn2_b64 exec, exec, s[16:17]
	s_cbranch_execnz .LBB48_2
.LBB48_3:
	s_endpgm
	.section	.rodata,"a",@progbits
	.p2align	6, 0x0
	.amdhsa_kernel _ZN5aiter18act_and_mul_kernelIDF16_DF16_TnPFfRKT_EXadL_ZNS_11silu_kernelIDF16_EEfS3_EELi1ELb0ELi3EEEvPT0_PS2_if
		.amdhsa_group_segment_fixed_size 0
		.amdhsa_private_segment_fixed_size 0
		.amdhsa_kernarg_size 280
		.amdhsa_user_sgpr_count 2
		.amdhsa_user_sgpr_dispatch_ptr 0
		.amdhsa_user_sgpr_queue_ptr 0
		.amdhsa_user_sgpr_kernarg_segment_ptr 1
		.amdhsa_user_sgpr_dispatch_id 0
		.amdhsa_user_sgpr_kernarg_preload_length 0
		.amdhsa_user_sgpr_kernarg_preload_offset 0
		.amdhsa_user_sgpr_private_segment_size 0
		.amdhsa_uses_dynamic_stack 0
		.amdhsa_enable_private_segment 0
		.amdhsa_system_sgpr_workgroup_id_x 1
		.amdhsa_system_sgpr_workgroup_id_y 0
		.amdhsa_system_sgpr_workgroup_id_z 0
		.amdhsa_system_sgpr_workgroup_info 0
		.amdhsa_system_vgpr_workitem_id 0
		.amdhsa_next_free_vgpr 10
		.amdhsa_next_free_sgpr 23
		.amdhsa_accum_offset 12
		.amdhsa_reserve_vcc 1
		.amdhsa_float_round_mode_32 0
		.amdhsa_float_round_mode_16_64 0
		.amdhsa_float_denorm_mode_32 3
		.amdhsa_float_denorm_mode_16_64 3
		.amdhsa_dx10_clamp 1
		.amdhsa_ieee_mode 1
		.amdhsa_fp16_overflow 0
		.amdhsa_tg_split 0
		.amdhsa_exception_fp_ieee_invalid_op 0
		.amdhsa_exception_fp_denorm_src 0
		.amdhsa_exception_fp_ieee_div_zero 0
		.amdhsa_exception_fp_ieee_overflow 0
		.amdhsa_exception_fp_ieee_underflow 0
		.amdhsa_exception_fp_ieee_inexact 0
		.amdhsa_exception_int_div_zero 0
	.end_amdhsa_kernel
	.section	.text._ZN5aiter18act_and_mul_kernelIDF16_DF16_TnPFfRKT_EXadL_ZNS_11silu_kernelIDF16_EEfS3_EELi1ELb0ELi3EEEvPT0_PS2_if,"axG",@progbits,_ZN5aiter18act_and_mul_kernelIDF16_DF16_TnPFfRKT_EXadL_ZNS_11silu_kernelIDF16_EEfS3_EELi1ELb0ELi3EEEvPT0_PS2_if,comdat
.Lfunc_end48:
	.size	_ZN5aiter18act_and_mul_kernelIDF16_DF16_TnPFfRKT_EXadL_ZNS_11silu_kernelIDF16_EEfS3_EELi1ELb0ELi3EEEvPT0_PS2_if, .Lfunc_end48-_ZN5aiter18act_and_mul_kernelIDF16_DF16_TnPFfRKT_EXadL_ZNS_11silu_kernelIDF16_EEfS3_EELi1ELb0ELi3EEEvPT0_PS2_if
                                        ; -- End function
	.section	.AMDGPU.csdata,"",@progbits
; Kernel info:
; codeLenInByte = 400
; NumSgprs: 29
; NumVgprs: 10
; NumAgprs: 0
; TotalNumVgprs: 10
; ScratchSize: 0
; MemoryBound: 0
; FloatMode: 240
; IeeeMode: 1
; LDSByteSize: 0 bytes/workgroup (compile time only)
; SGPRBlocks: 3
; VGPRBlocks: 1
; NumSGPRsForWavesPerEU: 29
; NumVGPRsForWavesPerEU: 10
; AccumOffset: 12
; Occupancy: 8
; WaveLimiterHint : 0
; COMPUTE_PGM_RSRC2:SCRATCH_EN: 0
; COMPUTE_PGM_RSRC2:USER_SGPR: 2
; COMPUTE_PGM_RSRC2:TRAP_HANDLER: 0
; COMPUTE_PGM_RSRC2:TGID_X_EN: 1
; COMPUTE_PGM_RSRC2:TGID_Y_EN: 0
; COMPUTE_PGM_RSRC2:TGID_Z_EN: 0
; COMPUTE_PGM_RSRC2:TIDIG_COMP_CNT: 0
; COMPUTE_PGM_RSRC3_GFX90A:ACCUM_OFFSET: 2
; COMPUTE_PGM_RSRC3_GFX90A:TG_SPLIT: 0
	.section	.text._ZN5aiter18act_and_mul_kernelIttTnPFfRKT_EXadL_ZNS_11silu_kernelItEEfS3_EELi32ELb0ELi3EEEvPT0_PS2_if,"axG",@progbits,_ZN5aiter18act_and_mul_kernelIttTnPFfRKT_EXadL_ZNS_11silu_kernelItEEfS3_EELi32ELb0ELi3EEEvPT0_PS2_if,comdat
	.protected	_ZN5aiter18act_and_mul_kernelIttTnPFfRKT_EXadL_ZNS_11silu_kernelItEEfS3_EELi32ELb0ELi3EEEvPT0_PS2_if ; -- Begin function _ZN5aiter18act_and_mul_kernelIttTnPFfRKT_EXadL_ZNS_11silu_kernelItEEfS3_EELi32ELb0ELi3EEEvPT0_PS2_if
	.globl	_ZN5aiter18act_and_mul_kernelIttTnPFfRKT_EXadL_ZNS_11silu_kernelItEEfS3_EELi32ELb0ELi3EEEvPT0_PS2_if
	.p2align	8
	.type	_ZN5aiter18act_and_mul_kernelIttTnPFfRKT_EXadL_ZNS_11silu_kernelItEEfS3_EELi32ELb0ELi3EEEvPT0_PS2_if,@function
_ZN5aiter18act_and_mul_kernelIttTnPFfRKT_EXadL_ZNS_11silu_kernelItEEfS3_EELi32ELb0ELi3EEEvPT0_PS2_if: ; @_ZN5aiter18act_and_mul_kernelIttTnPFfRKT_EXadL_ZNS_11silu_kernelItEEfS3_EELi32ELb0ELi3EEEvPT0_PS2_if
; %bb.0:
	s_load_dword s16, s[0:1], 0x10
	v_lshlrev_b32_e32 v32, 5, v0
	s_waitcnt lgkmcnt(0)
	v_cmp_gt_i32_e32 vcc, s16, v32
	s_and_saveexec_b64 s[4:5], vcc
	s_cbranch_execz .LBB49_3
; %bb.1:
	s_load_dwordx4 s[12:15], s[0:1], 0x0
	s_ashr_i32 s17, s16, 31
	s_mul_hi_u32 s3, s16, s2
	s_mul_i32 s4, s17, s2
	s_add_i32 s3, s3, s4
	s_mul_i32 s2, s16, s2
	s_lshl_b64 s[10:11], s[2:3], 1
	s_lshl_b64 s[2:3], s[2:3], 2
	s_waitcnt lgkmcnt(0)
	s_add_u32 s4, s14, s2
	s_addc_u32 s5, s15, s3
	s_lshl_b64 s[2:3], s[16:17], 1
	s_add_u32 s8, s4, s2
	s_addc_u32 s2, s5, s3
	s_add_i32 s3, s16, 1
	s_lshr_b32 s6, s3, 31
	s_add_i32 s3, s3, s6
	s_lshl_b32 s3, s3, 1
	s_and_b32 s6, s3, -4
	s_and_b32 s5, s5, 0xffff
	s_and_b32 s9, s2, 0xffff
	s_add_u32 s12, s12, s10
	s_addc_u32 s2, s13, s11
	s_and_b32 s13, s2, 0xffff
	s_mov_b32 s7, 0x20000
	s_add_u32 s0, s0, 24
	v_mov_b32_e32 v33, 0
	s_addc_u32 s1, s1, 0
	s_mov_b64 s[2:3], 0
	s_mov_b32 s19, 0
	s_mov_b32 s20, 0xbfb8aa3b
	;; [unrolled: 1-line block ×4, first 2 shown]
	v_mov_b32_e32 v38, 0x7f800000
	s_mov_b32 s23, 0x7060302
	s_mov_b32 s10, s6
	;; [unrolled: 1-line block ×5, first 2 shown]
.LBB49_2:                               ; =>This Inner Loop Header: Depth=1
	v_lshlrev_b32_e32 v39, 1, v32
	buffer_load_dwordx4 v[24:27], v39, s[4:7], 0 offen sc0 nt
	buffer_load_dwordx4 v[16:19], v39, s[4:7], 16 offen sc0 nt
	;; [unrolled: 1-line block ×8, first 2 shown]
	s_waitcnt vmcnt(7)
	v_lshlrev_b32_e32 v36, 16, v24
	v_and_b32_e32 v37, 0xffff0000, v24
	v_mul_f32_e32 v24, 0xbfb8aa3b, v36
	v_rndne_f32_e32 v40, v24
	s_waitcnt vmcnt(3)
	v_and_b32_e32 v35, 0xffff0000, v28
	v_lshlrev_b32_e32 v34, 16, v28
	v_fma_f32 v28, v36, s20, -v24
	v_fmac_f32_e32 v28, 0xb2a5705f, v36
	v_sub_f32_e32 v24, v24, v40
	v_add_f32_e32 v24, v24, v28
	v_exp_f32_e32 v24, v24
	v_cvt_i32_f32_e32 v28, v40
	v_cmp_nlt_f32_e32 vcc, s21, v36
	v_ldexp_f32 v24, v24, v28
	s_nop 0
	v_cndmask_b32_e32 v24, 0, v24, vcc
	v_cmp_ngt_f32_e32 vcc, s22, v36
	s_nop 1
	v_cndmask_b32_e32 v24, v38, v24, vcc
	v_add_f32_e32 v24, 1.0, v24
	v_rcp_f32_e32 v40, v24
	v_mul_f32_e32 v24, 0xbfb8aa3b, v37
	v_fma_f32 v28, v37, s20, -v24
	v_rndne_f32_e32 v41, v24
	v_fmac_f32_e32 v28, 0xb2a5705f, v37
	v_sub_f32_e32 v24, v24, v41
	v_add_f32_e32 v24, v24, v28
	v_exp_f32_e32 v24, v24
	v_cvt_i32_f32_e32 v28, v41
	v_cmp_nlt_f32_e32 vcc, s21, v37
	v_ldexp_f32 v24, v24, v28
	s_nop 0
	v_cndmask_b32_e32 v24, 0, v24, vcc
	v_cmp_ngt_f32_e32 vcc, s22, v37
	v_lshlrev_b32_e32 v28, 16, v25
	s_nop 0
	v_cndmask_b32_e32 v24, v38, v24, vcc
	v_add_f32_e32 v24, 1.0, v24
	v_rcp_f32_e32 v41, v24
	v_mul_f32_e32 v24, 0xbfb8aa3b, v28
	v_cmp_nlt_f32_e32 vcc, s21, v28
	v_pk_mul_f32 v[36:37], v[40:41], v[36:37]
	s_nop 0
	;;#ASMSTART
	v_pk_mul_f32 v[34:35], v[36:37], v[34:35]
	;;#ASMEND
	v_and_b32_e32 v37, 0xffff0000, v29
	v_lshlrev_b32_e32 v36, 16, v29
	v_and_b32_e32 v29, 0xffff0000, v25
	v_fma_f32 v25, v28, s20, -v24
	v_rndne_f32_e32 v40, v24
	v_fmac_f32_e32 v25, 0xb2a5705f, v28
	v_sub_f32_e32 v24, v24, v40
	v_add_f32_e32 v24, v24, v25
	v_exp_f32_e32 v24, v24
	v_cvt_i32_f32_e32 v25, v40
	v_perm_b32 v34, v35, v34, s23
	v_ldexp_f32 v24, v24, v25
	v_mul_f32_e32 v25, 0xbfb8aa3b, v29
	v_fma_f32 v40, v29, s20, -v25
	v_rndne_f32_e32 v41, v25
	v_fmac_f32_e32 v40, 0xb2a5705f, v29
	v_sub_f32_e32 v25, v25, v41
	v_add_f32_e32 v25, v25, v40
	v_exp_f32_e32 v25, v25
	v_cvt_i32_f32_e32 v40, v41
	v_cndmask_b32_e32 v24, 0, v24, vcc
	v_cmp_ngt_f32_e32 vcc, s22, v28
	v_ldexp_f32 v25, v25, v40
	s_nop 0
	v_cndmask_b32_e32 v24, v38, v24, vcc
	v_cmp_nlt_f32_e32 vcc, s21, v29
	v_add_f32_e32 v24, 1.0, v24
	v_rcp_f32_e32 v24, v24
	v_cndmask_b32_e32 v25, 0, v25, vcc
	v_cmp_ngt_f32_e32 vcc, s22, v29
	s_nop 1
	v_cndmask_b32_e32 v25, v38, v25, vcc
	v_add_f32_e32 v25, 1.0, v25
	v_rcp_f32_e32 v25, v25
	s_nop 0
	v_pk_mul_f32 v[24:25], v[24:25], v[28:29]
	s_nop 0
	;;#ASMSTART
	v_pk_mul_f32 v[24:25], v[24:25], v[36:37]
	;;#ASMEND
	v_lshlrev_b32_e32 v36, 16, v26
	v_and_b32_e32 v37, 0xffff0000, v26
	v_mul_f32_e32 v26, 0xbfb8aa3b, v36
	v_and_b32_e32 v29, 0xffff0000, v30
	v_lshlrev_b32_e32 v28, 16, v30
	v_fma_f32 v30, v36, s20, -v26
	v_rndne_f32_e32 v40, v26
	v_fmac_f32_e32 v30, 0xb2a5705f, v36
	v_sub_f32_e32 v26, v26, v40
	v_add_f32_e32 v26, v26, v30
	v_exp_f32_e32 v26, v26
	v_cvt_i32_f32_e32 v30, v40
	v_cmp_nlt_f32_e32 vcc, s21, v36
	v_perm_b32 v35, v25, v24, s23
	v_ldexp_f32 v26, v26, v30
	v_cndmask_b32_e32 v26, 0, v26, vcc
	v_cmp_ngt_f32_e32 vcc, s22, v36
	s_nop 1
	v_cndmask_b32_e32 v26, v38, v26, vcc
	v_add_f32_e32 v26, 1.0, v26
	v_rcp_f32_e32 v40, v26
	v_mul_f32_e32 v26, 0xbfb8aa3b, v37
	v_fma_f32 v30, v37, s20, -v26
	v_rndne_f32_e32 v41, v26
	v_fmac_f32_e32 v30, 0xb2a5705f, v37
	v_sub_f32_e32 v26, v26, v41
	v_add_f32_e32 v26, v26, v30
	v_exp_f32_e32 v26, v26
	v_cvt_i32_f32_e32 v30, v41
	v_cmp_nlt_f32_e32 vcc, s21, v37
	v_ldexp_f32 v26, v26, v30
	s_nop 0
	v_cndmask_b32_e32 v26, 0, v26, vcc
	v_cmp_ngt_f32_e32 vcc, s22, v37
	v_lshlrev_b32_e32 v30, 16, v27
	s_nop 0
	v_cndmask_b32_e32 v26, v38, v26, vcc
	v_add_f32_e32 v26, 1.0, v26
	v_rcp_f32_e32 v41, v26
	v_mul_f32_e32 v26, 0xbfb8aa3b, v30
	v_cmp_nlt_f32_e32 vcc, s21, v30
	v_pk_mul_f32 v[36:37], v[40:41], v[36:37]
	s_nop 0
	;;#ASMSTART
	v_pk_mul_f32 v[28:29], v[36:37], v[28:29]
	;;#ASMEND
	v_and_b32_e32 v37, 0xffff0000, v31
	v_lshlrev_b32_e32 v36, 16, v31
	v_and_b32_e32 v31, 0xffff0000, v27
	v_fma_f32 v27, v30, s20, -v26
	v_rndne_f32_e32 v40, v26
	v_fmac_f32_e32 v27, 0xb2a5705f, v30
	v_sub_f32_e32 v26, v26, v40
	v_add_f32_e32 v26, v26, v27
	v_exp_f32_e32 v26, v26
	v_cvt_i32_f32_e32 v27, v40
	v_ldexp_f32 v26, v26, v27
	v_mul_f32_e32 v27, 0xbfb8aa3b, v31
	v_fma_f32 v40, v31, s20, -v27
	v_rndne_f32_e32 v41, v27
	v_fmac_f32_e32 v40, 0xb2a5705f, v31
	v_sub_f32_e32 v27, v27, v41
	v_add_f32_e32 v27, v27, v40
	v_exp_f32_e32 v27, v27
	v_cvt_i32_f32_e32 v40, v41
	v_cndmask_b32_e32 v26, 0, v26, vcc
	v_cmp_ngt_f32_e32 vcc, s22, v30
	v_ldexp_f32 v27, v27, v40
	s_nop 0
	v_cndmask_b32_e32 v26, v38, v26, vcc
	v_cmp_nlt_f32_e32 vcc, s21, v31
	v_add_f32_e32 v26, 1.0, v26
	v_rcp_f32_e32 v26, v26
	v_cndmask_b32_e32 v27, 0, v27, vcc
	v_cmp_ngt_f32_e32 vcc, s22, v31
	s_nop 1
	v_cndmask_b32_e32 v27, v38, v27, vcc
	v_add_f32_e32 v27, 1.0, v27
	v_rcp_f32_e32 v27, v27
	s_nop 0
	v_pk_mul_f32 v[26:27], v[26:27], v[30:31]
	s_nop 0
	;;#ASMSTART
	v_pk_mul_f32 v[26:27], v[26:27], v[36:37]
	;;#ASMEND
	v_lshlrev_b32_e32 v36, 16, v16
	v_and_b32_e32 v37, 0xffff0000, v16
	v_mul_f32_e32 v16, 0xbfb8aa3b, v36
	s_waitcnt vmcnt(2)
	v_and_b32_e32 v31, 0xffff0000, v20
	v_lshlrev_b32_e32 v30, 16, v20
	v_fma_f32 v20, v36, s20, -v16
	v_rndne_f32_e32 v40, v16
	v_fmac_f32_e32 v20, 0xb2a5705f, v36
	v_sub_f32_e32 v16, v16, v40
	v_add_f32_e32 v16, v16, v20
	v_exp_f32_e32 v16, v16
	v_cvt_i32_f32_e32 v20, v40
	v_cmp_nlt_f32_e32 vcc, s21, v36
	v_ldexp_f32 v16, v16, v20
	s_nop 0
	v_cndmask_b32_e32 v16, 0, v16, vcc
	v_cmp_ngt_f32_e32 vcc, s22, v36
	s_nop 1
	v_cndmask_b32_e32 v16, v38, v16, vcc
	v_add_f32_e32 v16, 1.0, v16
	v_rcp_f32_e32 v40, v16
	v_mul_f32_e32 v16, 0xbfb8aa3b, v37
	v_fma_f32 v20, v37, s20, -v16
	v_rndne_f32_e32 v41, v16
	v_fmac_f32_e32 v20, 0xb2a5705f, v37
	v_sub_f32_e32 v16, v16, v41
	v_add_f32_e32 v16, v16, v20
	v_exp_f32_e32 v16, v16
	v_cvt_i32_f32_e32 v20, v41
	v_cmp_nlt_f32_e32 vcc, s21, v37
	v_ldexp_f32 v16, v16, v20
	s_nop 0
	v_cndmask_b32_e32 v16, 0, v16, vcc
	v_cmp_ngt_f32_e32 vcc, s22, v37
	v_lshlrev_b32_e32 v20, 16, v17
	s_nop 0
	v_cndmask_b32_e32 v16, v38, v16, vcc
	v_add_f32_e32 v16, 1.0, v16
	v_rcp_f32_e32 v41, v16
	v_mul_f32_e32 v16, 0xbfb8aa3b, v20
	v_cmp_nlt_f32_e32 vcc, s21, v20
	v_pk_mul_f32 v[36:37], v[40:41], v[36:37]
	s_nop 0
	;;#ASMSTART
	v_pk_mul_f32 v[30:31], v[36:37], v[30:31]
	;;#ASMEND
	v_and_b32_e32 v37, 0xffff0000, v21
	v_lshlrev_b32_e32 v36, 16, v21
	v_and_b32_e32 v21, 0xffff0000, v17
	v_fma_f32 v17, v20, s20, -v16
	v_rndne_f32_e32 v40, v16
	v_fmac_f32_e32 v17, 0xb2a5705f, v20
	v_sub_f32_e32 v16, v16, v40
	v_add_f32_e32 v16, v16, v17
	v_exp_f32_e32 v16, v16
	v_cvt_i32_f32_e32 v17, v40
	v_perm_b32 v24, v31, v30, s23
	v_ldexp_f32 v16, v16, v17
	v_mul_f32_e32 v17, 0xbfb8aa3b, v21
	v_fma_f32 v40, v21, s20, -v17
	v_rndne_f32_e32 v41, v17
	v_fmac_f32_e32 v40, 0xb2a5705f, v21
	v_sub_f32_e32 v17, v17, v41
	v_add_f32_e32 v17, v17, v40
	v_exp_f32_e32 v17, v17
	v_cvt_i32_f32_e32 v40, v41
	v_cndmask_b32_e32 v16, 0, v16, vcc
	v_cmp_ngt_f32_e32 vcc, s22, v20
	v_ldexp_f32 v17, v17, v40
	s_nop 0
	v_cndmask_b32_e32 v16, v38, v16, vcc
	v_cmp_nlt_f32_e32 vcc, s21, v21
	v_add_f32_e32 v16, 1.0, v16
	v_rcp_f32_e32 v16, v16
	v_cndmask_b32_e32 v17, 0, v17, vcc
	v_cmp_ngt_f32_e32 vcc, s22, v21
	s_nop 1
	v_cndmask_b32_e32 v17, v38, v17, vcc
	v_add_f32_e32 v17, 1.0, v17
	v_rcp_f32_e32 v17, v17
	s_nop 0
	v_pk_mul_f32 v[16:17], v[16:17], v[20:21]
	s_nop 0
	;;#ASMSTART
	v_pk_mul_f32 v[16:17], v[16:17], v[36:37]
	;;#ASMEND
	v_lshlrev_b32_e32 v36, 16, v18
	v_and_b32_e32 v37, 0xffff0000, v18
	v_mul_f32_e32 v18, 0xbfb8aa3b, v36
	v_and_b32_e32 v21, 0xffff0000, v22
	v_lshlrev_b32_e32 v20, 16, v22
	v_fma_f32 v22, v36, s20, -v18
	v_rndne_f32_e32 v40, v18
	v_fmac_f32_e32 v22, 0xb2a5705f, v36
	v_sub_f32_e32 v18, v18, v40
	v_add_f32_e32 v18, v18, v22
	v_exp_f32_e32 v18, v18
	v_cvt_i32_f32_e32 v22, v40
	v_cmp_nlt_f32_e32 vcc, s21, v36
	v_perm_b32 v25, v17, v16, s23
	v_ldexp_f32 v18, v18, v22
	v_cndmask_b32_e32 v18, 0, v18, vcc
	v_cmp_ngt_f32_e32 vcc, s22, v36
	s_nop 1
	v_cndmask_b32_e32 v18, v38, v18, vcc
	v_add_f32_e32 v18, 1.0, v18
	v_rcp_f32_e32 v40, v18
	v_mul_f32_e32 v18, 0xbfb8aa3b, v37
	v_fma_f32 v22, v37, s20, -v18
	v_rndne_f32_e32 v41, v18
	v_fmac_f32_e32 v22, 0xb2a5705f, v37
	v_sub_f32_e32 v18, v18, v41
	v_add_f32_e32 v18, v18, v22
	v_exp_f32_e32 v18, v18
	v_cvt_i32_f32_e32 v22, v41
	v_cmp_nlt_f32_e32 vcc, s21, v37
	v_ldexp_f32 v18, v18, v22
	s_nop 0
	v_cndmask_b32_e32 v18, 0, v18, vcc
	v_cmp_ngt_f32_e32 vcc, s22, v37
	v_lshlrev_b32_e32 v22, 16, v19
	s_nop 0
	v_cndmask_b32_e32 v18, v38, v18, vcc
	v_add_f32_e32 v18, 1.0, v18
	v_rcp_f32_e32 v41, v18
	v_mul_f32_e32 v18, 0xbfb8aa3b, v22
	v_cmp_nlt_f32_e32 vcc, s21, v22
	v_pk_mul_f32 v[36:37], v[40:41], v[36:37]
	s_nop 0
	;;#ASMSTART
	v_pk_mul_f32 v[20:21], v[36:37], v[20:21]
	;;#ASMEND
	v_and_b32_e32 v37, 0xffff0000, v23
	v_lshlrev_b32_e32 v36, 16, v23
	v_and_b32_e32 v23, 0xffff0000, v19
	v_fma_f32 v19, v22, s20, -v18
	v_rndne_f32_e32 v40, v18
	v_fmac_f32_e32 v19, 0xb2a5705f, v22
	v_sub_f32_e32 v18, v18, v40
	v_add_f32_e32 v18, v18, v19
	v_exp_f32_e32 v18, v18
	v_cvt_i32_f32_e32 v19, v40
	v_ldexp_f32 v18, v18, v19
	v_mul_f32_e32 v19, 0xbfb8aa3b, v23
	v_fma_f32 v40, v23, s20, -v19
	v_rndne_f32_e32 v41, v19
	v_fmac_f32_e32 v40, 0xb2a5705f, v23
	v_sub_f32_e32 v19, v19, v41
	v_add_f32_e32 v19, v19, v40
	v_exp_f32_e32 v19, v19
	v_cvt_i32_f32_e32 v40, v41
	v_cndmask_b32_e32 v18, 0, v18, vcc
	v_cmp_ngt_f32_e32 vcc, s22, v22
	v_ldexp_f32 v19, v19, v40
	s_nop 0
	v_cndmask_b32_e32 v18, v38, v18, vcc
	v_cmp_nlt_f32_e32 vcc, s21, v23
	v_add_f32_e32 v18, 1.0, v18
	v_rcp_f32_e32 v18, v18
	v_cndmask_b32_e32 v19, 0, v19, vcc
	v_cmp_ngt_f32_e32 vcc, s22, v23
	s_nop 1
	v_cndmask_b32_e32 v19, v38, v19, vcc
	v_add_f32_e32 v19, 1.0, v19
	v_rcp_f32_e32 v19, v19
	s_nop 0
	v_pk_mul_f32 v[18:19], v[18:19], v[22:23]
	s_nop 0
	;;#ASMSTART
	v_pk_mul_f32 v[18:19], v[18:19], v[36:37]
	;;#ASMEND
	v_lshlrev_b32_e32 v36, 16, v8
	v_and_b32_e32 v37, 0xffff0000, v8
	v_mul_f32_e32 v8, 0xbfb8aa3b, v36
	s_waitcnt vmcnt(1)
	v_and_b32_e32 v23, 0xffff0000, v12
	v_lshlrev_b32_e32 v22, 16, v12
	v_fma_f32 v12, v36, s20, -v8
	v_rndne_f32_e32 v40, v8
	v_fmac_f32_e32 v12, 0xb2a5705f, v36
	v_sub_f32_e32 v8, v8, v40
	v_add_f32_e32 v8, v8, v12
	v_exp_f32_e32 v8, v8
	v_cvt_i32_f32_e32 v12, v40
	v_cmp_nlt_f32_e32 vcc, s21, v36
	v_ldexp_f32 v8, v8, v12
	s_nop 0
	v_cndmask_b32_e32 v8, 0, v8, vcc
	v_cmp_ngt_f32_e32 vcc, s22, v36
	s_nop 1
	v_cndmask_b32_e32 v8, v38, v8, vcc
	v_add_f32_e32 v8, 1.0, v8
	v_rcp_f32_e32 v40, v8
	v_mul_f32_e32 v8, 0xbfb8aa3b, v37
	v_fma_f32 v12, v37, s20, -v8
	v_rndne_f32_e32 v41, v8
	v_fmac_f32_e32 v12, 0xb2a5705f, v37
	v_sub_f32_e32 v8, v8, v41
	v_add_f32_e32 v8, v8, v12
	v_exp_f32_e32 v8, v8
	v_cvt_i32_f32_e32 v12, v41
	v_cmp_nlt_f32_e32 vcc, s21, v37
	v_ldexp_f32 v8, v8, v12
	s_nop 0
	v_cndmask_b32_e32 v8, 0, v8, vcc
	v_cmp_ngt_f32_e32 vcc, s22, v37
	v_lshlrev_b32_e32 v12, 16, v9
	s_nop 0
	v_cndmask_b32_e32 v8, v38, v8, vcc
	v_add_f32_e32 v8, 1.0, v8
	v_rcp_f32_e32 v41, v8
	v_mul_f32_e32 v8, 0xbfb8aa3b, v12
	v_cmp_nlt_f32_e32 vcc, s21, v12
	v_pk_mul_f32 v[36:37], v[40:41], v[36:37]
	s_nop 0
	;;#ASMSTART
	v_pk_mul_f32 v[22:23], v[36:37], v[22:23]
	;;#ASMEND
	v_and_b32_e32 v37, 0xffff0000, v13
	v_lshlrev_b32_e32 v36, 16, v13
	v_and_b32_e32 v13, 0xffff0000, v9
	v_fma_f32 v9, v12, s20, -v8
	v_rndne_f32_e32 v40, v8
	v_fmac_f32_e32 v9, 0xb2a5705f, v12
	v_sub_f32_e32 v8, v8, v40
	v_add_f32_e32 v8, v8, v9
	v_exp_f32_e32 v8, v8
	v_cvt_i32_f32_e32 v9, v40
	v_ldexp_f32 v8, v8, v9
	v_mul_f32_e32 v9, 0xbfb8aa3b, v13
	v_fma_f32 v40, v13, s20, -v9
	v_rndne_f32_e32 v41, v9
	v_fmac_f32_e32 v40, 0xb2a5705f, v13
	v_sub_f32_e32 v9, v9, v41
	v_add_f32_e32 v9, v9, v40
	v_exp_f32_e32 v9, v9
	v_cvt_i32_f32_e32 v40, v41
	v_cndmask_b32_e32 v8, 0, v8, vcc
	v_cmp_ngt_f32_e32 vcc, s22, v12
	v_ldexp_f32 v9, v9, v40
	s_nop 0
	v_cndmask_b32_e32 v8, v38, v8, vcc
	v_cmp_nlt_f32_e32 vcc, s21, v13
	v_add_f32_e32 v8, 1.0, v8
	v_rcp_f32_e32 v8, v8
	v_cndmask_b32_e32 v9, 0, v9, vcc
	v_cmp_ngt_f32_e32 vcc, s22, v13
	s_nop 1
	v_cndmask_b32_e32 v9, v38, v9, vcc
	v_add_f32_e32 v9, 1.0, v9
	v_rcp_f32_e32 v9, v9
	s_nop 0
	v_pk_mul_f32 v[8:9], v[8:9], v[12:13]
	s_nop 0
	;;#ASMSTART
	v_pk_mul_f32 v[8:9], v[8:9], v[36:37]
	;;#ASMEND
	v_lshlrev_b32_e32 v36, 16, v10
	v_and_b32_e32 v37, 0xffff0000, v10
	v_mul_f32_e32 v10, 0xbfb8aa3b, v36
	v_and_b32_e32 v13, 0xffff0000, v14
	v_lshlrev_b32_e32 v12, 16, v14
	v_fma_f32 v14, v36, s20, -v10
	v_rndne_f32_e32 v40, v10
	v_fmac_f32_e32 v14, 0xb2a5705f, v36
	v_sub_f32_e32 v10, v10, v40
	v_add_f32_e32 v10, v10, v14
	v_exp_f32_e32 v10, v10
	v_cvt_i32_f32_e32 v14, v40
	v_cmp_nlt_f32_e32 vcc, s21, v36
	v_ldexp_f32 v10, v10, v14
	s_nop 0
	v_cndmask_b32_e32 v10, 0, v10, vcc
	v_cmp_ngt_f32_e32 vcc, s22, v36
	s_nop 1
	v_cndmask_b32_e32 v10, v38, v10, vcc
	v_add_f32_e32 v10, 1.0, v10
	v_rcp_f32_e32 v40, v10
	v_mul_f32_e32 v10, 0xbfb8aa3b, v37
	v_fma_f32 v14, v37, s20, -v10
	v_rndne_f32_e32 v41, v10
	v_fmac_f32_e32 v14, 0xb2a5705f, v37
	v_sub_f32_e32 v10, v10, v41
	v_add_f32_e32 v10, v10, v14
	v_exp_f32_e32 v10, v10
	v_cvt_i32_f32_e32 v14, v41
	v_cmp_nlt_f32_e32 vcc, s21, v37
	v_ldexp_f32 v10, v10, v14
	s_nop 0
	v_cndmask_b32_e32 v10, 0, v10, vcc
	v_cmp_ngt_f32_e32 vcc, s22, v37
	v_lshlrev_b32_e32 v14, 16, v11
	s_nop 0
	v_cndmask_b32_e32 v10, v38, v10, vcc
	v_add_f32_e32 v10, 1.0, v10
	v_rcp_f32_e32 v41, v10
	v_mul_f32_e32 v10, 0xbfb8aa3b, v14
	v_cmp_nlt_f32_e32 vcc, s21, v14
	v_pk_mul_f32 v[36:37], v[40:41], v[36:37]
	s_nop 0
	;;#ASMSTART
	v_pk_mul_f32 v[12:13], v[36:37], v[12:13]
	;;#ASMEND
	v_and_b32_e32 v37, 0xffff0000, v15
	v_lshlrev_b32_e32 v36, 16, v15
	v_and_b32_e32 v15, 0xffff0000, v11
	v_fma_f32 v11, v14, s20, -v10
	v_rndne_f32_e32 v40, v10
	v_fmac_f32_e32 v11, 0xb2a5705f, v14
	v_sub_f32_e32 v10, v10, v40
	v_add_f32_e32 v10, v10, v11
	v_exp_f32_e32 v10, v10
	v_cvt_i32_f32_e32 v11, v40
	v_ldexp_f32 v10, v10, v11
	v_mul_f32_e32 v11, 0xbfb8aa3b, v15
	v_fma_f32 v40, v15, s20, -v11
	v_rndne_f32_e32 v41, v11
	v_fmac_f32_e32 v40, 0xb2a5705f, v15
	v_sub_f32_e32 v11, v11, v41
	v_add_f32_e32 v11, v11, v40
	v_exp_f32_e32 v11, v11
	v_cvt_i32_f32_e32 v40, v41
	v_cndmask_b32_e32 v10, 0, v10, vcc
	v_cmp_ngt_f32_e32 vcc, s22, v14
	v_ldexp_f32 v11, v11, v40
	s_nop 0
	v_cndmask_b32_e32 v10, v38, v10, vcc
	v_cmp_nlt_f32_e32 vcc, s21, v15
	v_add_f32_e32 v10, 1.0, v10
	v_rcp_f32_e32 v10, v10
	v_cndmask_b32_e32 v11, 0, v11, vcc
	v_cmp_ngt_f32_e32 vcc, s22, v15
	s_nop 1
	v_cndmask_b32_e32 v11, v38, v11, vcc
	v_add_f32_e32 v11, 1.0, v11
	v_rcp_f32_e32 v11, v11
	s_nop 0
	v_pk_mul_f32 v[10:11], v[10:11], v[14:15]
	s_nop 0
	;;#ASMSTART
	v_pk_mul_f32 v[10:11], v[10:11], v[36:37]
	;;#ASMEND
	v_lshlrev_b32_e32 v36, 16, v0
	v_and_b32_e32 v37, 0xffff0000, v0
	v_mul_f32_e32 v0, 0xbfb8aa3b, v36
	s_waitcnt vmcnt(0)
	v_and_b32_e32 v15, 0xffff0000, v4
	v_lshlrev_b32_e32 v14, 16, v4
	v_fma_f32 v4, v36, s20, -v0
	v_rndne_f32_e32 v40, v0
	v_fmac_f32_e32 v4, 0xb2a5705f, v36
	v_sub_f32_e32 v0, v0, v40
	v_add_f32_e32 v0, v0, v4
	v_exp_f32_e32 v0, v0
	v_cvt_i32_f32_e32 v4, v40
	v_cmp_nlt_f32_e32 vcc, s21, v36
	v_ldexp_f32 v0, v0, v4
	s_nop 0
	v_cndmask_b32_e32 v0, 0, v0, vcc
	v_cmp_ngt_f32_e32 vcc, s22, v36
	s_nop 1
	v_cndmask_b32_e32 v0, v38, v0, vcc
	v_add_f32_e32 v0, 1.0, v0
	v_rcp_f32_e32 v40, v0
	v_mul_f32_e32 v0, 0xbfb8aa3b, v37
	v_fma_f32 v4, v37, s20, -v0
	v_rndne_f32_e32 v41, v0
	v_fmac_f32_e32 v4, 0xb2a5705f, v37
	v_sub_f32_e32 v0, v0, v41
	v_add_f32_e32 v0, v0, v4
	v_exp_f32_e32 v0, v0
	v_cvt_i32_f32_e32 v4, v41
	v_cmp_nlt_f32_e32 vcc, s21, v37
	v_ldexp_f32 v0, v0, v4
	s_nop 0
	v_cndmask_b32_e32 v0, 0, v0, vcc
	v_cmp_ngt_f32_e32 vcc, s22, v37
	v_lshlrev_b32_e32 v4, 16, v1
	s_nop 0
	v_cndmask_b32_e32 v0, v38, v0, vcc
	v_add_f32_e32 v0, 1.0, v0
	v_rcp_f32_e32 v41, v0
	v_mul_f32_e32 v0, 0xbfb8aa3b, v4
	v_cmp_nlt_f32_e32 vcc, s21, v4
	v_pk_mul_f32 v[36:37], v[40:41], v[36:37]
	s_nop 0
	;;#ASMSTART
	v_pk_mul_f32 v[14:15], v[36:37], v[14:15]
	;;#ASMEND
	v_and_b32_e32 v37, 0xffff0000, v5
	v_lshlrev_b32_e32 v36, 16, v5
	v_and_b32_e32 v5, 0xffff0000, v1
	v_fma_f32 v1, v4, s20, -v0
	v_rndne_f32_e32 v40, v0
	v_fmac_f32_e32 v1, 0xb2a5705f, v4
	v_sub_f32_e32 v0, v0, v40
	v_add_f32_e32 v0, v0, v1
	v_exp_f32_e32 v0, v0
	v_cvt_i32_f32_e32 v1, v40
	v_ldexp_f32 v0, v0, v1
	v_mul_f32_e32 v1, 0xbfb8aa3b, v5
	v_fma_f32 v40, v5, s20, -v1
	v_rndne_f32_e32 v41, v1
	v_fmac_f32_e32 v40, 0xb2a5705f, v5
	v_sub_f32_e32 v1, v1, v41
	v_add_f32_e32 v1, v1, v40
	v_exp_f32_e32 v1, v1
	v_cvt_i32_f32_e32 v40, v41
	v_cndmask_b32_e32 v0, 0, v0, vcc
	v_cmp_ngt_f32_e32 vcc, s22, v4
	v_ldexp_f32 v1, v1, v40
	s_nop 0
	v_cndmask_b32_e32 v0, v38, v0, vcc
	v_cmp_nlt_f32_e32 vcc, s21, v5
	v_add_f32_e32 v0, 1.0, v0
	v_rcp_f32_e32 v0, v0
	v_cndmask_b32_e32 v1, 0, v1, vcc
	v_cmp_ngt_f32_e32 vcc, s22, v5
	s_nop 1
	v_cndmask_b32_e32 v1, v38, v1, vcc
	v_add_f32_e32 v1, 1.0, v1
	v_rcp_f32_e32 v1, v1
	s_nop 0
	v_pk_mul_f32 v[0:1], v[0:1], v[4:5]
	s_nop 0
	;;#ASMSTART
	v_pk_mul_f32 v[0:1], v[0:1], v[36:37]
	;;#ASMEND
	v_lshlrev_b32_e32 v36, 16, v2
	v_and_b32_e32 v37, 0xffff0000, v2
	v_mul_f32_e32 v2, 0xbfb8aa3b, v36
	v_and_b32_e32 v5, 0xffff0000, v6
	v_lshlrev_b32_e32 v4, 16, v6
	v_fma_f32 v6, v36, s20, -v2
	v_rndne_f32_e32 v40, v2
	v_fmac_f32_e32 v6, 0xb2a5705f, v36
	v_sub_f32_e32 v2, v2, v40
	v_add_f32_e32 v2, v2, v6
	v_exp_f32_e32 v2, v2
	v_cvt_i32_f32_e32 v6, v40
	v_cmp_nlt_f32_e32 vcc, s21, v36
	v_ldexp_f32 v2, v2, v6
	s_nop 0
	v_cndmask_b32_e32 v2, 0, v2, vcc
	v_cmp_ngt_f32_e32 vcc, s22, v36
	s_nop 1
	v_cndmask_b32_e32 v2, v38, v2, vcc
	v_add_f32_e32 v2, 1.0, v2
	v_rcp_f32_e32 v40, v2
	v_mul_f32_e32 v2, 0xbfb8aa3b, v37
	v_fma_f32 v6, v37, s20, -v2
	v_rndne_f32_e32 v41, v2
	v_fmac_f32_e32 v6, 0xb2a5705f, v37
	v_sub_f32_e32 v2, v2, v41
	v_add_f32_e32 v2, v2, v6
	v_exp_f32_e32 v2, v2
	v_cvt_i32_f32_e32 v6, v41
	v_cmp_nlt_f32_e32 vcc, s21, v37
	v_ldexp_f32 v2, v2, v6
	s_nop 0
	v_cndmask_b32_e32 v2, 0, v2, vcc
	v_cmp_ngt_f32_e32 vcc, s22, v37
	v_lshlrev_b32_e32 v6, 16, v3
	s_nop 0
	v_cndmask_b32_e32 v2, v38, v2, vcc
	v_add_f32_e32 v2, 1.0, v2
	v_rcp_f32_e32 v41, v2
	v_mul_f32_e32 v2, 0xbfb8aa3b, v6
	v_cmp_nlt_f32_e32 vcc, s21, v6
	v_pk_mul_f32 v[36:37], v[40:41], v[36:37]
	s_nop 0
	;;#ASMSTART
	v_pk_mul_f32 v[4:5], v[36:37], v[4:5]
	;;#ASMEND
	v_and_b32_e32 v37, 0xffff0000, v7
	v_lshlrev_b32_e32 v36, 16, v7
	v_and_b32_e32 v7, 0xffff0000, v3
	v_fma_f32 v3, v6, s20, -v2
	v_rndne_f32_e32 v40, v2
	v_fmac_f32_e32 v3, 0xb2a5705f, v6
	v_sub_f32_e32 v2, v2, v40
	v_add_f32_e32 v2, v2, v3
	v_exp_f32_e32 v2, v2
	v_cvt_i32_f32_e32 v3, v40
	v_perm_b32 v4, v5, v4, s23
	v_ldexp_f32 v2, v2, v3
	v_mul_f32_e32 v3, 0xbfb8aa3b, v7
	v_fma_f32 v40, v7, s20, -v3
	v_rndne_f32_e32 v41, v3
	v_fmac_f32_e32 v40, 0xb2a5705f, v7
	v_sub_f32_e32 v3, v3, v41
	v_add_f32_e32 v3, v3, v40
	v_exp_f32_e32 v3, v3
	v_cvt_i32_f32_e32 v40, v41
	v_cndmask_b32_e32 v2, 0, v2, vcc
	v_cmp_ngt_f32_e32 vcc, s22, v6
	v_ldexp_f32 v3, v3, v40
	s_nop 0
	v_cndmask_b32_e32 v2, v38, v2, vcc
	v_cmp_nlt_f32_e32 vcc, s21, v7
	v_add_f32_e32 v2, 1.0, v2
	v_rcp_f32_e32 v2, v2
	v_cndmask_b32_e32 v3, 0, v3, vcc
	v_cmp_ngt_f32_e32 vcc, s22, v7
	s_nop 1
	v_cndmask_b32_e32 v3, v38, v3, vcc
	v_add_f32_e32 v3, 1.0, v3
	v_rcp_f32_e32 v3, v3
	s_nop 0
	v_pk_mul_f32 v[2:3], v[2:3], v[6:7]
	s_nop 0
	;;#ASMSTART
	v_pk_mul_f32 v[40:41], v[2:3], v[36:37]
	;;#ASMEND
	s_load_dword s18, s[0:1], 0xc
	v_perm_b32 v36, v29, v28, s23
	v_perm_b32 v37, v27, v26, s23
	;; [unrolled: 1-line block ×4, first 2 shown]
	s_waitcnt lgkmcnt(0)
	s_and_b32 s18, s18, 0xffff
	s_lshl_b32 s18, s18, 5
	v_lshl_add_u64 v[32:33], s[18:19], 0, v[32:33]
	v_cmp_le_i64_e32 vcc, s[16:17], v[32:33]
	v_perm_b32 v6, v23, v22, s23
	v_perm_b32 v7, v9, v8, s23
	;; [unrolled: 1-line block ×7, first 2 shown]
	s_or_b64 s[2:3], vcc, s[2:3]
	buffer_store_dwordx4 v[34:37], v39, s[12:15], 0 offen
	buffer_store_dwordx4 v[24:27], v39, s[12:15], 16 offen
	;; [unrolled: 1-line block ×4, first 2 shown]
	s_andn2_b64 exec, exec, s[2:3]
	s_cbranch_execnz .LBB49_2
.LBB49_3:
	s_endpgm
	.section	.rodata,"a",@progbits
	.p2align	6, 0x0
	.amdhsa_kernel _ZN5aiter18act_and_mul_kernelIttTnPFfRKT_EXadL_ZNS_11silu_kernelItEEfS3_EELi32ELb0ELi3EEEvPT0_PS2_if
		.amdhsa_group_segment_fixed_size 0
		.amdhsa_private_segment_fixed_size 0
		.amdhsa_kernarg_size 280
		.amdhsa_user_sgpr_count 2
		.amdhsa_user_sgpr_dispatch_ptr 0
		.amdhsa_user_sgpr_queue_ptr 0
		.amdhsa_user_sgpr_kernarg_segment_ptr 1
		.amdhsa_user_sgpr_dispatch_id 0
		.amdhsa_user_sgpr_kernarg_preload_length 0
		.amdhsa_user_sgpr_kernarg_preload_offset 0
		.amdhsa_user_sgpr_private_segment_size 0
		.amdhsa_uses_dynamic_stack 0
		.amdhsa_enable_private_segment 0
		.amdhsa_system_sgpr_workgroup_id_x 1
		.amdhsa_system_sgpr_workgroup_id_y 0
		.amdhsa_system_sgpr_workgroup_id_z 0
		.amdhsa_system_sgpr_workgroup_info 0
		.amdhsa_system_vgpr_workitem_id 0
		.amdhsa_next_free_vgpr 42
		.amdhsa_next_free_sgpr 24
		.amdhsa_accum_offset 44
		.amdhsa_reserve_vcc 1
		.amdhsa_float_round_mode_32 0
		.amdhsa_float_round_mode_16_64 0
		.amdhsa_float_denorm_mode_32 3
		.amdhsa_float_denorm_mode_16_64 3
		.amdhsa_dx10_clamp 1
		.amdhsa_ieee_mode 1
		.amdhsa_fp16_overflow 0
		.amdhsa_tg_split 0
		.amdhsa_exception_fp_ieee_invalid_op 0
		.amdhsa_exception_fp_denorm_src 0
		.amdhsa_exception_fp_ieee_div_zero 0
		.amdhsa_exception_fp_ieee_overflow 0
		.amdhsa_exception_fp_ieee_underflow 0
		.amdhsa_exception_fp_ieee_inexact 0
		.amdhsa_exception_int_div_zero 0
	.end_amdhsa_kernel
	.section	.text._ZN5aiter18act_and_mul_kernelIttTnPFfRKT_EXadL_ZNS_11silu_kernelItEEfS3_EELi32ELb0ELi3EEEvPT0_PS2_if,"axG",@progbits,_ZN5aiter18act_and_mul_kernelIttTnPFfRKT_EXadL_ZNS_11silu_kernelItEEfS3_EELi32ELb0ELi3EEEvPT0_PS2_if,comdat
.Lfunc_end49:
	.size	_ZN5aiter18act_and_mul_kernelIttTnPFfRKT_EXadL_ZNS_11silu_kernelItEEfS3_EELi32ELb0ELi3EEEvPT0_PS2_if, .Lfunc_end49-_ZN5aiter18act_and_mul_kernelIttTnPFfRKT_EXadL_ZNS_11silu_kernelItEEfS3_EELi32ELb0ELi3EEEvPT0_PS2_if
                                        ; -- End function
	.section	.AMDGPU.csdata,"",@progbits
; Kernel info:
; codeLenInByte = 3876
; NumSgprs: 30
; NumVgprs: 42
; NumAgprs: 0
; TotalNumVgprs: 42
; ScratchSize: 0
; MemoryBound: 0
; FloatMode: 240
; IeeeMode: 1
; LDSByteSize: 0 bytes/workgroup (compile time only)
; SGPRBlocks: 3
; VGPRBlocks: 5
; NumSGPRsForWavesPerEU: 30
; NumVGPRsForWavesPerEU: 42
; AccumOffset: 44
; Occupancy: 8
; WaveLimiterHint : 0
; COMPUTE_PGM_RSRC2:SCRATCH_EN: 0
; COMPUTE_PGM_RSRC2:USER_SGPR: 2
; COMPUTE_PGM_RSRC2:TRAP_HANDLER: 0
; COMPUTE_PGM_RSRC2:TGID_X_EN: 1
; COMPUTE_PGM_RSRC2:TGID_Y_EN: 0
; COMPUTE_PGM_RSRC2:TGID_Z_EN: 0
; COMPUTE_PGM_RSRC2:TIDIG_COMP_CNT: 0
; COMPUTE_PGM_RSRC3_GFX90A:ACCUM_OFFSET: 10
; COMPUTE_PGM_RSRC3_GFX90A:TG_SPLIT: 0
	.section	.text._ZN5aiter18act_and_mul_kernelIttTnPFfRKT_EXadL_ZNS_11silu_kernelItEEfS3_EELi16ELb0ELi3EEEvPT0_PS2_if,"axG",@progbits,_ZN5aiter18act_and_mul_kernelIttTnPFfRKT_EXadL_ZNS_11silu_kernelItEEfS3_EELi16ELb0ELi3EEEvPT0_PS2_if,comdat
	.protected	_ZN5aiter18act_and_mul_kernelIttTnPFfRKT_EXadL_ZNS_11silu_kernelItEEfS3_EELi16ELb0ELi3EEEvPT0_PS2_if ; -- Begin function _ZN5aiter18act_and_mul_kernelIttTnPFfRKT_EXadL_ZNS_11silu_kernelItEEfS3_EELi16ELb0ELi3EEEvPT0_PS2_if
	.globl	_ZN5aiter18act_and_mul_kernelIttTnPFfRKT_EXadL_ZNS_11silu_kernelItEEfS3_EELi16ELb0ELi3EEEvPT0_PS2_if
	.p2align	8
	.type	_ZN5aiter18act_and_mul_kernelIttTnPFfRKT_EXadL_ZNS_11silu_kernelItEEfS3_EELi16ELb0ELi3EEEvPT0_PS2_if,@function
_ZN5aiter18act_and_mul_kernelIttTnPFfRKT_EXadL_ZNS_11silu_kernelItEEfS3_EELi16ELb0ELi3EEEvPT0_PS2_if: ; @_ZN5aiter18act_and_mul_kernelIttTnPFfRKT_EXadL_ZNS_11silu_kernelItEEfS3_EELi16ELb0ELi3EEEvPT0_PS2_if
; %bb.0:
	s_load_dword s16, s[0:1], 0x10
	v_lshlrev_b32_e32 v16, 4, v0
	s_waitcnt lgkmcnt(0)
	v_cmp_gt_i32_e32 vcc, s16, v16
	s_and_saveexec_b64 s[4:5], vcc
	s_cbranch_execz .LBB50_3
; %bb.1:
	s_load_dwordx4 s[12:15], s[0:1], 0x0
	s_ashr_i32 s17, s16, 31
	s_mul_hi_u32 s3, s16, s2
	s_mul_i32 s4, s17, s2
	s_add_i32 s3, s3, s4
	s_mul_i32 s2, s16, s2
	s_lshl_b64 s[10:11], s[2:3], 1
	s_lshl_b64 s[2:3], s[2:3], 2
	s_waitcnt lgkmcnt(0)
	s_add_u32 s4, s14, s2
	s_addc_u32 s5, s15, s3
	s_lshl_b64 s[2:3], s[16:17], 1
	s_add_u32 s8, s4, s2
	s_addc_u32 s2, s5, s3
	s_add_i32 s3, s16, 1
	s_lshr_b32 s6, s3, 31
	s_add_i32 s3, s3, s6
	s_lshl_b32 s3, s3, 1
	s_and_b32 s6, s3, -4
	s_and_b32 s5, s5, 0xffff
	s_and_b32 s9, s2, 0xffff
	s_add_u32 s12, s12, s10
	s_addc_u32 s2, s13, s11
	s_and_b32 s13, s2, 0xffff
	s_mov_b32 s7, 0x20000
	s_add_u32 s0, s0, 24
	v_mov_b32_e32 v17, 0
	s_addc_u32 s1, s1, 0
	s_mov_b64 s[2:3], 0
	s_mov_b32 s19, 0
	s_mov_b32 s10, s6
	;; [unrolled: 1-line block ×6, first 2 shown]
	v_mov_b32_e32 v22, 0x7f800000
	s_mov_b32 s23, 0x7060302
	s_mov_b32 s14, s6
	;; [unrolled: 1-line block ×3, first 2 shown]
.LBB50_2:                               ; =>This Inner Loop Header: Depth=1
	v_lshlrev_b32_e32 v23, 1, v16
	buffer_load_dwordx4 v[8:11], v23, s[4:7], 0 offen sc0 nt
	buffer_load_dwordx4 v[0:3], v23, s[4:7], 16 offen sc0 nt
	buffer_load_dwordx4 v[12:15], v23, s[8:11], 0 offen sc0 nt
	buffer_load_dwordx4 v[4:7], v23, s[8:11], 16 offen sc0 nt
	s_waitcnt vmcnt(3)
	v_lshlrev_b32_e32 v20, 16, v8
	v_and_b32_e32 v21, 0xffff0000, v8
	v_mul_f32_e32 v8, 0xbfb8aa3b, v20
	s_waitcnt vmcnt(1)
	v_and_b32_e32 v19, 0xffff0000, v12
	v_lshlrev_b32_e32 v18, 16, v12
	v_fma_f32 v12, v20, s20, -v8
	v_rndne_f32_e32 v24, v8
	v_fmac_f32_e32 v12, 0xb2a5705f, v20
	v_sub_f32_e32 v8, v8, v24
	v_add_f32_e32 v8, v8, v12
	v_exp_f32_e32 v8, v8
	v_cvt_i32_f32_e32 v12, v24
	v_cmp_nlt_f32_e32 vcc, s21, v20
	v_ldexp_f32 v8, v8, v12
	s_nop 0
	v_cndmask_b32_e32 v8, 0, v8, vcc
	v_cmp_ngt_f32_e32 vcc, s22, v20
	s_nop 1
	v_cndmask_b32_e32 v8, v22, v8, vcc
	v_add_f32_e32 v8, 1.0, v8
	v_rcp_f32_e32 v24, v8
	v_mul_f32_e32 v8, 0xbfb8aa3b, v21
	v_fma_f32 v12, v21, s20, -v8
	v_rndne_f32_e32 v25, v8
	v_fmac_f32_e32 v12, 0xb2a5705f, v21
	v_sub_f32_e32 v8, v8, v25
	v_add_f32_e32 v8, v8, v12
	v_exp_f32_e32 v8, v8
	v_cvt_i32_f32_e32 v12, v25
	v_cmp_nlt_f32_e32 vcc, s21, v21
	v_ldexp_f32 v8, v8, v12
	s_nop 0
	v_cndmask_b32_e32 v8, 0, v8, vcc
	v_cmp_ngt_f32_e32 vcc, s22, v21
	v_lshlrev_b32_e32 v12, 16, v9
	s_nop 0
	v_cndmask_b32_e32 v8, v22, v8, vcc
	v_add_f32_e32 v8, 1.0, v8
	v_rcp_f32_e32 v25, v8
	v_mul_f32_e32 v8, 0xbfb8aa3b, v12
	v_cmp_nlt_f32_e32 vcc, s21, v12
	v_pk_mul_f32 v[20:21], v[24:25], v[20:21]
	s_nop 0
	;;#ASMSTART
	v_pk_mul_f32 v[18:19], v[20:21], v[18:19]
	;;#ASMEND
	v_and_b32_e32 v21, 0xffff0000, v13
	v_lshlrev_b32_e32 v20, 16, v13
	v_and_b32_e32 v13, 0xffff0000, v9
	v_fma_f32 v9, v12, s20, -v8
	v_rndne_f32_e32 v24, v8
	v_fmac_f32_e32 v9, 0xb2a5705f, v12
	v_sub_f32_e32 v8, v8, v24
	v_add_f32_e32 v8, v8, v9
	v_exp_f32_e32 v8, v8
	v_cvt_i32_f32_e32 v9, v24
	v_ldexp_f32 v8, v8, v9
	v_mul_f32_e32 v9, 0xbfb8aa3b, v13
	v_fma_f32 v24, v13, s20, -v9
	v_rndne_f32_e32 v25, v9
	v_fmac_f32_e32 v24, 0xb2a5705f, v13
	v_sub_f32_e32 v9, v9, v25
	v_add_f32_e32 v9, v9, v24
	v_exp_f32_e32 v9, v9
	v_cvt_i32_f32_e32 v24, v25
	v_cndmask_b32_e32 v8, 0, v8, vcc
	v_cmp_ngt_f32_e32 vcc, s22, v12
	v_ldexp_f32 v9, v9, v24
	s_nop 0
	v_cndmask_b32_e32 v8, v22, v8, vcc
	v_cmp_nlt_f32_e32 vcc, s21, v13
	v_add_f32_e32 v8, 1.0, v8
	v_rcp_f32_e32 v8, v8
	v_cndmask_b32_e32 v9, 0, v9, vcc
	v_cmp_ngt_f32_e32 vcc, s22, v13
	s_nop 1
	v_cndmask_b32_e32 v9, v22, v9, vcc
	v_add_f32_e32 v9, 1.0, v9
	v_rcp_f32_e32 v9, v9
	s_nop 0
	v_pk_mul_f32 v[8:9], v[8:9], v[12:13]
	s_nop 0
	;;#ASMSTART
	v_pk_mul_f32 v[8:9], v[8:9], v[20:21]
	;;#ASMEND
	v_lshlrev_b32_e32 v20, 16, v10
	v_and_b32_e32 v21, 0xffff0000, v10
	v_mul_f32_e32 v10, 0xbfb8aa3b, v20
	v_and_b32_e32 v13, 0xffff0000, v14
	v_lshlrev_b32_e32 v12, 16, v14
	v_fma_f32 v14, v20, s20, -v10
	v_rndne_f32_e32 v24, v10
	v_fmac_f32_e32 v14, 0xb2a5705f, v20
	v_sub_f32_e32 v10, v10, v24
	v_add_f32_e32 v10, v10, v14
	v_exp_f32_e32 v10, v10
	v_cvt_i32_f32_e32 v14, v24
	v_cmp_nlt_f32_e32 vcc, s21, v20
	v_ldexp_f32 v10, v10, v14
	s_nop 0
	v_cndmask_b32_e32 v10, 0, v10, vcc
	v_cmp_ngt_f32_e32 vcc, s22, v20
	s_nop 1
	v_cndmask_b32_e32 v10, v22, v10, vcc
	v_add_f32_e32 v10, 1.0, v10
	v_rcp_f32_e32 v24, v10
	v_mul_f32_e32 v10, 0xbfb8aa3b, v21
	v_fma_f32 v14, v21, s20, -v10
	v_rndne_f32_e32 v25, v10
	v_fmac_f32_e32 v14, 0xb2a5705f, v21
	v_sub_f32_e32 v10, v10, v25
	v_add_f32_e32 v10, v10, v14
	v_exp_f32_e32 v10, v10
	v_cvt_i32_f32_e32 v14, v25
	v_cmp_nlt_f32_e32 vcc, s21, v21
	v_ldexp_f32 v10, v10, v14
	s_nop 0
	v_cndmask_b32_e32 v10, 0, v10, vcc
	v_cmp_ngt_f32_e32 vcc, s22, v21
	v_lshlrev_b32_e32 v14, 16, v11
	s_nop 0
	v_cndmask_b32_e32 v10, v22, v10, vcc
	v_add_f32_e32 v10, 1.0, v10
	v_rcp_f32_e32 v25, v10
	v_mul_f32_e32 v10, 0xbfb8aa3b, v14
	v_cmp_nlt_f32_e32 vcc, s21, v14
	v_pk_mul_f32 v[20:21], v[24:25], v[20:21]
	s_nop 0
	;;#ASMSTART
	v_pk_mul_f32 v[12:13], v[20:21], v[12:13]
	;;#ASMEND
	v_and_b32_e32 v21, 0xffff0000, v15
	v_lshlrev_b32_e32 v20, 16, v15
	v_and_b32_e32 v15, 0xffff0000, v11
	v_fma_f32 v11, v14, s20, -v10
	v_rndne_f32_e32 v24, v10
	v_fmac_f32_e32 v11, 0xb2a5705f, v14
	v_sub_f32_e32 v10, v10, v24
	v_add_f32_e32 v10, v10, v11
	v_exp_f32_e32 v10, v10
	v_cvt_i32_f32_e32 v11, v24
	v_ldexp_f32 v10, v10, v11
	v_mul_f32_e32 v11, 0xbfb8aa3b, v15
	v_fma_f32 v24, v15, s20, -v11
	v_rndne_f32_e32 v25, v11
	v_fmac_f32_e32 v24, 0xb2a5705f, v15
	v_sub_f32_e32 v11, v11, v25
	v_add_f32_e32 v11, v11, v24
	v_exp_f32_e32 v11, v11
	v_cvt_i32_f32_e32 v24, v25
	v_cndmask_b32_e32 v10, 0, v10, vcc
	v_cmp_ngt_f32_e32 vcc, s22, v14
	v_ldexp_f32 v11, v11, v24
	s_nop 0
	v_cndmask_b32_e32 v10, v22, v10, vcc
	v_cmp_nlt_f32_e32 vcc, s21, v15
	v_add_f32_e32 v10, 1.0, v10
	v_rcp_f32_e32 v10, v10
	v_cndmask_b32_e32 v11, 0, v11, vcc
	v_cmp_ngt_f32_e32 vcc, s22, v15
	s_nop 1
	v_cndmask_b32_e32 v11, v22, v11, vcc
	v_add_f32_e32 v11, 1.0, v11
	v_rcp_f32_e32 v11, v11
	s_nop 0
	v_pk_mul_f32 v[10:11], v[10:11], v[14:15]
	s_nop 0
	;;#ASMSTART
	v_pk_mul_f32 v[10:11], v[10:11], v[20:21]
	;;#ASMEND
	v_lshlrev_b32_e32 v20, 16, v0
	v_and_b32_e32 v21, 0xffff0000, v0
	v_mul_f32_e32 v0, 0xbfb8aa3b, v20
	s_waitcnt vmcnt(0)
	v_and_b32_e32 v15, 0xffff0000, v4
	v_lshlrev_b32_e32 v14, 16, v4
	v_fma_f32 v4, v20, s20, -v0
	v_rndne_f32_e32 v24, v0
	v_fmac_f32_e32 v4, 0xb2a5705f, v20
	v_sub_f32_e32 v0, v0, v24
	v_add_f32_e32 v0, v0, v4
	v_exp_f32_e32 v0, v0
	v_cvt_i32_f32_e32 v4, v24
	v_cmp_nlt_f32_e32 vcc, s21, v20
	v_ldexp_f32 v0, v0, v4
	s_nop 0
	v_cndmask_b32_e32 v0, 0, v0, vcc
	v_cmp_ngt_f32_e32 vcc, s22, v20
	s_nop 1
	v_cndmask_b32_e32 v0, v22, v0, vcc
	v_add_f32_e32 v0, 1.0, v0
	v_rcp_f32_e32 v24, v0
	v_mul_f32_e32 v0, 0xbfb8aa3b, v21
	v_fma_f32 v4, v21, s20, -v0
	v_rndne_f32_e32 v25, v0
	v_fmac_f32_e32 v4, 0xb2a5705f, v21
	v_sub_f32_e32 v0, v0, v25
	v_add_f32_e32 v0, v0, v4
	v_exp_f32_e32 v0, v0
	v_cvt_i32_f32_e32 v4, v25
	v_cmp_nlt_f32_e32 vcc, s21, v21
	v_ldexp_f32 v0, v0, v4
	s_nop 0
	v_cndmask_b32_e32 v0, 0, v0, vcc
	v_cmp_ngt_f32_e32 vcc, s22, v21
	v_lshlrev_b32_e32 v4, 16, v1
	s_nop 0
	v_cndmask_b32_e32 v0, v22, v0, vcc
	v_add_f32_e32 v0, 1.0, v0
	v_rcp_f32_e32 v25, v0
	v_mul_f32_e32 v0, 0xbfb8aa3b, v4
	v_cmp_nlt_f32_e32 vcc, s21, v4
	v_pk_mul_f32 v[20:21], v[24:25], v[20:21]
	s_nop 0
	;;#ASMSTART
	v_pk_mul_f32 v[14:15], v[20:21], v[14:15]
	;;#ASMEND
	v_and_b32_e32 v21, 0xffff0000, v5
	v_lshlrev_b32_e32 v20, 16, v5
	v_and_b32_e32 v5, 0xffff0000, v1
	v_fma_f32 v1, v4, s20, -v0
	v_rndne_f32_e32 v24, v0
	v_fmac_f32_e32 v1, 0xb2a5705f, v4
	v_sub_f32_e32 v0, v0, v24
	v_add_f32_e32 v0, v0, v1
	v_exp_f32_e32 v0, v0
	v_cvt_i32_f32_e32 v1, v24
	v_ldexp_f32 v0, v0, v1
	v_mul_f32_e32 v1, 0xbfb8aa3b, v5
	v_fma_f32 v24, v5, s20, -v1
	v_rndne_f32_e32 v25, v1
	v_fmac_f32_e32 v24, 0xb2a5705f, v5
	v_sub_f32_e32 v1, v1, v25
	v_add_f32_e32 v1, v1, v24
	v_exp_f32_e32 v1, v1
	v_cvt_i32_f32_e32 v24, v25
	v_cndmask_b32_e32 v0, 0, v0, vcc
	v_cmp_ngt_f32_e32 vcc, s22, v4
	v_ldexp_f32 v1, v1, v24
	s_nop 0
	v_cndmask_b32_e32 v0, v22, v0, vcc
	v_cmp_nlt_f32_e32 vcc, s21, v5
	v_add_f32_e32 v0, 1.0, v0
	v_rcp_f32_e32 v0, v0
	v_cndmask_b32_e32 v1, 0, v1, vcc
	v_cmp_ngt_f32_e32 vcc, s22, v5
	s_nop 1
	v_cndmask_b32_e32 v1, v22, v1, vcc
	v_add_f32_e32 v1, 1.0, v1
	v_rcp_f32_e32 v1, v1
	s_nop 0
	v_pk_mul_f32 v[0:1], v[0:1], v[4:5]
	s_nop 0
	;;#ASMSTART
	v_pk_mul_f32 v[0:1], v[0:1], v[20:21]
	;;#ASMEND
	v_lshlrev_b32_e32 v20, 16, v2
	v_and_b32_e32 v21, 0xffff0000, v2
	v_mul_f32_e32 v2, 0xbfb8aa3b, v20
	v_and_b32_e32 v5, 0xffff0000, v6
	v_lshlrev_b32_e32 v4, 16, v6
	v_fma_f32 v6, v20, s20, -v2
	v_rndne_f32_e32 v24, v2
	v_fmac_f32_e32 v6, 0xb2a5705f, v20
	v_sub_f32_e32 v2, v2, v24
	v_add_f32_e32 v2, v2, v6
	v_exp_f32_e32 v2, v2
	v_cvt_i32_f32_e32 v6, v24
	v_cmp_nlt_f32_e32 vcc, s21, v20
	v_ldexp_f32 v2, v2, v6
	s_nop 0
	v_cndmask_b32_e32 v2, 0, v2, vcc
	v_cmp_ngt_f32_e32 vcc, s22, v20
	s_nop 1
	v_cndmask_b32_e32 v2, v22, v2, vcc
	v_add_f32_e32 v2, 1.0, v2
	v_rcp_f32_e32 v24, v2
	v_mul_f32_e32 v2, 0xbfb8aa3b, v21
	v_fma_f32 v6, v21, s20, -v2
	v_rndne_f32_e32 v25, v2
	v_fmac_f32_e32 v6, 0xb2a5705f, v21
	v_sub_f32_e32 v2, v2, v25
	v_add_f32_e32 v2, v2, v6
	v_exp_f32_e32 v2, v2
	v_cvt_i32_f32_e32 v6, v25
	v_cmp_nlt_f32_e32 vcc, s21, v21
	v_ldexp_f32 v2, v2, v6
	s_nop 0
	v_cndmask_b32_e32 v2, 0, v2, vcc
	v_cmp_ngt_f32_e32 vcc, s22, v21
	v_lshlrev_b32_e32 v6, 16, v3
	s_nop 0
	v_cndmask_b32_e32 v2, v22, v2, vcc
	v_add_f32_e32 v2, 1.0, v2
	v_rcp_f32_e32 v25, v2
	v_mul_f32_e32 v2, 0xbfb8aa3b, v6
	v_cmp_nlt_f32_e32 vcc, s21, v6
	v_pk_mul_f32 v[20:21], v[24:25], v[20:21]
	s_nop 0
	;;#ASMSTART
	v_pk_mul_f32 v[4:5], v[20:21], v[4:5]
	;;#ASMEND
	v_and_b32_e32 v21, 0xffff0000, v7
	v_lshlrev_b32_e32 v20, 16, v7
	v_and_b32_e32 v7, 0xffff0000, v3
	v_fma_f32 v3, v6, s20, -v2
	v_rndne_f32_e32 v24, v2
	v_fmac_f32_e32 v3, 0xb2a5705f, v6
	v_sub_f32_e32 v2, v2, v24
	v_add_f32_e32 v2, v2, v3
	v_exp_f32_e32 v2, v2
	v_cvt_i32_f32_e32 v3, v24
	v_perm_b32 v4, v5, v4, s23
	v_ldexp_f32 v2, v2, v3
	v_mul_f32_e32 v3, 0xbfb8aa3b, v7
	v_fma_f32 v24, v7, s20, -v3
	v_rndne_f32_e32 v25, v3
	v_fmac_f32_e32 v24, 0xb2a5705f, v7
	v_sub_f32_e32 v3, v3, v25
	v_add_f32_e32 v3, v3, v24
	v_exp_f32_e32 v3, v3
	v_cvt_i32_f32_e32 v24, v25
	v_cndmask_b32_e32 v2, 0, v2, vcc
	v_cmp_ngt_f32_e32 vcc, s22, v6
	v_ldexp_f32 v3, v3, v24
	s_nop 0
	v_cndmask_b32_e32 v2, v22, v2, vcc
	v_cmp_nlt_f32_e32 vcc, s21, v7
	v_add_f32_e32 v2, 1.0, v2
	v_rcp_f32_e32 v2, v2
	v_cndmask_b32_e32 v3, 0, v3, vcc
	v_cmp_ngt_f32_e32 vcc, s22, v7
	s_nop 1
	v_cndmask_b32_e32 v3, v22, v3, vcc
	v_add_f32_e32 v3, 1.0, v3
	v_rcp_f32_e32 v3, v3
	s_nop 0
	v_pk_mul_f32 v[2:3], v[2:3], v[6:7]
	s_nop 0
	;;#ASMSTART
	v_pk_mul_f32 v[20:21], v[2:3], v[20:21]
	;;#ASMEND
	s_load_dword s18, s[0:1], 0xc
	v_perm_b32 v6, v19, v18, s23
	v_perm_b32 v7, v9, v8, s23
	;; [unrolled: 1-line block ×4, first 2 shown]
	s_waitcnt lgkmcnt(0)
	s_and_b32 s18, s18, 0xffff
	s_lshl_b32 s18, s18, 4
	v_lshl_add_u64 v[16:17], s[18:19], 0, v[16:17]
	v_cmp_le_i64_e32 vcc, s[16:17], v[16:17]
	v_perm_b32 v2, v15, v14, s23
	v_perm_b32 v3, v1, v0, s23
	;; [unrolled: 1-line block ×3, first 2 shown]
	s_or_b64 s[2:3], vcc, s[2:3]
	buffer_store_dwordx4 v[6:9], v23, s[12:15], 0 offen
	buffer_store_dwordx4 v[2:5], v23, s[12:15], 16 offen
	s_andn2_b64 exec, exec, s[2:3]
	s_cbranch_execnz .LBB50_2
.LBB50_3:
	s_endpgm
	.section	.rodata,"a",@progbits
	.p2align	6, 0x0
	.amdhsa_kernel _ZN5aiter18act_and_mul_kernelIttTnPFfRKT_EXadL_ZNS_11silu_kernelItEEfS3_EELi16ELb0ELi3EEEvPT0_PS2_if
		.amdhsa_group_segment_fixed_size 0
		.amdhsa_private_segment_fixed_size 0
		.amdhsa_kernarg_size 280
		.amdhsa_user_sgpr_count 2
		.amdhsa_user_sgpr_dispatch_ptr 0
		.amdhsa_user_sgpr_queue_ptr 0
		.amdhsa_user_sgpr_kernarg_segment_ptr 1
		.amdhsa_user_sgpr_dispatch_id 0
		.amdhsa_user_sgpr_kernarg_preload_length 0
		.amdhsa_user_sgpr_kernarg_preload_offset 0
		.amdhsa_user_sgpr_private_segment_size 0
		.amdhsa_uses_dynamic_stack 0
		.amdhsa_enable_private_segment 0
		.amdhsa_system_sgpr_workgroup_id_x 1
		.amdhsa_system_sgpr_workgroup_id_y 0
		.amdhsa_system_sgpr_workgroup_id_z 0
		.amdhsa_system_sgpr_workgroup_info 0
		.amdhsa_system_vgpr_workitem_id 0
		.amdhsa_next_free_vgpr 26
		.amdhsa_next_free_sgpr 24
		.amdhsa_accum_offset 28
		.amdhsa_reserve_vcc 1
		.amdhsa_float_round_mode_32 0
		.amdhsa_float_round_mode_16_64 0
		.amdhsa_float_denorm_mode_32 3
		.amdhsa_float_denorm_mode_16_64 3
		.amdhsa_dx10_clamp 1
		.amdhsa_ieee_mode 1
		.amdhsa_fp16_overflow 0
		.amdhsa_tg_split 0
		.amdhsa_exception_fp_ieee_invalid_op 0
		.amdhsa_exception_fp_denorm_src 0
		.amdhsa_exception_fp_ieee_div_zero 0
		.amdhsa_exception_fp_ieee_overflow 0
		.amdhsa_exception_fp_ieee_underflow 0
		.amdhsa_exception_fp_ieee_inexact 0
		.amdhsa_exception_int_div_zero 0
	.end_amdhsa_kernel
	.section	.text._ZN5aiter18act_and_mul_kernelIttTnPFfRKT_EXadL_ZNS_11silu_kernelItEEfS3_EELi16ELb0ELi3EEEvPT0_PS2_if,"axG",@progbits,_ZN5aiter18act_and_mul_kernelIttTnPFfRKT_EXadL_ZNS_11silu_kernelItEEfS3_EELi16ELb0ELi3EEEvPT0_PS2_if,comdat
.Lfunc_end50:
	.size	_ZN5aiter18act_and_mul_kernelIttTnPFfRKT_EXadL_ZNS_11silu_kernelItEEfS3_EELi16ELb0ELi3EEEvPT0_PS2_if, .Lfunc_end50-_ZN5aiter18act_and_mul_kernelIttTnPFfRKT_EXadL_ZNS_11silu_kernelItEEfS3_EELi16ELb0ELi3EEEvPT0_PS2_if
                                        ; -- End function
	.section	.AMDGPU.csdata,"",@progbits
; Kernel info:
; codeLenInByte = 2084
; NumSgprs: 30
; NumVgprs: 26
; NumAgprs: 0
; TotalNumVgprs: 26
; ScratchSize: 0
; MemoryBound: 0
; FloatMode: 240
; IeeeMode: 1
; LDSByteSize: 0 bytes/workgroup (compile time only)
; SGPRBlocks: 3
; VGPRBlocks: 3
; NumSGPRsForWavesPerEU: 30
; NumVGPRsForWavesPerEU: 26
; AccumOffset: 28
; Occupancy: 8
; WaveLimiterHint : 0
; COMPUTE_PGM_RSRC2:SCRATCH_EN: 0
; COMPUTE_PGM_RSRC2:USER_SGPR: 2
; COMPUTE_PGM_RSRC2:TRAP_HANDLER: 0
; COMPUTE_PGM_RSRC2:TGID_X_EN: 1
; COMPUTE_PGM_RSRC2:TGID_Y_EN: 0
; COMPUTE_PGM_RSRC2:TGID_Z_EN: 0
; COMPUTE_PGM_RSRC2:TIDIG_COMP_CNT: 0
; COMPUTE_PGM_RSRC3_GFX90A:ACCUM_OFFSET: 6
; COMPUTE_PGM_RSRC3_GFX90A:TG_SPLIT: 0
	.section	.text._ZN5aiter18act_and_mul_kernelIttTnPFfRKT_EXadL_ZNS_11silu_kernelItEEfS3_EELi8ELb0ELi3EEEvPT0_PS2_if,"axG",@progbits,_ZN5aiter18act_and_mul_kernelIttTnPFfRKT_EXadL_ZNS_11silu_kernelItEEfS3_EELi8ELb0ELi3EEEvPT0_PS2_if,comdat
	.protected	_ZN5aiter18act_and_mul_kernelIttTnPFfRKT_EXadL_ZNS_11silu_kernelItEEfS3_EELi8ELb0ELi3EEEvPT0_PS2_if ; -- Begin function _ZN5aiter18act_and_mul_kernelIttTnPFfRKT_EXadL_ZNS_11silu_kernelItEEfS3_EELi8ELb0ELi3EEEvPT0_PS2_if
	.globl	_ZN5aiter18act_and_mul_kernelIttTnPFfRKT_EXadL_ZNS_11silu_kernelItEEfS3_EELi8ELb0ELi3EEEvPT0_PS2_if
	.p2align	8
	.type	_ZN5aiter18act_and_mul_kernelIttTnPFfRKT_EXadL_ZNS_11silu_kernelItEEfS3_EELi8ELb0ELi3EEEvPT0_PS2_if,@function
_ZN5aiter18act_and_mul_kernelIttTnPFfRKT_EXadL_ZNS_11silu_kernelItEEfS3_EELi8ELb0ELi3EEEvPT0_PS2_if: ; @_ZN5aiter18act_and_mul_kernelIttTnPFfRKT_EXadL_ZNS_11silu_kernelItEEfS3_EELi8ELb0ELi3EEEvPT0_PS2_if
; %bb.0:
	s_load_dword s14, s[0:1], 0x10
	v_lshlrev_b32_e32 v8, 3, v0
	s_waitcnt lgkmcnt(0)
	v_cmp_gt_i32_e32 vcc, s14, v8
	s_and_saveexec_b64 s[4:5], vcc
	s_cbranch_execz .LBB51_3
; %bb.1:
	s_load_dwordx4 s[4:7], s[0:1], 0x0
	s_ashr_i32 s15, s14, 31
	s_mul_hi_u32 s3, s14, s2
	s_mul_i32 s8, s15, s2
	s_add_i32 s3, s3, s8
	s_mul_i32 s2, s14, s2
	s_lshl_b64 s[8:9], s[2:3], 1
	s_lshl_b64 s[2:3], s[2:3], 2
	s_waitcnt lgkmcnt(0)
	s_add_u32 s16, s6, s2
	s_addc_u32 s6, s7, s3
	s_lshl_b64 s[2:3], s[14:15], 1
	s_add_u32 s20, s16, s2
	s_addc_u32 s2, s6, s3
	s_add_i32 s3, s14, 1
	s_lshr_b32 s7, s3, 31
	s_add_i32 s3, s3, s7
	s_lshl_b32 s3, s3, 1
	s_and_b32 s18, s3, -4
	s_and_b32 s17, s6, 0xffff
	s_and_b32 s21, s2, 0xffff
	s_add_u32 s24, s4, s8
	s_addc_u32 s2, s5, s9
	s_and_b32 s25, s2, 0xffff
	s_mov_b32 s19, 0x20000
	s_add_u32 s28, s0, 24
	v_mov_b32_e32 v9, 0
	s_addc_u32 s29, s1, 0
	s_mov_b64 s[30:31], 0
	s_mov_b32 s35, 0
	s_mov_b32 s22, s18
	;; [unrolled: 1-line block ×6, first 2 shown]
	v_mov_b32_e32 v20, 0x7f800000
	s_mov_b32 s38, 0x7060302
	s_mov_b32 s26, s18
	;; [unrolled: 1-line block ×3, first 2 shown]
.LBB51_2:                               ; =>This Inner Loop Header: Depth=1
	v_lshlrev_b32_e32 v21, 1, v8
	buffer_load_dwordx4 v[4:7], v21, s[20:23], 0 offen sc0 nt
	buffer_load_dwordx4 v[0:3], v21, s[16:19], 0 offen sc0 nt
	s_waitcnt vmcnt(1)
	v_and_b32_e32 v11, 0xffff0000, v4
	v_lshlrev_b32_e32 v10, 16, v4
	s_waitcnt vmcnt(0)
	v_and_b32_e32 v13, 0xffff0000, v0
	v_lshlrev_b32_e32 v12, 16, v0
	v_and_b32_e32 v15, 0xffff0000, v5
	v_lshlrev_b32_e32 v14, 16, v5
	;; [unrolled: 2-line block ×7, first 2 shown]
	v_mul_f32_e32 v2, 0xbfb8aa3b, v12
	v_mul_f32_e32 v3, 0xbfb8aa3b, v13
	;; [unrolled: 1-line block ×8, first 2 shown]
	v_fma_f32 v28, v12, s33, -v2
	v_rndne_f32_e32 v29, v2
	v_fma_f32 v30, v13, s33, -v3
	v_rndne_f32_e32 v31, v3
	v_fma_f32 v32, v4, s33, -v22
	v_rndne_f32_e32 v33, v22
	v_fma_f32 v34, v5, s33, -v23
	v_rndne_f32_e32 v35, v23
	v_fma_f32 v40, v6, s33, -v26
	v_rndne_f32_e32 v41, v26
	v_fma_f32 v42, v7, s33, -v27
	v_rndne_f32_e32 v43, v27
	v_fma_f32 v36, v16, s33, -v24
	v_rndne_f32_e32 v37, v24
	v_fma_f32 v38, v17, s33, -v25
	v_rndne_f32_e32 v39, v25
	v_fmac_f32_e32 v28, 0xb2a5705f, v12
	v_sub_f32_e32 v2, v2, v29
	v_fmac_f32_e32 v30, 0xb2a5705f, v13
	v_sub_f32_e32 v3, v3, v31
	;; [unrolled: 2-line block ×8, first 2 shown]
	v_add_f32_e32 v2, v2, v28
	v_add_f32_e32 v3, v3, v30
	;; [unrolled: 1-line block ×6, first 2 shown]
	v_cvt_i32_f32_e32 v29, v29
	v_cvt_i32_f32_e32 v31, v31
	v_cvt_i32_f32_e32 v33, v33
	v_cvt_i32_f32_e32 v35, v35
	v_cvt_i32_f32_e32 v41, v41
	v_cvt_i32_f32_e32 v43, v43
	v_add_f32_e32 v24, v24, v36
	v_add_f32_e32 v25, v25, v38
	v_exp_f32_e32 v2, v2
	v_exp_f32_e32 v3, v3
	;; [unrolled: 1-line block ×6, first 2 shown]
	v_cvt_i32_f32_e32 v37, v37
	v_cvt_i32_f32_e32 v39, v39
	v_exp_f32_e32 v24, v24
	v_exp_f32_e32 v25, v25
	v_ldexp_f32 v2, v2, v29
	v_ldexp_f32 v3, v3, v31
	v_cmp_nlt_f32_e32 vcc, s36, v13
	v_ldexp_f32 v22, v22, v33
	v_cmp_nlt_f32_e64 s[0:1], s36, v4
	v_ldexp_f32 v23, v23, v35
	v_cmp_nlt_f32_e64 s[2:3], s36, v5
	;; [unrolled: 2-line block ×4, first 2 shown]
	v_cmp_nlt_f32_e64 s[12:13], s36, v12
	v_ldexp_f32 v24, v24, v37
	v_cmp_nlt_f32_e64 s[4:5], s36, v16
	v_ldexp_f32 v25, v25, v39
	v_cmp_nlt_f32_e64 s[6:7], s36, v17
	v_cndmask_b32_e64 v2, 0, v2, s[12:13]
	v_cndmask_b32_e32 v3, 0, v3, vcc
	v_cmp_ngt_f32_e32 vcc, s37, v13
	v_cndmask_b32_e64 v22, 0, v22, s[0:1]
	v_cmp_ngt_f32_e64 s[0:1], s37, v4
	v_cndmask_b32_e64 v23, 0, v23, s[2:3]
	v_cmp_ngt_f32_e64 s[2:3], s37, v5
	;; [unrolled: 2-line block ×4, first 2 shown]
	v_cmp_ngt_f32_e64 s[12:13], s37, v12
	v_cndmask_b32_e64 v24, 0, v24, s[4:5]
	v_cmp_ngt_f32_e64 s[4:5], s37, v16
	v_cndmask_b32_e64 v25, 0, v25, s[6:7]
	v_cmp_ngt_f32_e64 s[6:7], s37, v17
	v_cndmask_b32_e64 v2, v20, v2, s[12:13]
	v_cndmask_b32_e32 v3, v20, v3, vcc
	v_cndmask_b32_e64 v22, v20, v22, s[0:1]
	v_cndmask_b32_e64 v23, v20, v23, s[2:3]
	;; [unrolled: 1-line block ×6, first 2 shown]
	v_add_f32_e32 v2, 1.0, v2
	v_add_f32_e32 v3, 1.0, v3
	;; [unrolled: 1-line block ×8, first 2 shown]
	v_rcp_f32_e32 v2, v2
	v_rcp_f32_e32 v3, v3
	;; [unrolled: 1-line block ×8, first 2 shown]
	v_pk_mul_f32 v[2:3], v[2:3], v[12:13]
	v_pk_mul_f32 v[4:5], v[22:23], v[4:5]
	;; [unrolled: 1-line block ×4, first 2 shown]
	;;#ASMSTART
	v_pk_mul_f32 v[2:3], v[2:3], v[10:11]
	;;#ASMEND
	;;#ASMSTART
	v_pk_mul_f32 v[4:5], v[4:5], v[14:15]
	;;#ASMEND
	s_nop 0
	;;#ASMSTART
	v_pk_mul_f32 v[10:11], v[12:13], v[0:1]
	;;#ASMEND
	;;#ASMSTART
	v_pk_mul_f32 v[6:7], v[6:7], v[18:19]
	;;#ASMEND
	s_load_dword s0, s[28:29], 0xc
	v_perm_b32 v0, v3, v2, s38
	v_perm_b32 v1, v5, v4, s38
	;; [unrolled: 1-line block ×4, first 2 shown]
	s_waitcnt lgkmcnt(0)
	s_and_b32 s0, s0, 0xffff
	s_lshl_b32 s34, s0, 3
	v_lshl_add_u64 v[8:9], s[34:35], 0, v[8:9]
	v_cmp_le_i64_e32 vcc, s[14:15], v[8:9]
	s_or_b64 s[30:31], vcc, s[30:31]
	buffer_store_dwordx4 v[0:3], v21, s[24:27], 0 offen
	s_andn2_b64 exec, exec, s[30:31]
	s_cbranch_execnz .LBB51_2
.LBB51_3:
	s_endpgm
	.section	.rodata,"a",@progbits
	.p2align	6, 0x0
	.amdhsa_kernel _ZN5aiter18act_and_mul_kernelIttTnPFfRKT_EXadL_ZNS_11silu_kernelItEEfS3_EELi8ELb0ELi3EEEvPT0_PS2_if
		.amdhsa_group_segment_fixed_size 0
		.amdhsa_private_segment_fixed_size 0
		.amdhsa_kernarg_size 280
		.amdhsa_user_sgpr_count 2
		.amdhsa_user_sgpr_dispatch_ptr 0
		.amdhsa_user_sgpr_queue_ptr 0
		.amdhsa_user_sgpr_kernarg_segment_ptr 1
		.amdhsa_user_sgpr_dispatch_id 0
		.amdhsa_user_sgpr_kernarg_preload_length 0
		.amdhsa_user_sgpr_kernarg_preload_offset 0
		.amdhsa_user_sgpr_private_segment_size 0
		.amdhsa_uses_dynamic_stack 0
		.amdhsa_enable_private_segment 0
		.amdhsa_system_sgpr_workgroup_id_x 1
		.amdhsa_system_sgpr_workgroup_id_y 0
		.amdhsa_system_sgpr_workgroup_id_z 0
		.amdhsa_system_sgpr_workgroup_info 0
		.amdhsa_system_vgpr_workitem_id 0
		.amdhsa_next_free_vgpr 44
		.amdhsa_next_free_sgpr 39
		.amdhsa_accum_offset 44
		.amdhsa_reserve_vcc 1
		.amdhsa_float_round_mode_32 0
		.amdhsa_float_round_mode_16_64 0
		.amdhsa_float_denorm_mode_32 3
		.amdhsa_float_denorm_mode_16_64 3
		.amdhsa_dx10_clamp 1
		.amdhsa_ieee_mode 1
		.amdhsa_fp16_overflow 0
		.amdhsa_tg_split 0
		.amdhsa_exception_fp_ieee_invalid_op 0
		.amdhsa_exception_fp_denorm_src 0
		.amdhsa_exception_fp_ieee_div_zero 0
		.amdhsa_exception_fp_ieee_overflow 0
		.amdhsa_exception_fp_ieee_underflow 0
		.amdhsa_exception_fp_ieee_inexact 0
		.amdhsa_exception_int_div_zero 0
	.end_amdhsa_kernel
	.section	.text._ZN5aiter18act_and_mul_kernelIttTnPFfRKT_EXadL_ZNS_11silu_kernelItEEfS3_EELi8ELb0ELi3EEEvPT0_PS2_if,"axG",@progbits,_ZN5aiter18act_and_mul_kernelIttTnPFfRKT_EXadL_ZNS_11silu_kernelItEEfS3_EELi8ELb0ELi3EEEvPT0_PS2_if,comdat
.Lfunc_end51:
	.size	_ZN5aiter18act_and_mul_kernelIttTnPFfRKT_EXadL_ZNS_11silu_kernelItEEfS3_EELi8ELb0ELi3EEEvPT0_PS2_if, .Lfunc_end51-_ZN5aiter18act_and_mul_kernelIttTnPFfRKT_EXadL_ZNS_11silu_kernelItEEfS3_EELi8ELb0ELi3EEEvPT0_PS2_if
                                        ; -- End function
	.section	.AMDGPU.csdata,"",@progbits
; Kernel info:
; codeLenInByte = 1228
; NumSgprs: 45
; NumVgprs: 44
; NumAgprs: 0
; TotalNumVgprs: 44
; ScratchSize: 0
; MemoryBound: 0
; FloatMode: 240
; IeeeMode: 1
; LDSByteSize: 0 bytes/workgroup (compile time only)
; SGPRBlocks: 5
; VGPRBlocks: 5
; NumSGPRsForWavesPerEU: 45
; NumVGPRsForWavesPerEU: 44
; AccumOffset: 44
; Occupancy: 8
; WaveLimiterHint : 0
; COMPUTE_PGM_RSRC2:SCRATCH_EN: 0
; COMPUTE_PGM_RSRC2:USER_SGPR: 2
; COMPUTE_PGM_RSRC2:TRAP_HANDLER: 0
; COMPUTE_PGM_RSRC2:TGID_X_EN: 1
; COMPUTE_PGM_RSRC2:TGID_Y_EN: 0
; COMPUTE_PGM_RSRC2:TGID_Z_EN: 0
; COMPUTE_PGM_RSRC2:TIDIG_COMP_CNT: 0
; COMPUTE_PGM_RSRC3_GFX90A:ACCUM_OFFSET: 10
; COMPUTE_PGM_RSRC3_GFX90A:TG_SPLIT: 0
	.section	.text._ZN5aiter18act_and_mul_kernelIttTnPFfRKT_EXadL_ZNS_11silu_kernelItEEfS3_EELi4ELb0ELi3EEEvPT0_PS2_if,"axG",@progbits,_ZN5aiter18act_and_mul_kernelIttTnPFfRKT_EXadL_ZNS_11silu_kernelItEEfS3_EELi4ELb0ELi3EEEvPT0_PS2_if,comdat
	.protected	_ZN5aiter18act_and_mul_kernelIttTnPFfRKT_EXadL_ZNS_11silu_kernelItEEfS3_EELi4ELb0ELi3EEEvPT0_PS2_if ; -- Begin function _ZN5aiter18act_and_mul_kernelIttTnPFfRKT_EXadL_ZNS_11silu_kernelItEEfS3_EELi4ELb0ELi3EEEvPT0_PS2_if
	.globl	_ZN5aiter18act_and_mul_kernelIttTnPFfRKT_EXadL_ZNS_11silu_kernelItEEfS3_EELi4ELb0ELi3EEEvPT0_PS2_if
	.p2align	8
	.type	_ZN5aiter18act_and_mul_kernelIttTnPFfRKT_EXadL_ZNS_11silu_kernelItEEfS3_EELi4ELb0ELi3EEEvPT0_PS2_if,@function
_ZN5aiter18act_and_mul_kernelIttTnPFfRKT_EXadL_ZNS_11silu_kernelItEEfS3_EELi4ELb0ELi3EEEvPT0_PS2_if: ; @_ZN5aiter18act_and_mul_kernelIttTnPFfRKT_EXadL_ZNS_11silu_kernelItEEfS3_EELi4ELb0ELi3EEEvPT0_PS2_if
; %bb.0:
	s_load_dword s6, s[0:1], 0x10
	v_lshlrev_b32_e32 v0, 2, v0
	s_waitcnt lgkmcnt(0)
	v_cmp_gt_i32_e32 vcc, s6, v0
	s_and_saveexec_b64 s[4:5], vcc
	s_cbranch_execz .LBB52_3
; %bb.1:
	s_load_dwordx4 s[16:19], s[0:1], 0x0
	s_ashr_i32 s7, s6, 31
	s_mul_hi_u32 s3, s6, s2
	s_mul_i32 s4, s7, s2
	s_add_i32 s3, s3, s4
	s_mul_i32 s2, s6, s2
	s_lshl_b64 s[4:5], s[2:3], 1
	s_lshl_b64 s[2:3], s[2:3], 2
	s_waitcnt lgkmcnt(0)
	s_add_u32 s8, s18, s2
	s_addc_u32 s9, s19, s3
	s_lshl_b64 s[2:3], s[6:7], 1
	s_add_u32 s12, s8, s2
	s_addc_u32 s2, s9, s3
	s_add_i32 s3, s6, 1
	s_lshr_b32 s10, s3, 31
	s_add_i32 s3, s3, s10
	s_lshl_b32 s3, s3, 1
	s_and_b32 s10, s3, -4
	s_and_b32 s9, s9, 0xffff
	s_and_b32 s13, s2, 0xffff
	s_add_u32 s16, s16, s4
	s_addc_u32 s2, s17, s5
	s_and_b32 s17, s2, 0xffff
	s_mov_b32 s11, 0x20000
	s_add_u32 s20, s0, 24
	v_mov_b32_e32 v1, 0
	s_addc_u32 s21, s1, 0
	s_mov_b64 s[22:23], 0
	s_mov_b32 s25, 0
	s_mov_b32 s14, s10
	;; [unrolled: 1-line block ×6, first 2 shown]
	v_mov_b32_e32 v4, 0x7f800000
	s_mov_b32 s29, 0x7060302
	s_mov_b32 s18, s10
	;; [unrolled: 1-line block ×3, first 2 shown]
.LBB52_2:                               ; =>This Inner Loop Header: Depth=1
	v_lshlrev_b32_e32 v5, 1, v0
	buffer_load_dwordx2 v[6:7], v5, s[8:11], 0 offen sc0 nt
	buffer_load_dwordx2 v[8:9], v5, s[12:15], 0 offen sc0 nt
	s_waitcnt vmcnt(1)
	v_and_b32_e32 v11, 0xffff0000, v6
	v_lshlrev_b32_e32 v10, 16, v6
	s_waitcnt vmcnt(0)
	v_and_b32_e32 v3, 0xffff0000, v8
	v_lshlrev_b32_e32 v2, 16, v8
	v_and_b32_e32 v13, 0xffff0000, v9
	v_lshlrev_b32_e32 v12, 16, v9
	;; [unrolled: 2-line block ×3, first 2 shown]
	v_mul_f32_e32 v6, 0xbfb8aa3b, v10
	v_mul_f32_e32 v7, 0xbfb8aa3b, v11
	;; [unrolled: 1-line block ×4, first 2 shown]
	v_fma_f32 v16, v10, s26, -v6
	v_rndne_f32_e32 v17, v6
	v_fma_f32 v18, v11, s26, -v7
	v_rndne_f32_e32 v19, v7
	;; [unrolled: 2-line block ×4, first 2 shown]
	v_fmac_f32_e32 v16, 0xb2a5705f, v10
	v_sub_f32_e32 v6, v6, v17
	v_fmac_f32_e32 v18, 0xb2a5705f, v11
	v_sub_f32_e32 v7, v7, v19
	;; [unrolled: 2-line block ×4, first 2 shown]
	v_add_f32_e32 v6, v6, v16
	v_add_f32_e32 v7, v7, v18
	v_cvt_i32_f32_e32 v17, v17
	v_cvt_i32_f32_e32 v19, v19
	v_add_f32_e32 v14, v14, v20
	v_add_f32_e32 v15, v15, v22
	v_exp_f32_e32 v6, v6
	v_exp_f32_e32 v7, v7
	v_cvt_i32_f32_e32 v21, v21
	v_cvt_i32_f32_e32 v23, v23
	v_exp_f32_e32 v14, v14
	v_exp_f32_e32 v15, v15
	v_ldexp_f32 v6, v6, v17
	v_ldexp_f32 v7, v7, v19
	v_cmp_nlt_f32_e32 vcc, s27, v11
	v_cmp_nlt_f32_e64 s[4:5], s27, v10
	v_ldexp_f32 v14, v14, v21
	v_cmp_nlt_f32_e64 s[0:1], s27, v8
	v_ldexp_f32 v15, v15, v23
	v_cmp_nlt_f32_e64 s[2:3], s27, v9
	v_cndmask_b32_e64 v6, 0, v6, s[4:5]
	v_cndmask_b32_e32 v7, 0, v7, vcc
	v_cmp_ngt_f32_e32 vcc, s28, v11
	v_cmp_ngt_f32_e64 s[4:5], s28, v10
	v_cndmask_b32_e64 v14, 0, v14, s[0:1]
	v_cmp_ngt_f32_e64 s[0:1], s28, v8
	v_cndmask_b32_e64 v15, 0, v15, s[2:3]
	;; [unrolled: 2-line block ×3, first 2 shown]
	v_cndmask_b32_e32 v7, v4, v7, vcc
	v_cndmask_b32_e64 v14, v4, v14, s[0:1]
	v_cndmask_b32_e64 v15, v4, v15, s[2:3]
	v_add_f32_e32 v6, 1.0, v6
	v_add_f32_e32 v7, 1.0, v7
	;; [unrolled: 1-line block ×4, first 2 shown]
	v_rcp_f32_e32 v6, v6
	v_rcp_f32_e32 v7, v7
	;; [unrolled: 1-line block ×4, first 2 shown]
	v_pk_mul_f32 v[6:7], v[6:7], v[10:11]
	s_nop 0
	;;#ASMSTART
	v_pk_mul_f32 v[2:3], v[6:7], v[2:3]
	;;#ASMEND
	v_pk_mul_f32 v[8:9], v[14:15], v[8:9]
	v_perm_b32 v2, v3, v2, s29
	;;#ASMSTART
	v_pk_mul_f32 v[6:7], v[8:9], v[12:13]
	;;#ASMEND
	s_load_dword s0, s[20:21], 0xc
	v_perm_b32 v3, v7, v6, s29
	buffer_store_dwordx2 v[2:3], v5, s[16:19], 0 offen
	s_waitcnt lgkmcnt(0)
	s_and_b32 s0, s0, 0xffff
	s_lshl_b32 s24, s0, 2
	v_lshl_add_u64 v[0:1], s[24:25], 0, v[0:1]
	v_cmp_le_i64_e32 vcc, s[6:7], v[0:1]
	s_or_b64 s[22:23], vcc, s[22:23]
	s_andn2_b64 exec, exec, s[22:23]
	s_cbranch_execnz .LBB52_2
.LBB52_3:
	s_endpgm
	.section	.rodata,"a",@progbits
	.p2align	6, 0x0
	.amdhsa_kernel _ZN5aiter18act_and_mul_kernelIttTnPFfRKT_EXadL_ZNS_11silu_kernelItEEfS3_EELi4ELb0ELi3EEEvPT0_PS2_if
		.amdhsa_group_segment_fixed_size 0
		.amdhsa_private_segment_fixed_size 0
		.amdhsa_kernarg_size 280
		.amdhsa_user_sgpr_count 2
		.amdhsa_user_sgpr_dispatch_ptr 0
		.amdhsa_user_sgpr_queue_ptr 0
		.amdhsa_user_sgpr_kernarg_segment_ptr 1
		.amdhsa_user_sgpr_dispatch_id 0
		.amdhsa_user_sgpr_kernarg_preload_length 0
		.amdhsa_user_sgpr_kernarg_preload_offset 0
		.amdhsa_user_sgpr_private_segment_size 0
		.amdhsa_uses_dynamic_stack 0
		.amdhsa_enable_private_segment 0
		.amdhsa_system_sgpr_workgroup_id_x 1
		.amdhsa_system_sgpr_workgroup_id_y 0
		.amdhsa_system_sgpr_workgroup_id_z 0
		.amdhsa_system_sgpr_workgroup_info 0
		.amdhsa_system_vgpr_workitem_id 0
		.amdhsa_next_free_vgpr 24
		.amdhsa_next_free_sgpr 30
		.amdhsa_accum_offset 24
		.amdhsa_reserve_vcc 1
		.amdhsa_float_round_mode_32 0
		.amdhsa_float_round_mode_16_64 0
		.amdhsa_float_denorm_mode_32 3
		.amdhsa_float_denorm_mode_16_64 3
		.amdhsa_dx10_clamp 1
		.amdhsa_ieee_mode 1
		.amdhsa_fp16_overflow 0
		.amdhsa_tg_split 0
		.amdhsa_exception_fp_ieee_invalid_op 0
		.amdhsa_exception_fp_denorm_src 0
		.amdhsa_exception_fp_ieee_div_zero 0
		.amdhsa_exception_fp_ieee_overflow 0
		.amdhsa_exception_fp_ieee_underflow 0
		.amdhsa_exception_fp_ieee_inexact 0
		.amdhsa_exception_int_div_zero 0
	.end_amdhsa_kernel
	.section	.text._ZN5aiter18act_and_mul_kernelIttTnPFfRKT_EXadL_ZNS_11silu_kernelItEEfS3_EELi4ELb0ELi3EEEvPT0_PS2_if,"axG",@progbits,_ZN5aiter18act_and_mul_kernelIttTnPFfRKT_EXadL_ZNS_11silu_kernelItEEfS3_EELi4ELb0ELi3EEEvPT0_PS2_if,comdat
.Lfunc_end52:
	.size	_ZN5aiter18act_and_mul_kernelIttTnPFfRKT_EXadL_ZNS_11silu_kernelItEEfS3_EELi4ELb0ELi3EEEvPT0_PS2_if, .Lfunc_end52-_ZN5aiter18act_and_mul_kernelIttTnPFfRKT_EXadL_ZNS_11silu_kernelItEEfS3_EELi4ELb0ELi3EEEvPT0_PS2_if
                                        ; -- End function
	.section	.AMDGPU.csdata,"",@progbits
; Kernel info:
; codeLenInByte = 764
; NumSgprs: 36
; NumVgprs: 24
; NumAgprs: 0
; TotalNumVgprs: 24
; ScratchSize: 0
; MemoryBound: 0
; FloatMode: 240
; IeeeMode: 1
; LDSByteSize: 0 bytes/workgroup (compile time only)
; SGPRBlocks: 4
; VGPRBlocks: 2
; NumSGPRsForWavesPerEU: 36
; NumVGPRsForWavesPerEU: 24
; AccumOffset: 24
; Occupancy: 8
; WaveLimiterHint : 0
; COMPUTE_PGM_RSRC2:SCRATCH_EN: 0
; COMPUTE_PGM_RSRC2:USER_SGPR: 2
; COMPUTE_PGM_RSRC2:TRAP_HANDLER: 0
; COMPUTE_PGM_RSRC2:TGID_X_EN: 1
; COMPUTE_PGM_RSRC2:TGID_Y_EN: 0
; COMPUTE_PGM_RSRC2:TGID_Z_EN: 0
; COMPUTE_PGM_RSRC2:TIDIG_COMP_CNT: 0
; COMPUTE_PGM_RSRC3_GFX90A:ACCUM_OFFSET: 5
; COMPUTE_PGM_RSRC3_GFX90A:TG_SPLIT: 0
	.section	.text._ZN5aiter18act_and_mul_kernelIttTnPFfRKT_EXadL_ZNS_11silu_kernelItEEfS3_EELi2ELb0ELi3EEEvPT0_PS2_if,"axG",@progbits,_ZN5aiter18act_and_mul_kernelIttTnPFfRKT_EXadL_ZNS_11silu_kernelItEEfS3_EELi2ELb0ELi3EEEvPT0_PS2_if,comdat
	.protected	_ZN5aiter18act_and_mul_kernelIttTnPFfRKT_EXadL_ZNS_11silu_kernelItEEfS3_EELi2ELb0ELi3EEEvPT0_PS2_if ; -- Begin function _ZN5aiter18act_and_mul_kernelIttTnPFfRKT_EXadL_ZNS_11silu_kernelItEEfS3_EELi2ELb0ELi3EEEvPT0_PS2_if
	.globl	_ZN5aiter18act_and_mul_kernelIttTnPFfRKT_EXadL_ZNS_11silu_kernelItEEfS3_EELi2ELb0ELi3EEEvPT0_PS2_if
	.p2align	8
	.type	_ZN5aiter18act_and_mul_kernelIttTnPFfRKT_EXadL_ZNS_11silu_kernelItEEfS3_EELi2ELb0ELi3EEEvPT0_PS2_if,@function
_ZN5aiter18act_and_mul_kernelIttTnPFfRKT_EXadL_ZNS_11silu_kernelItEEfS3_EELi2ELb0ELi3EEEvPT0_PS2_if: ; @_ZN5aiter18act_and_mul_kernelIttTnPFfRKT_EXadL_ZNS_11silu_kernelItEEfS3_EELi2ELb0ELi3EEEvPT0_PS2_if
; %bb.0:
	s_load_dword s16, s[0:1], 0x10
	v_lshlrev_b32_e32 v0, 1, v0
	s_waitcnt lgkmcnt(0)
	v_cmp_gt_i32_e32 vcc, s16, v0
	s_and_saveexec_b64 s[4:5], vcc
	s_cbranch_execz .LBB53_3
; %bb.1:
	s_load_dwordx4 s[12:15], s[0:1], 0x0
	s_ashr_i32 s17, s16, 31
	s_mul_hi_u32 s3, s16, s2
	s_mul_i32 s4, s17, s2
	s_add_i32 s3, s3, s4
	s_mul_i32 s2, s16, s2
	s_lshl_b64 s[10:11], s[2:3], 1
	s_lshl_b64 s[2:3], s[2:3], 2
	s_waitcnt lgkmcnt(0)
	s_add_u32 s4, s14, s2
	s_addc_u32 s5, s15, s3
	s_lshl_b64 s[2:3], s[16:17], 1
	s_add_u32 s8, s4, s2
	s_addc_u32 s2, s5, s3
	s_add_i32 s3, s16, 1
	s_lshr_b32 s6, s3, 31
	s_add_i32 s3, s3, s6
	s_lshl_b32 s3, s3, 1
	s_and_b32 s6, s3, -4
	s_and_b32 s5, s5, 0xffff
	s_and_b32 s9, s2, 0xffff
	s_add_u32 s12, s12, s10
	s_addc_u32 s2, s13, s11
	s_and_b32 s13, s2, 0xffff
	s_mov_b32 s7, 0x20000
	s_add_u32 s2, s0, 24
	v_mov_b32_e32 v1, 0
	s_addc_u32 s3, s1, 0
	s_mov_b64 s[18:19], 0
	s_mov_b32 s21, 0
	s_mov_b32 s10, s6
	;; [unrolled: 1-line block ×6, first 2 shown]
	v_mov_b32_e32 v2, 0x7f800000
	s_mov_b32 s25, 0x7060302
	s_mov_b32 s14, s6
	;; [unrolled: 1-line block ×3, first 2 shown]
.LBB53_2:                               ; =>This Inner Loop Header: Depth=1
	v_lshlrev_b32_e32 v3, 1, v0
	buffer_load_dword v4, v3, s[4:7], 0 offen sc0 nt
	buffer_load_dword v8, v3, s[8:11], 0 offen sc0 nt
	s_waitcnt vmcnt(1)
	v_and_b32_e32 v5, 0xffff0000, v4
	v_lshlrev_b32_e32 v4, 16, v4
	v_mul_f32_e32 v6, 0xbfb8aa3b, v5
	v_mul_f32_e32 v7, 0xbfb8aa3b, v4
	v_fma_f32 v9, v5, s22, -v6
	v_rndne_f32_e32 v10, v6
	v_fma_f32 v11, v4, s22, -v7
	v_rndne_f32_e32 v12, v7
	v_fmac_f32_e32 v9, 0xb2a5705f, v5
	v_sub_f32_e32 v6, v6, v10
	v_fmac_f32_e32 v11, 0xb2a5705f, v4
	v_sub_f32_e32 v7, v7, v12
	v_add_f32_e32 v6, v6, v9
	v_add_f32_e32 v7, v7, v11
	v_cvt_i32_f32_e32 v10, v10
	v_cvt_i32_f32_e32 v12, v12
	v_exp_f32_e32 v6, v6
	v_exp_f32_e32 v7, v7
	v_cmp_nlt_f32_e32 vcc, s23, v4
	v_cmp_nlt_f32_e64 s[0:1], s23, v5
	v_ldexp_f32 v6, v6, v10
	v_ldexp_f32 v7, v7, v12
	v_cndmask_b32_e64 v6, 0, v6, s[0:1]
	v_cndmask_b32_e32 v7, 0, v7, vcc
	v_cmp_ngt_f32_e32 vcc, s24, v4
	v_cmp_ngt_f32_e64 s[0:1], s24, v5
	s_nop 0
	v_cndmask_b32_e32 v7, v2, v7, vcc
	v_cndmask_b32_e64 v6, v2, v6, s[0:1]
	v_add_f32_e32 v6, 1.0, v6
	v_add_f32_e32 v9, 1.0, v7
	v_rcp_f32_e32 v7, v6
	v_rcp_f32_e32 v6, v9
	s_waitcnt vmcnt(0)
	v_and_b32_e32 v9, 0xffff0000, v8
	v_lshlrev_b32_e32 v8, 16, v8
	v_pk_mul_f32 v[4:5], v[6:7], v[4:5]
	s_nop 0
	;;#ASMSTART
	v_pk_mul_f32 v[4:5], v[4:5], v[8:9]
	;;#ASMEND
	s_load_dword s0, s[2:3], 0xc
	v_perm_b32 v4, v5, v4, s25
	buffer_store_dword v4, v3, s[12:15], 0 offen
	s_waitcnt lgkmcnt(0)
	s_and_b32 s0, s0, 0xffff
	s_lshl_b32 s20, s0, 1
	v_lshl_add_u64 v[0:1], s[20:21], 0, v[0:1]
	v_cmp_le_i64_e32 vcc, s[16:17], v[0:1]
	s_or_b64 s[18:19], vcc, s[18:19]
	s_andn2_b64 exec, exec, s[18:19]
	s_cbranch_execnz .LBB53_2
.LBB53_3:
	s_endpgm
	.section	.rodata,"a",@progbits
	.p2align	6, 0x0
	.amdhsa_kernel _ZN5aiter18act_and_mul_kernelIttTnPFfRKT_EXadL_ZNS_11silu_kernelItEEfS3_EELi2ELb0ELi3EEEvPT0_PS2_if
		.amdhsa_group_segment_fixed_size 0
		.amdhsa_private_segment_fixed_size 0
		.amdhsa_kernarg_size 280
		.amdhsa_user_sgpr_count 2
		.amdhsa_user_sgpr_dispatch_ptr 0
		.amdhsa_user_sgpr_queue_ptr 0
		.amdhsa_user_sgpr_kernarg_segment_ptr 1
		.amdhsa_user_sgpr_dispatch_id 0
		.amdhsa_user_sgpr_kernarg_preload_length 0
		.amdhsa_user_sgpr_kernarg_preload_offset 0
		.amdhsa_user_sgpr_private_segment_size 0
		.amdhsa_uses_dynamic_stack 0
		.amdhsa_enable_private_segment 0
		.amdhsa_system_sgpr_workgroup_id_x 1
		.amdhsa_system_sgpr_workgroup_id_y 0
		.amdhsa_system_sgpr_workgroup_id_z 0
		.amdhsa_system_sgpr_workgroup_info 0
		.amdhsa_system_vgpr_workitem_id 0
		.amdhsa_next_free_vgpr 13
		.amdhsa_next_free_sgpr 26
		.amdhsa_accum_offset 16
		.amdhsa_reserve_vcc 1
		.amdhsa_float_round_mode_32 0
		.amdhsa_float_round_mode_16_64 0
		.amdhsa_float_denorm_mode_32 3
		.amdhsa_float_denorm_mode_16_64 3
		.amdhsa_dx10_clamp 1
		.amdhsa_ieee_mode 1
		.amdhsa_fp16_overflow 0
		.amdhsa_tg_split 0
		.amdhsa_exception_fp_ieee_invalid_op 0
		.amdhsa_exception_fp_denorm_src 0
		.amdhsa_exception_fp_ieee_div_zero 0
		.amdhsa_exception_fp_ieee_overflow 0
		.amdhsa_exception_fp_ieee_underflow 0
		.amdhsa_exception_fp_ieee_inexact 0
		.amdhsa_exception_int_div_zero 0
	.end_amdhsa_kernel
	.section	.text._ZN5aiter18act_and_mul_kernelIttTnPFfRKT_EXadL_ZNS_11silu_kernelItEEfS3_EELi2ELb0ELi3EEEvPT0_PS2_if,"axG",@progbits,_ZN5aiter18act_and_mul_kernelIttTnPFfRKT_EXadL_ZNS_11silu_kernelItEEfS3_EELi2ELb0ELi3EEEvPT0_PS2_if,comdat
.Lfunc_end53:
	.size	_ZN5aiter18act_and_mul_kernelIttTnPFfRKT_EXadL_ZNS_11silu_kernelItEEfS3_EELi2ELb0ELi3EEEvPT0_PS2_if, .Lfunc_end53-_ZN5aiter18act_and_mul_kernelIttTnPFfRKT_EXadL_ZNS_11silu_kernelItEEfS3_EELi2ELb0ELi3EEEvPT0_PS2_if
                                        ; -- End function
	.section	.AMDGPU.csdata,"",@progbits
; Kernel info:
; codeLenInByte = 536
; NumSgprs: 32
; NumVgprs: 13
; NumAgprs: 0
; TotalNumVgprs: 13
; ScratchSize: 0
; MemoryBound: 0
; FloatMode: 240
; IeeeMode: 1
; LDSByteSize: 0 bytes/workgroup (compile time only)
; SGPRBlocks: 3
; VGPRBlocks: 1
; NumSGPRsForWavesPerEU: 32
; NumVGPRsForWavesPerEU: 13
; AccumOffset: 16
; Occupancy: 8
; WaveLimiterHint : 0
; COMPUTE_PGM_RSRC2:SCRATCH_EN: 0
; COMPUTE_PGM_RSRC2:USER_SGPR: 2
; COMPUTE_PGM_RSRC2:TRAP_HANDLER: 0
; COMPUTE_PGM_RSRC2:TGID_X_EN: 1
; COMPUTE_PGM_RSRC2:TGID_Y_EN: 0
; COMPUTE_PGM_RSRC2:TGID_Z_EN: 0
; COMPUTE_PGM_RSRC2:TIDIG_COMP_CNT: 0
; COMPUTE_PGM_RSRC3_GFX90A:ACCUM_OFFSET: 3
; COMPUTE_PGM_RSRC3_GFX90A:TG_SPLIT: 0
	.section	.text._ZN5aiter18act_and_mul_kernelIttTnPFfRKT_EXadL_ZNS_11silu_kernelItEEfS3_EELi1ELb0ELi3EEEvPT0_PS2_if,"axG",@progbits,_ZN5aiter18act_and_mul_kernelIttTnPFfRKT_EXadL_ZNS_11silu_kernelItEEfS3_EELi1ELb0ELi3EEEvPT0_PS2_if,comdat
	.protected	_ZN5aiter18act_and_mul_kernelIttTnPFfRKT_EXadL_ZNS_11silu_kernelItEEfS3_EELi1ELb0ELi3EEEvPT0_PS2_if ; -- Begin function _ZN5aiter18act_and_mul_kernelIttTnPFfRKT_EXadL_ZNS_11silu_kernelItEEfS3_EELi1ELb0ELi3EEEvPT0_PS2_if
	.globl	_ZN5aiter18act_and_mul_kernelIttTnPFfRKT_EXadL_ZNS_11silu_kernelItEEfS3_EELi1ELb0ELi3EEEvPT0_PS2_if
	.p2align	8
	.type	_ZN5aiter18act_and_mul_kernelIttTnPFfRKT_EXadL_ZNS_11silu_kernelItEEfS3_EELi1ELb0ELi3EEEvPT0_PS2_if,@function
_ZN5aiter18act_and_mul_kernelIttTnPFfRKT_EXadL_ZNS_11silu_kernelItEEfS3_EELi1ELb0ELi3EEEvPT0_PS2_if: ; @_ZN5aiter18act_and_mul_kernelIttTnPFfRKT_EXadL_ZNS_11silu_kernelItEEfS3_EELi1ELb0ELi3EEEvPT0_PS2_if
; %bb.0:
	s_load_dword s12, s[0:1], 0x10
	s_waitcnt lgkmcnt(0)
	v_cmp_gt_i32_e32 vcc, s12, v0
	s_and_saveexec_b64 s[4:5], vcc
	s_cbranch_execz .LBB54_3
; %bb.1:
	s_load_dwordx4 s[8:11], s[0:1], 0x0
	s_load_dword s14, s[0:1], 0x24
	s_ashr_i32 s13, s12, 31
	s_mul_hi_u32 s3, s12, s2
	s_mul_i32 s4, s13, s2
	s_add_i32 s3, s3, s4
	s_mul_i32 s2, s12, s2
	s_lshl_b64 s[6:7], s[2:3], 1
	s_lshl_b64 s[2:3], s[2:3], 2
	s_waitcnt lgkmcnt(0)
	s_add_u32 s0, s10, s2
	s_addc_u32 s1, s11, s3
	s_lshl_b64 s[2:3], s[12:13], 1
	s_add_u32 s4, s0, s2
	s_addc_u32 s5, s1, s3
	s_add_i32 s2, s12, 1
	s_lshr_b32 s3, s2, 31
	s_add_i32 s2, s2, s3
	s_lshl_b32 s2, s2, 1
	s_and_b32 s2, s2, -4
	s_and_b32 s1, s1, 0xffff
	s_and_b32 s5, s5, 0xffff
	s_add_u32 s8, s8, s6
	s_mov_b32 s3, 0x20000
	s_addc_u32 s6, s9, s7
	s_and_b32 s14, s14, 0xffff
	s_and_b32 s9, s6, 0xffff
	s_mov_b32 s15, 0
	v_mov_b32_e32 v1, 0
	v_lshlrev_b32_e32 v2, 1, v0
	s_lshl_b32 s18, s14, 1
	s_mov_b64 s[16:17], 0
	s_mov_b32 s6, s2
	s_mov_b32 s7, s3
	;; [unrolled: 1-line block ×5, first 2 shown]
	v_mov_b32_e32 v3, 0x7f800000
	s_mov_b32 s10, s2
	s_mov_b32 s11, s3
.LBB54_2:                               ; =>This Inner Loop Header: Depth=1
	buffer_load_ushort v4, v2, s[0:3], 0 offen sc0 nt
	buffer_load_ushort v5, v2, s[4:7], 0 offen sc0 nt
	v_lshl_add_u64 v[0:1], v[0:1], 0, s[14:15]
	s_waitcnt vmcnt(1)
	v_lshlrev_b32_e32 v4, 16, v4
	v_mul_f32_e32 v6, 0xbfb8aa3b, v4
	v_fma_f32 v7, v4, s19, -v6
	v_rndne_f32_e32 v8, v6
	v_fmac_f32_e32 v7, 0xb2a5705f, v4
	v_sub_f32_e32 v6, v6, v8
	v_add_f32_e32 v6, v6, v7
	v_cvt_i32_f32_e32 v8, v8
	v_exp_f32_e32 v6, v6
	v_cmp_nlt_f32_e32 vcc, s20, v4
	s_waitcnt vmcnt(0)
	v_lshlrev_b32_e32 v5, 16, v5
	v_ldexp_f32 v6, v6, v8
	v_cndmask_b32_e32 v6, 0, v6, vcc
	v_cmp_ngt_f32_e32 vcc, s21, v4
	s_nop 1
	v_cndmask_b32_e32 v6, v3, v6, vcc
	v_add_f32_e32 v6, 1.0, v6
	v_rcp_f32_e32 v6, v6
	v_cmp_le_i64_e32 vcc, s[12:13], v[0:1]
	s_or_b64 s[16:17], vcc, s[16:17]
	v_mul_f32_e32 v4, v6, v4
	v_mul_f32_e32 v4, v4, v5
	v_lshrrev_b32_e32 v4, 16, v4
	buffer_store_short v4, v2, s[8:11], 0 offen
	v_add_u32_e32 v2, s18, v2
	s_andn2_b64 exec, exec, s[16:17]
	s_cbranch_execnz .LBB54_2
.LBB54_3:
	s_endpgm
	.section	.rodata,"a",@progbits
	.p2align	6, 0x0
	.amdhsa_kernel _ZN5aiter18act_and_mul_kernelIttTnPFfRKT_EXadL_ZNS_11silu_kernelItEEfS3_EELi1ELb0ELi3EEEvPT0_PS2_if
		.amdhsa_group_segment_fixed_size 0
		.amdhsa_private_segment_fixed_size 0
		.amdhsa_kernarg_size 280
		.amdhsa_user_sgpr_count 2
		.amdhsa_user_sgpr_dispatch_ptr 0
		.amdhsa_user_sgpr_queue_ptr 0
		.amdhsa_user_sgpr_kernarg_segment_ptr 1
		.amdhsa_user_sgpr_dispatch_id 0
		.amdhsa_user_sgpr_kernarg_preload_length 0
		.amdhsa_user_sgpr_kernarg_preload_offset 0
		.amdhsa_user_sgpr_private_segment_size 0
		.amdhsa_uses_dynamic_stack 0
		.amdhsa_enable_private_segment 0
		.amdhsa_system_sgpr_workgroup_id_x 1
		.amdhsa_system_sgpr_workgroup_id_y 0
		.amdhsa_system_sgpr_workgroup_id_z 0
		.amdhsa_system_sgpr_workgroup_info 0
		.amdhsa_system_vgpr_workitem_id 0
		.amdhsa_next_free_vgpr 9
		.amdhsa_next_free_sgpr 22
		.amdhsa_accum_offset 12
		.amdhsa_reserve_vcc 1
		.amdhsa_float_round_mode_32 0
		.amdhsa_float_round_mode_16_64 0
		.amdhsa_float_denorm_mode_32 3
		.amdhsa_float_denorm_mode_16_64 3
		.amdhsa_dx10_clamp 1
		.amdhsa_ieee_mode 1
		.amdhsa_fp16_overflow 0
		.amdhsa_tg_split 0
		.amdhsa_exception_fp_ieee_invalid_op 0
		.amdhsa_exception_fp_denorm_src 0
		.amdhsa_exception_fp_ieee_div_zero 0
		.amdhsa_exception_fp_ieee_overflow 0
		.amdhsa_exception_fp_ieee_underflow 0
		.amdhsa_exception_fp_ieee_inexact 0
		.amdhsa_exception_int_div_zero 0
	.end_amdhsa_kernel
	.section	.text._ZN5aiter18act_and_mul_kernelIttTnPFfRKT_EXadL_ZNS_11silu_kernelItEEfS3_EELi1ELb0ELi3EEEvPT0_PS2_if,"axG",@progbits,_ZN5aiter18act_and_mul_kernelIttTnPFfRKT_EXadL_ZNS_11silu_kernelItEEfS3_EELi1ELb0ELi3EEEvPT0_PS2_if,comdat
.Lfunc_end54:
	.size	_ZN5aiter18act_and_mul_kernelIttTnPFfRKT_EXadL_ZNS_11silu_kernelItEEfS3_EELi1ELb0ELi3EEEvPT0_PS2_if, .Lfunc_end54-_ZN5aiter18act_and_mul_kernelIttTnPFfRKT_EXadL_ZNS_11silu_kernelItEEfS3_EELi1ELb0ELi3EEEvPT0_PS2_if
                                        ; -- End function
	.section	.AMDGPU.csdata,"",@progbits
; Kernel info:
; codeLenInByte = 392
; NumSgprs: 28
; NumVgprs: 9
; NumAgprs: 0
; TotalNumVgprs: 9
; ScratchSize: 0
; MemoryBound: 0
; FloatMode: 240
; IeeeMode: 1
; LDSByteSize: 0 bytes/workgroup (compile time only)
; SGPRBlocks: 3
; VGPRBlocks: 1
; NumSGPRsForWavesPerEU: 28
; NumVGPRsForWavesPerEU: 9
; AccumOffset: 12
; Occupancy: 8
; WaveLimiterHint : 0
; COMPUTE_PGM_RSRC2:SCRATCH_EN: 0
; COMPUTE_PGM_RSRC2:USER_SGPR: 2
; COMPUTE_PGM_RSRC2:TRAP_HANDLER: 0
; COMPUTE_PGM_RSRC2:TGID_X_EN: 1
; COMPUTE_PGM_RSRC2:TGID_Y_EN: 0
; COMPUTE_PGM_RSRC2:TGID_Z_EN: 0
; COMPUTE_PGM_RSRC2:TIDIG_COMP_CNT: 0
; COMPUTE_PGM_RSRC3_GFX90A:ACCUM_OFFSET: 2
; COMPUTE_PGM_RSRC3_GFX90A:TG_SPLIT: 0
	.section	.text._ZN5aiter25swiglu_act_and_mul_kernelIftLi16EEEvPT0_PKT_i,"axG",@progbits,_ZN5aiter25swiglu_act_and_mul_kernelIftLi16EEEvPT0_PKT_i,comdat
	.protected	_ZN5aiter25swiglu_act_and_mul_kernelIftLi16EEEvPT0_PKT_i ; -- Begin function _ZN5aiter25swiglu_act_and_mul_kernelIftLi16EEEvPT0_PKT_i
	.globl	_ZN5aiter25swiglu_act_and_mul_kernelIftLi16EEEvPT0_PKT_i
	.p2align	8
	.type	_ZN5aiter25swiglu_act_and_mul_kernelIftLi16EEEvPT0_PKT_i,@function
_ZN5aiter25swiglu_act_and_mul_kernelIftLi16EEEvPT0_PKT_i: ; @_ZN5aiter25swiglu_act_and_mul_kernelIftLi16EEEvPT0_PKT_i
; %bb.0:
	s_load_dword s12, s[0:1], 0x10
	v_lshlrev_b32_e32 v28, 4, v0
	s_waitcnt lgkmcnt(0)
	v_cmp_gt_i32_e32 vcc, s12, v28
	s_and_saveexec_b64 s[4:5], vcc
	s_cbranch_execz .LBB55_3
; %bb.1:
	s_load_dwordx4 s[8:11], s[0:1], 0x0
	s_load_dword s14, s[0:1], 0x24
	s_ashr_i32 s13, s12, 31
	s_mul_hi_u32 s3, s12, s2
	s_mul_i32 s4, s13, s2
	s_add_i32 s3, s3, s4
	s_mul_i32 s2, s12, s2
	s_lshl_b64 s[6:7], s[2:3], 1
	s_lshl_b64 s[2:3], s[2:3], 3
	s_waitcnt lgkmcnt(0)
	s_add_u32 s0, s10, s2
	s_addc_u32 s1, s11, s3
	s_lshl_b64 s[2:3], s[12:13], 2
	s_add_u32 s4, s0, s2
	s_addc_u32 s5, s1, s3
	s_lshl_b32 s2, s12, 2
	s_and_b32 s1, s1, 0xffff
	s_and_b32 s5, s5, 0xffff
	s_add_u32 s8, s8, s6
	s_addc_u32 s6, s9, s7
	s_add_i32 s7, s12, 1
	s_lshr_b32 s9, s7, 31
	s_add_i32 s7, s7, s9
	s_mov_b32 s3, 0x20000
	s_lshl_b32 s7, s7, 1
	s_and_b32 s9, s6, 0xffff
	s_and_b32 s6, s14, 0xffff
	s_and_b32 s10, s7, -4
	s_mov_b32 s11, s3
	s_mov_b32 s15, 0
	v_mov_b32_e32 v29, 0
	s_lshl_b32 s14, s6, 4
	v_lshlrev_b32_e32 v50, 5, v0
	s_lshl_b32 s18, s6, 5
	v_lshlrev_b32_e32 v51, 6, v0
	s_lshl_b32 s19, s6, 6
	s_mov_b64 s[16:17], 0
	s_mov_b32 s20, 0x3fb8aa3b
	s_mov_b32 s21, 0xc2ce8ed0
	;; [unrolled: 1-line block ×3, first 2 shown]
	v_mov_b32_e32 v52, 0x7f800000
	s_mov_b32 s23, 0xc0e00000
	v_mov_b32_e32 v53, 0x40e00000
	s_mov_b32 s24, 0x7060302
	s_mov_b32 s6, s2
	;; [unrolled: 1-line block ×3, first 2 shown]
.LBB55_2:                               ; =>This Inner Loop Header: Depth=1
	buffer_load_dwordx4 v[32:35], v51, s[0:3], 0 offen
	buffer_load_dwordx4 v[24:27], v51, s[0:3], 16 offen
	;; [unrolled: 1-line block ×8, first 2 shown]
	v_lshl_add_u64 v[28:29], s[14:15], 0, v[28:29]
	v_add_u32_e32 v51, s19, v51
	s_waitcnt vmcnt(7)
	v_max_f32_e32 v30, v33, v33
	v_min_f32_e32 v31, 0x40e00000, v30
	v_max_f32_e32 v30, v32, v32
	v_min_f32_e32 v30, 0x40e00000, v30
	v_mul_f32_e32 v32, 0xbfd9db23, v30
	v_mul_f32_e32 v33, 0x3fb8aa3b, v32
	v_fma_f32 v36, v32, s20, -v33
	v_rndne_f32_e32 v37, v33
	v_fmac_f32_e32 v36, 0x32a5705f, v32
	v_sub_f32_e32 v33, v33, v37
	v_add_f32_e32 v33, v33, v36
	v_exp_f32_e32 v33, v33
	v_cvt_i32_f32_e32 v36, v37
	v_cmp_ngt_f32_e32 vcc, s21, v32
	v_max_f32_e32 v34, v34, v34
	v_min_f32_e32 v34, 0x40e00000, v34
	v_ldexp_f32 v33, v33, v36
	v_cndmask_b32_e32 v33, 0, v33, vcc
	v_cmp_nlt_f32_e32 vcc, s22, v32
	v_max_f32_e32 v35, v35, v35
	v_min_f32_e32 v35, 0x40e00000, v35
	v_cndmask_b32_e32 v32, v52, v33, vcc
	v_mul_f32_e32 v33, 0xbfd9db23, v31
	v_mul_f32_e32 v36, 0x3fb8aa3b, v33
	v_fma_f32 v37, v33, s20, -v36
	v_rndne_f32_e32 v38, v36
	v_fmac_f32_e32 v37, 0x32a5705f, v33
	v_sub_f32_e32 v36, v36, v38
	v_add_f32_e32 v36, v36, v37
	v_exp_f32_e32 v36, v36
	v_cvt_i32_f32_e32 v37, v38
	v_cmp_ngt_f32_e32 vcc, s21, v33
	s_waitcnt vmcnt(6)
	v_max_f32_e32 v24, v24, v24
	v_min_f32_e32 v24, 0x40e00000, v24
	v_ldexp_f32 v36, v36, v37
	v_cndmask_b32_e32 v36, 0, v36, vcc
	v_cmp_nlt_f32_e32 vcc, s22, v33
	v_max_f32_e32 v25, v25, v25
	v_min_f32_e32 v25, 0x40e00000, v25
	v_cndmask_b32_e32 v33, v52, v36, vcc
	v_mul_f32_e32 v36, 0xbfd9db23, v34
	v_mul_f32_e32 v37, 0x3fb8aa3b, v36
	v_fma_f32 v38, v36, s20, -v37
	v_rndne_f32_e32 v39, v37
	v_fmac_f32_e32 v38, 0x32a5705f, v36
	v_sub_f32_e32 v37, v37, v39
	v_add_f32_e32 v37, v37, v38
	v_exp_f32_e32 v37, v37
	v_cvt_i32_f32_e32 v38, v39
	v_cmp_ngt_f32_e32 vcc, s21, v36
	v_max_f32_e32 v26, v26, v26
	v_min_f32_e32 v26, 0x40e00000, v26
	v_ldexp_f32 v37, v37, v38
	v_cndmask_b32_e32 v37, 0, v37, vcc
	v_cmp_nlt_f32_e32 vcc, s22, v36
	v_max_f32_e32 v27, v27, v27
	v_min_f32_e32 v27, 0x40e00000, v27
	v_cndmask_b32_e32 v36, v52, v37, vcc
	v_mul_f32_e32 v37, 0xbfd9db23, v35
	v_mul_f32_e32 v38, 0x3fb8aa3b, v37
	v_fma_f32 v39, v37, s20, -v38
	v_rndne_f32_e32 v40, v38
	v_fmac_f32_e32 v39, 0x32a5705f, v37
	v_sub_f32_e32 v38, v38, v40
	v_add_f32_e32 v38, v38, v39
	v_exp_f32_e32 v38, v38
	v_cvt_i32_f32_e32 v39, v40
	v_cmp_ngt_f32_e32 vcc, s21, v37
	s_waitcnt vmcnt(5)
	v_max_f32_e32 v20, v20, v20
	v_min_f32_e32 v20, 0x40e00000, v20
	v_ldexp_f32 v38, v38, v39
	v_cndmask_b32_e32 v38, 0, v38, vcc
	v_cmp_nlt_f32_e32 vcc, s22, v37
	v_max_f32_e32 v21, v21, v21
	v_min_f32_e32 v21, 0x40e00000, v21
	v_cndmask_b32_e32 v37, v52, v38, vcc
	;; [unrolled: 37-line block ×3, first 2 shown]
	v_mul_f32_e32 v40, 0xbfd9db23, v26
	v_mul_f32_e32 v41, 0x3fb8aa3b, v40
	v_fma_f32 v42, v40, s20, -v41
	v_rndne_f32_e32 v43, v41
	v_fmac_f32_e32 v42, 0x32a5705f, v40
	v_sub_f32_e32 v41, v41, v43
	v_add_f32_e32 v41, v41, v42
	v_exp_f32_e32 v41, v41
	v_cvt_i32_f32_e32 v42, v43
	v_cmp_ngt_f32_e32 vcc, s21, v40
	v_max_f32_e32 v18, v18, v18
	v_min_f32_e32 v18, 0x40e00000, v18
	v_ldexp_f32 v41, v41, v42
	v_cndmask_b32_e32 v41, 0, v41, vcc
	v_cmp_nlt_f32_e32 vcc, s22, v40
	v_max_f32_e32 v19, v19, v19
	v_min_f32_e32 v19, 0x40e00000, v19
	v_cndmask_b32_e32 v40, v52, v41, vcc
	v_add_f32_e32 v40, 1.0, v40
	v_rcp_f32_e32 v42, v40
	v_mul_f32_e32 v40, 0xbfd9db23, v27
	v_mul_f32_e32 v41, 0x3fb8aa3b, v40
	v_fma_f32 v43, v40, s20, -v41
	v_rndne_f32_e32 v44, v41
	v_fmac_f32_e32 v43, 0x32a5705f, v40
	v_sub_f32_e32 v41, v41, v44
	v_add_f32_e32 v41, v41, v43
	v_exp_f32_e32 v41, v41
	v_cvt_i32_f32_e32 v43, v44
	v_cmp_ngt_f32_e32 vcc, s21, v40
	v_add_f32_e32 v32, 1.0, v32
	v_add_f32_e32 v33, 1.0, v33
	v_ldexp_f32 v41, v41, v43
	v_cndmask_b32_e32 v41, 0, v41, vcc
	v_cmp_nlt_f32_e32 vcc, s22, v40
	v_add_f32_e32 v36, 1.0, v36
	v_add_f32_e32 v37, 1.0, v37
	v_cndmask_b32_e32 v40, v52, v41, vcc
	v_add_f32_e32 v40, 1.0, v40
	v_rcp_f32_e32 v43, v40
	v_mul_f32_e32 v40, 0xbfd9db23, v20
	v_mul_f32_e32 v41, 0x3fb8aa3b, v40
	v_fma_f32 v44, v40, s20, -v41
	v_rndne_f32_e32 v45, v41
	v_fmac_f32_e32 v44, 0x32a5705f, v40
	v_sub_f32_e32 v41, v41, v45
	v_add_f32_e32 v41, v41, v44
	v_exp_f32_e32 v41, v41
	v_cvt_i32_f32_e32 v44, v45
	v_cmp_ngt_f32_e32 vcc, s21, v40
	v_add_f32_e32 v38, 1.0, v38
	v_add_f32_e32 v39, 1.0, v39
	v_ldexp_f32 v41, v41, v44
	v_cndmask_b32_e32 v41, 0, v41, vcc
	v_cmp_nlt_f32_e32 vcc, s22, v40
	v_rcp_f32_e32 v32, v32
	v_rcp_f32_e32 v33, v33
	v_cndmask_b32_e32 v40, v52, v41, vcc
	v_mul_f32_e32 v41, 0xbfd9db23, v21
	v_mul_f32_e32 v44, 0x3fb8aa3b, v41
	v_fma_f32 v45, v41, s20, -v44
	v_rndne_f32_e32 v46, v44
	v_fmac_f32_e32 v45, 0x32a5705f, v41
	v_sub_f32_e32 v44, v44, v46
	v_add_f32_e32 v44, v44, v45
	v_exp_f32_e32 v44, v44
	v_cvt_i32_f32_e32 v45, v46
	v_cmp_ngt_f32_e32 vcc, s21, v41
	v_rcp_f32_e32 v36, v36
	v_rcp_f32_e32 v37, v37
	v_ldexp_f32 v44, v44, v45
	v_cndmask_b32_e32 v44, 0, v44, vcc
	v_cmp_nlt_f32_e32 vcc, s22, v41
	v_rcp_f32_e32 v38, v38
	v_rcp_f32_e32 v39, v39
	v_cndmask_b32_e32 v41, v52, v44, vcc
	v_mul_f32_e32 v44, 0xbfd9db23, v22
	v_mul_f32_e32 v45, 0x3fb8aa3b, v44
	v_fma_f32 v46, v44, s20, -v45
	v_rndne_f32_e32 v47, v45
	v_fmac_f32_e32 v46, 0x32a5705f, v44
	v_sub_f32_e32 v45, v45, v47
	v_add_f32_e32 v45, v45, v46
	v_exp_f32_e32 v45, v45
	v_cvt_i32_f32_e32 v46, v47
	v_cmp_ngt_f32_e32 vcc, s21, v44
	v_add_f32_e32 v40, 1.0, v40
	v_add_f32_e32 v41, 1.0, v41
	v_ldexp_f32 v45, v45, v46
	v_cndmask_b32_e32 v45, 0, v45, vcc
	v_cmp_nlt_f32_e32 vcc, s22, v44
	s_waitcnt vmcnt(2)
	v_max_f32_e32 v14, v14, v14
	v_max_f32_e32 v15, v15, v15
	v_cndmask_b32_e32 v44, v52, v45, vcc
	v_mul_f32_e32 v45, 0xbfd9db23, v23
	v_mul_f32_e32 v46, 0x3fb8aa3b, v45
	v_fma_f32 v47, v45, s20, -v46
	v_rndne_f32_e32 v48, v46
	v_fmac_f32_e32 v47, 0x32a5705f, v45
	v_sub_f32_e32 v46, v46, v48
	v_add_f32_e32 v46, v46, v47
	v_exp_f32_e32 v46, v46
	v_cvt_i32_f32_e32 v47, v48
	v_cmp_ngt_f32_e32 vcc, s21, v45
	v_add_f32_e32 v44, 1.0, v44
	v_max_f32_e32 v12, v12, v12
	v_ldexp_f32 v46, v46, v47
	v_cndmask_b32_e32 v46, 0, v46, vcc
	v_cmp_nlt_f32_e32 vcc, s22, v45
	v_max_f32_e32 v13, v13, v13
	v_max_f32_e32 v10, v10, v10
	v_cndmask_b32_e32 v45, v52, v46, vcc
	v_mul_f32_e32 v46, 0xbfd9db23, v16
	v_mul_f32_e32 v47, 0x3fb8aa3b, v46
	v_fma_f32 v48, v46, s20, -v47
	v_rndne_f32_e32 v49, v47
	v_fmac_f32_e32 v48, 0x32a5705f, v46
	v_sub_f32_e32 v47, v47, v49
	v_add_f32_e32 v47, v47, v48
	v_exp_f32_e32 v47, v47
	v_cvt_i32_f32_e32 v48, v49
	v_cmp_ngt_f32_e32 vcc, s21, v46
	v_add_f32_e32 v45, 1.0, v45
	v_max_f32_e32 v11, v11, v11
	v_ldexp_f32 v47, v47, v48
	v_cndmask_b32_e32 v47, 0, v47, vcc
	v_cmp_nlt_f32_e32 vcc, s22, v46
	v_max_f32_e32 v8, v8, v8
	v_max_f32_e32 v9, v9, v9
	v_cndmask_b32_e32 v46, v52, v47, vcc
	v_mul_f32_e32 v47, 0xbfd9db23, v17
	v_mul_f32_e32 v48, 0x3fb8aa3b, v47
	v_fma_f32 v49, v47, s20, -v48
	v_rndne_f32_e32 v54, v48
	v_fmac_f32_e32 v49, 0x32a5705f, v47
	v_sub_f32_e32 v48, v48, v54
	v_add_f32_e32 v48, v48, v49
	v_exp_f32_e32 v48, v48
	v_cvt_i32_f32_e32 v49, v54
	v_cmp_ngt_f32_e32 vcc, s21, v47
	v_add_f32_e32 v46, 1.0, v46
	v_rcp_f32_e32 v40, v40
	v_ldexp_f32 v48, v48, v49
	v_cndmask_b32_e32 v48, 0, v48, vcc
	v_cmp_nlt_f32_e32 vcc, s22, v47
	v_rcp_f32_e32 v41, v41
	v_rcp_f32_e32 v44, v44
	v_cndmask_b32_e32 v47, v52, v48, vcc
	v_mul_f32_e32 v48, 0xbfd9db23, v18
	v_mul_f32_e32 v49, 0x3fb8aa3b, v48
	v_fma_f32 v54, v48, s20, -v49
	v_rndne_f32_e32 v55, v49
	v_fmac_f32_e32 v54, 0x32a5705f, v48
	v_sub_f32_e32 v49, v49, v55
	v_add_f32_e32 v49, v49, v54
	v_exp_f32_e32 v49, v49
	v_cvt_i32_f32_e32 v54, v55
	v_cmp_ngt_f32_e32 vcc, s21, v48
	v_add_f32_e32 v47, 1.0, v47
	v_rcp_f32_e32 v45, v45
	v_ldexp_f32 v49, v49, v54
	v_cndmask_b32_e32 v49, 0, v49, vcc
	v_cmp_nlt_f32_e32 vcc, s22, v48
	v_rcp_f32_e32 v46, v46
	v_rcp_f32_e32 v47, v47
	v_cndmask_b32_e32 v48, v52, v49, vcc
	v_mul_f32_e32 v49, 0xbfd9db23, v19
	v_mul_f32_e32 v54, 0x3fb8aa3b, v49
	v_fma_f32 v55, v49, s20, -v54
	v_rndne_f32_e32 v56, v54
	v_fmac_f32_e32 v55, 0x32a5705f, v49
	v_sub_f32_e32 v54, v54, v56
	v_add_f32_e32 v54, v54, v55
	v_exp_f32_e32 v54, v54
	v_cvt_i32_f32_e32 v55, v56
	v_cmp_ngt_f32_e32 vcc, s21, v49
	v_add_f32_e32 v48, 1.0, v48
	v_rcp_f32_e32 v48, v48
	v_ldexp_f32 v54, v54, v55
	v_cndmask_b32_e32 v54, 0, v54, vcc
	v_cmp_nlt_f32_e32 vcc, s22, v49
	v_med3_f32 v9, v9, s23, v53
	v_med3_f32 v8, v8, s23, v53
	v_cndmask_b32_e32 v49, v52, v54, vcc
	v_add_f32_e32 v49, 1.0, v49
	v_rcp_f32_e32 v49, v49
	v_med3_f32 v11, v11, s23, v53
	v_med3_f32 v10, v10, s23, v53
	v_med3_f32 v13, v13, s23, v53
	v_med3_f32 v12, v12, s23, v53
	v_med3_f32 v15, v15, s23, v53
	v_med3_f32 v14, v14, s23, v53
	v_pk_add_f32 v[14:15], v[14:15], 1.0 op_sel_hi:[1,0]
	v_pk_add_f32 v[12:13], v[12:13], 1.0 op_sel_hi:[1,0]
	v_pk_add_f32 v[10:11], v[10:11], 1.0 op_sel_hi:[1,0]
	v_pk_add_f32 v[8:9], v[8:9], 1.0 op_sel_hi:[1,0]
	v_pk_mul_f32 v[30:31], v[30:31], v[32:33]
	v_pk_mul_f32 v[32:33], v[34:35], v[36:37]
	;; [unrolled: 1-line block ×8, first 2 shown]
	s_waitcnt vmcnt(0)
	v_max_f32_e32 v6, v6, v6
	v_max_f32_e32 v7, v7, v7
	;; [unrolled: 1-line block ×8, first 2 shown]
	v_perm_b32 v11, v11, v10, s24
	v_perm_b32 v10, v13, v12, s24
	;; [unrolled: 1-line block ×4, first 2 shown]
	v_med3_f32 v1, v1, s23, v53
	v_med3_f32 v0, v0, s23, v53
	;; [unrolled: 1-line block ×8, first 2 shown]
	buffer_store_dwordx4 v[8:11], v50, s[8:11], 0 offen
	v_pk_add_f32 v[6:7], v[6:7], 1.0 op_sel_hi:[1,0]
	v_pk_add_f32 v[4:5], v[4:5], 1.0 op_sel_hi:[1,0]
	;; [unrolled: 1-line block ×4, first 2 shown]
	v_pk_mul_f32 v[8:9], v[20:21], v[40:41]
	v_pk_mul_f32 v[10:11], v[22:23], v[44:45]
	;; [unrolled: 1-line block ×8, first 2 shown]
	v_perm_b32 v1, v1, v0, s24
	v_perm_b32 v3, v3, v2, s24
	;; [unrolled: 1-line block ×4, first 2 shown]
	v_cmp_le_i64_e32 vcc, s[12:13], v[28:29]
	buffer_store_dwordx4 v[0:3], v50, s[8:11], 16 offen
	v_add_u32_e32 v50, s18, v50
	s_or_b64 s[16:17], vcc, s[16:17]
	s_andn2_b64 exec, exec, s[16:17]
	s_cbranch_execnz .LBB55_2
.LBB55_3:
	s_endpgm
	.section	.rodata,"a",@progbits
	.p2align	6, 0x0
	.amdhsa_kernel _ZN5aiter25swiglu_act_and_mul_kernelIftLi16EEEvPT0_PKT_i
		.amdhsa_group_segment_fixed_size 0
		.amdhsa_private_segment_fixed_size 0
		.amdhsa_kernarg_size 280
		.amdhsa_user_sgpr_count 2
		.amdhsa_user_sgpr_dispatch_ptr 0
		.amdhsa_user_sgpr_queue_ptr 0
		.amdhsa_user_sgpr_kernarg_segment_ptr 1
		.amdhsa_user_sgpr_dispatch_id 0
		.amdhsa_user_sgpr_kernarg_preload_length 0
		.amdhsa_user_sgpr_kernarg_preload_offset 0
		.amdhsa_user_sgpr_private_segment_size 0
		.amdhsa_uses_dynamic_stack 0
		.amdhsa_enable_private_segment 0
		.amdhsa_system_sgpr_workgroup_id_x 1
		.amdhsa_system_sgpr_workgroup_id_y 0
		.amdhsa_system_sgpr_workgroup_id_z 0
		.amdhsa_system_sgpr_workgroup_info 0
		.amdhsa_system_vgpr_workitem_id 0
		.amdhsa_next_free_vgpr 57
		.amdhsa_next_free_sgpr 25
		.amdhsa_accum_offset 60
		.amdhsa_reserve_vcc 1
		.amdhsa_float_round_mode_32 0
		.amdhsa_float_round_mode_16_64 0
		.amdhsa_float_denorm_mode_32 3
		.amdhsa_float_denorm_mode_16_64 3
		.amdhsa_dx10_clamp 1
		.amdhsa_ieee_mode 1
		.amdhsa_fp16_overflow 0
		.amdhsa_tg_split 0
		.amdhsa_exception_fp_ieee_invalid_op 0
		.amdhsa_exception_fp_denorm_src 0
		.amdhsa_exception_fp_ieee_div_zero 0
		.amdhsa_exception_fp_ieee_overflow 0
		.amdhsa_exception_fp_ieee_underflow 0
		.amdhsa_exception_fp_ieee_inexact 0
		.amdhsa_exception_int_div_zero 0
	.end_amdhsa_kernel
	.section	.text._ZN5aiter25swiglu_act_and_mul_kernelIftLi16EEEvPT0_PKT_i,"axG",@progbits,_ZN5aiter25swiglu_act_and_mul_kernelIftLi16EEEvPT0_PKT_i,comdat
.Lfunc_end55:
	.size	_ZN5aiter25swiglu_act_and_mul_kernelIftLi16EEEvPT0_PKT_i, .Lfunc_end55-_ZN5aiter25swiglu_act_and_mul_kernelIftLi16EEEvPT0_PKT_i
                                        ; -- End function
	.section	.AMDGPU.csdata,"",@progbits
; Kernel info:
; codeLenInByte = 2392
; NumSgprs: 31
; NumVgprs: 57
; NumAgprs: 0
; TotalNumVgprs: 57
; ScratchSize: 0
; MemoryBound: 0
; FloatMode: 240
; IeeeMode: 1
; LDSByteSize: 0 bytes/workgroup (compile time only)
; SGPRBlocks: 3
; VGPRBlocks: 7
; NumSGPRsForWavesPerEU: 31
; NumVGPRsForWavesPerEU: 57
; AccumOffset: 60
; Occupancy: 8
; WaveLimiterHint : 0
; COMPUTE_PGM_RSRC2:SCRATCH_EN: 0
; COMPUTE_PGM_RSRC2:USER_SGPR: 2
; COMPUTE_PGM_RSRC2:TRAP_HANDLER: 0
; COMPUTE_PGM_RSRC2:TGID_X_EN: 1
; COMPUTE_PGM_RSRC2:TGID_Y_EN: 0
; COMPUTE_PGM_RSRC2:TGID_Z_EN: 0
; COMPUTE_PGM_RSRC2:TIDIG_COMP_CNT: 0
; COMPUTE_PGM_RSRC3_GFX90A:ACCUM_OFFSET: 14
; COMPUTE_PGM_RSRC3_GFX90A:TG_SPLIT: 0
	.section	.text._ZN5aiter25swiglu_act_and_mul_kernelIftLi8EEEvPT0_PKT_i,"axG",@progbits,_ZN5aiter25swiglu_act_and_mul_kernelIftLi8EEEvPT0_PKT_i,comdat
	.protected	_ZN5aiter25swiglu_act_and_mul_kernelIftLi8EEEvPT0_PKT_i ; -- Begin function _ZN5aiter25swiglu_act_and_mul_kernelIftLi8EEEvPT0_PKT_i
	.globl	_ZN5aiter25swiglu_act_and_mul_kernelIftLi8EEEvPT0_PKT_i
	.p2align	8
	.type	_ZN5aiter25swiglu_act_and_mul_kernelIftLi8EEEvPT0_PKT_i,@function
_ZN5aiter25swiglu_act_and_mul_kernelIftLi8EEEvPT0_PKT_i: ; @_ZN5aiter25swiglu_act_and_mul_kernelIftLi8EEEvPT0_PKT_i
; %bb.0:
	s_load_dword s14, s[0:1], 0x10
	v_lshlrev_b32_e32 v16, 3, v0
	s_waitcnt lgkmcnt(0)
	v_cmp_gt_i32_e32 vcc, s14, v16
	s_and_saveexec_b64 s[4:5], vcc
	s_cbranch_execz .LBB56_3
; %bb.1:
	s_ashr_i32 s15, s14, 31
	s_mul_hi_u32 s3, s14, s2
	s_mul_i32 s4, s15, s2
	s_add_i32 s3, s3, s4
	s_load_dwordx4 s[4:7], s[0:1], 0x0
	s_load_dword s10, s[0:1], 0x24
	s_mul_i32 s2, s14, s2
	s_lshl_b64 s[8:9], s[2:3], 1
	s_lshl_b64 s[2:3], s[2:3], 3
	s_waitcnt lgkmcnt(0)
	s_add_u32 s16, s6, s2
	s_addc_u32 s2, s7, s3
	s_lshl_b64 s[0:1], s[14:15], 2
	s_add_u32 s20, s16, s0
	s_addc_u32 s0, s2, s1
	s_lshl_b32 s18, s14, 2
	s_and_b32 s17, s2, 0xffff
	s_and_b32 s21, s0, 0xffff
	s_add_u32 s24, s4, s8
	s_addc_u32 s0, s5, s9
	s_add_i32 s1, s14, 1
	s_lshr_b32 s2, s1, 31
	s_add_i32 s1, s1, s2
	s_mov_b32 s19, 0x20000
	s_lshl_b32 s1, s1, 1
	s_and_b32 s25, s0, 0xffff
	s_and_b32 s0, s10, 0xffff
	s_and_b32 s26, s1, -4
	s_mov_b32 s27, s19
	s_mov_b32 s29, 0
	v_mov_b32_e32 v17, 0
	s_lshl_b32 s28, s0, 3
	v_lshlrev_b32_e32 v18, 4, v0
	s_lshl_b32 s33, s0, 4
	v_lshlrev_b32_e32 v19, 5, v0
	s_lshl_b32 s34, s0, 5
	s_mov_b64 s[30:31], 0
	s_mov_b32 s35, 0x3fb8aa3b
	s_mov_b32 s36, 0xc2ce8ed0
	;; [unrolled: 1-line block ×3, first 2 shown]
	v_mov_b32_e32 v20, 0x7f800000
	s_mov_b32 s38, 0xc0e00000
	v_mov_b32_e32 v21, 0x40e00000
	s_mov_b32 s39, 0x7060302
	s_mov_b32 s22, s18
	;; [unrolled: 1-line block ×3, first 2 shown]
.LBB56_2:                               ; =>This Inner Loop Header: Depth=1
	buffer_load_dwordx4 v[12:15], v19, s[16:19], 0 offen
	buffer_load_dwordx4 v[8:11], v19, s[16:19], 16 offen
	;; [unrolled: 1-line block ×4, first 2 shown]
	v_lshl_add_u64 v[16:17], s[28:29], 0, v[16:17]
	v_cmp_le_i64_e32 vcc, s[14:15], v[16:17]
	s_or_b64 s[30:31], vcc, s[30:31]
	v_add_u32_e32 v19, s34, v19
	s_waitcnt vmcnt(3)
	v_max_f32_e32 v13, v13, v13
	v_max_f32_e32 v12, v12, v12
	v_max_f32_e32 v15, v15, v15
	v_max_f32_e32 v14, v14, v14
	s_waitcnt vmcnt(2)
	v_max_f32_e32 v9, v9, v9
	v_max_f32_e32 v8, v8, v8
	v_max_f32_e32 v11, v11, v11
	v_max_f32_e32 v10, v10, v10
	;; [unrolled: 5-line block ×4, first 2 shown]
	v_min_f32_e32 v1, 0x40e00000, v13
	v_min_f32_e32 v0, 0x40e00000, v12
	;; [unrolled: 1-line block ×8, first 2 shown]
	v_med3_f32 v13, v29, s38, v21
	v_med3_f32 v12, v28, s38, v21
	;; [unrolled: 1-line block ×8, first 2 shown]
	v_mul_f32_e32 v22, 0xbfd9db23, v0
	v_mul_f32_e32 v23, 0xbfd9db23, v1
	;; [unrolled: 1-line block ×16, first 2 shown]
	v_fma_f32 v38, v22, s35, -v30
	v_rndne_f32_e32 v39, v30
	v_fma_f32 v40, v23, s35, -v31
	v_rndne_f32_e32 v41, v31
	v_fma_f32 v42, v24, s35, -v32
	v_rndne_f32_e32 v43, v32
	v_fma_f32 v44, v25, s35, -v33
	v_rndne_f32_e32 v45, v33
	v_fma_f32 v46, v26, s35, -v34
	v_rndne_f32_e32 v47, v34
	v_fma_f32 v48, v27, s35, -v35
	v_rndne_f32_e32 v49, v35
	v_fma_f32 v50, v28, s35, -v36
	v_rndne_f32_e32 v51, v36
	v_fma_f32 v52, v29, s35, -v37
	v_rndne_f32_e32 v53, v37
	v_fmac_f32_e32 v38, 0x32a5705f, v22
	v_sub_f32_e32 v30, v30, v39
	v_fmac_f32_e32 v40, 0x32a5705f, v23
	v_sub_f32_e32 v31, v31, v41
	;; [unrolled: 2-line block ×8, first 2 shown]
	v_add_f32_e32 v30, v30, v38
	v_add_f32_e32 v31, v31, v40
	;; [unrolled: 1-line block ×8, first 2 shown]
	v_cvt_i32_f32_e32 v39, v39
	v_cvt_i32_f32_e32 v41, v41
	;; [unrolled: 1-line block ×8, first 2 shown]
	v_exp_f32_e32 v30, v30
	v_exp_f32_e32 v31, v31
	;; [unrolled: 1-line block ×8, first 2 shown]
	v_ldexp_f32 v30, v30, v39
	v_ldexp_f32 v31, v31, v41
	v_cmp_ngt_f32_e32 vcc, s36, v23
	v_ldexp_f32 v32, v32, v43
	v_cmp_ngt_f32_e64 s[0:1], s36, v24
	v_ldexp_f32 v33, v33, v45
	v_cmp_ngt_f32_e64 s[2:3], s36, v25
	;; [unrolled: 2-line block ×6, first 2 shown]
	v_cmp_ngt_f32_e64 s[12:13], s36, v22
	v_cndmask_b32_e32 v31, 0, v31, vcc
	v_cmp_nlt_f32_e32 vcc, s37, v23
	v_cndmask_b32_e64 v30, 0, v30, s[12:13]
	v_cndmask_b32_e64 v23, 0, v32, s[0:1]
	v_cmp_nlt_f32_e64 s[0:1], s37, v24
	v_cndmask_b32_e64 v24, 0, v33, s[2:3]
	v_cmp_nlt_f32_e64 s[2:3], s37, v25
	;; [unrolled: 2-line block ×6, first 2 shown]
	v_cmp_nlt_f32_e64 s[12:13], s37, v22
	v_cndmask_b32_e32 v29, v20, v31, vcc
	v_cndmask_b32_e64 v23, v20, v23, s[0:1]
	v_cndmask_b32_e64 v22, v20, v30, s[12:13]
	;; [unrolled: 1-line block ×7, first 2 shown]
	v_add_f32_e32 v22, 1.0, v22
	v_add_f32_e32 v29, 1.0, v29
	;; [unrolled: 1-line block ×8, first 2 shown]
	v_rcp_f32_e32 v22, v22
	v_rcp_f32_e32 v23, v29
	;; [unrolled: 1-line block ×8, first 2 shown]
	v_pk_add_f32 v[8:9], v[8:9], 1.0 op_sel_hi:[1,0]
	v_pk_add_f32 v[10:11], v[10:11], 1.0 op_sel_hi:[1,0]
	;; [unrolled: 1-line block ×4, first 2 shown]
	v_pk_mul_f32 v[0:1], v[0:1], v[22:23]
	v_pk_mul_f32 v[2:3], v[2:3], v[24:25]
	;; [unrolled: 1-line block ×8, first 2 shown]
	v_perm_b32 v1, v1, v0, s39
	v_perm_b32 v3, v3, v2, s39
	;; [unrolled: 1-line block ×4, first 2 shown]
	buffer_store_dwordx4 v[0:3], v18, s[24:27], 0 offen
	v_add_u32_e32 v18, s33, v18
	s_andn2_b64 exec, exec, s[30:31]
	s_cbranch_execnz .LBB56_2
.LBB56_3:
	s_endpgm
	.section	.rodata,"a",@progbits
	.p2align	6, 0x0
	.amdhsa_kernel _ZN5aiter25swiglu_act_and_mul_kernelIftLi8EEEvPT0_PKT_i
		.amdhsa_group_segment_fixed_size 0
		.amdhsa_private_segment_fixed_size 0
		.amdhsa_kernarg_size 280
		.amdhsa_user_sgpr_count 2
		.amdhsa_user_sgpr_dispatch_ptr 0
		.amdhsa_user_sgpr_queue_ptr 0
		.amdhsa_user_sgpr_kernarg_segment_ptr 1
		.amdhsa_user_sgpr_dispatch_id 0
		.amdhsa_user_sgpr_kernarg_preload_length 0
		.amdhsa_user_sgpr_kernarg_preload_offset 0
		.amdhsa_user_sgpr_private_segment_size 0
		.amdhsa_uses_dynamic_stack 0
		.amdhsa_enable_private_segment 0
		.amdhsa_system_sgpr_workgroup_id_x 1
		.amdhsa_system_sgpr_workgroup_id_y 0
		.amdhsa_system_sgpr_workgroup_id_z 0
		.amdhsa_system_sgpr_workgroup_info 0
		.amdhsa_system_vgpr_workitem_id 0
		.amdhsa_next_free_vgpr 54
		.amdhsa_next_free_sgpr 40
		.amdhsa_accum_offset 56
		.amdhsa_reserve_vcc 1
		.amdhsa_float_round_mode_32 0
		.amdhsa_float_round_mode_16_64 0
		.amdhsa_float_denorm_mode_32 3
		.amdhsa_float_denorm_mode_16_64 3
		.amdhsa_dx10_clamp 1
		.amdhsa_ieee_mode 1
		.amdhsa_fp16_overflow 0
		.amdhsa_tg_split 0
		.amdhsa_exception_fp_ieee_invalid_op 0
		.amdhsa_exception_fp_denorm_src 0
		.amdhsa_exception_fp_ieee_div_zero 0
		.amdhsa_exception_fp_ieee_overflow 0
		.amdhsa_exception_fp_ieee_underflow 0
		.amdhsa_exception_fp_ieee_inexact 0
		.amdhsa_exception_int_div_zero 0
	.end_amdhsa_kernel
	.section	.text._ZN5aiter25swiglu_act_and_mul_kernelIftLi8EEEvPT0_PKT_i,"axG",@progbits,_ZN5aiter25swiglu_act_and_mul_kernelIftLi8EEEvPT0_PKT_i,comdat
.Lfunc_end56:
	.size	_ZN5aiter25swiglu_act_and_mul_kernelIftLi8EEEvPT0_PKT_i, .Lfunc_end56-_ZN5aiter25swiglu_act_and_mul_kernelIftLi8EEEvPT0_PKT_i
                                        ; -- End function
	.section	.AMDGPU.csdata,"",@progbits
; Kernel info:
; codeLenInByte = 1464
; NumSgprs: 46
; NumVgprs: 54
; NumAgprs: 0
; TotalNumVgprs: 54
; ScratchSize: 0
; MemoryBound: 0
; FloatMode: 240
; IeeeMode: 1
; LDSByteSize: 0 bytes/workgroup (compile time only)
; SGPRBlocks: 5
; VGPRBlocks: 6
; NumSGPRsForWavesPerEU: 46
; NumVGPRsForWavesPerEU: 54
; AccumOffset: 56
; Occupancy: 8
; WaveLimiterHint : 0
; COMPUTE_PGM_RSRC2:SCRATCH_EN: 0
; COMPUTE_PGM_RSRC2:USER_SGPR: 2
; COMPUTE_PGM_RSRC2:TRAP_HANDLER: 0
; COMPUTE_PGM_RSRC2:TGID_X_EN: 1
; COMPUTE_PGM_RSRC2:TGID_Y_EN: 0
; COMPUTE_PGM_RSRC2:TGID_Z_EN: 0
; COMPUTE_PGM_RSRC2:TIDIG_COMP_CNT: 0
; COMPUTE_PGM_RSRC3_GFX90A:ACCUM_OFFSET: 13
; COMPUTE_PGM_RSRC3_GFX90A:TG_SPLIT: 0
	.section	.text._ZN5aiter25swiglu_act_and_mul_kernelIftLi4EEEvPT0_PKT_i,"axG",@progbits,_ZN5aiter25swiglu_act_and_mul_kernelIftLi4EEEvPT0_PKT_i,comdat
	.protected	_ZN5aiter25swiglu_act_and_mul_kernelIftLi4EEEvPT0_PKT_i ; -- Begin function _ZN5aiter25swiglu_act_and_mul_kernelIftLi4EEEvPT0_PKT_i
	.globl	_ZN5aiter25swiglu_act_and_mul_kernelIftLi4EEEvPT0_PKT_i
	.p2align	8
	.type	_ZN5aiter25swiglu_act_and_mul_kernelIftLi4EEEvPT0_PKT_i,@function
_ZN5aiter25swiglu_act_and_mul_kernelIftLi4EEEvPT0_PKT_i: ; @_ZN5aiter25swiglu_act_and_mul_kernelIftLi4EEEvPT0_PKT_i
; %bb.0:
	s_load_dword s20, s[0:1], 0x10
	v_lshlrev_b32_e32 v2, 2, v0
	s_waitcnt lgkmcnt(0)
	v_cmp_gt_i32_e32 vcc, s20, v2
	s_and_saveexec_b64 s[4:5], vcc
	s_cbranch_execz .LBB57_3
; %bb.1:
	s_ashr_i32 s21, s20, 31
	s_mul_hi_u32 s3, s20, s2
	s_mul_i32 s4, s21, s2
	s_add_i32 s3, s3, s4
	s_load_dwordx4 s[4:7], s[0:1], 0x0
	s_load_dword s22, s[0:1], 0x24
	s_mul_i32 s2, s20, s2
	s_lshl_b64 s[14:15], s[2:3], 1
	s_lshl_b64 s[2:3], s[2:3], 3
	s_waitcnt lgkmcnt(0)
	s_add_u32 s8, s6, s2
	s_addc_u32 s2, s7, s3
	s_lshl_b64 s[0:1], s[20:21], 2
	s_add_u32 s12, s8, s0
	s_addc_u32 s0, s2, s1
	s_lshl_b32 s10, s20, 2
	s_and_b32 s9, s2, 0xffff
	s_and_b32 s13, s0, 0xffff
	s_add_u32 s16, s4, s14
	s_addc_u32 s0, s5, s15
	s_add_i32 s1, s20, 1
	s_lshr_b32 s2, s1, 31
	s_add_i32 s1, s1, s2
	s_mov_b32 s11, 0x20000
	s_lshl_b32 s1, s1, 1
	s_and_b32 s17, s0, 0xffff
	s_and_b32 s0, s22, 0xffff
	s_and_b32 s18, s1, -4
	s_mov_b32 s19, s11
	s_mov_b32 s7, 0
	v_mov_b32_e32 v3, 0
	s_lshl_b32 s6, s0, 2
	v_lshlrev_b32_e32 v1, 3, v0
	s_lshl_b32 s24, s0, 3
	v_lshlrev_b32_e32 v0, 4, v0
	s_lshl_b32 s25, s0, 4
	s_mov_b64 s[22:23], 0
	s_mov_b32 s26, 0x3fb8aa3b
	s_mov_b32 s27, 0xc2ce8ed0
	s_mov_b32 s28, 0x42b17218
	v_mov_b32_e32 v4, 0x7f800000
	s_mov_b32 s29, 0xc0e00000
	v_mov_b32_e32 v5, 0x40e00000
	s_mov_b32 s30, 0x7060302
	s_mov_b32 s14, s10
	;; [unrolled: 1-line block ×3, first 2 shown]
.LBB57_2:                               ; =>This Inner Loop Header: Depth=1
	buffer_load_dwordx4 v[6:9], v0, s[8:11], 0 offen
	buffer_load_dwordx4 v[10:13], v0, s[12:15], 0 offen
	v_lshl_add_u64 v[2:3], s[6:7], 0, v[2:3]
	v_cmp_le_i64_e32 vcc, s[20:21], v[2:3]
	s_or_b64 s[22:23], vcc, s[22:23]
	v_add_u32_e32 v0, s25, v0
	s_waitcnt vmcnt(1)
	v_max_f32_e32 v7, v7, v7
	v_max_f32_e32 v6, v6, v6
	;; [unrolled: 1-line block ×4, first 2 shown]
	v_min_f32_e32 v7, 0x40e00000, v7
	v_min_f32_e32 v6, 0x40e00000, v6
	;; [unrolled: 1-line block ×4, first 2 shown]
	v_mul_f32_e32 v14, 0xbfd9db23, v6
	v_mul_f32_e32 v15, 0xbfd9db23, v7
	;; [unrolled: 1-line block ×8, first 2 shown]
	v_fma_f32 v22, v14, s26, -v18
	v_rndne_f32_e32 v23, v18
	v_fma_f32 v24, v15, s26, -v19
	v_rndne_f32_e32 v25, v19
	;; [unrolled: 2-line block ×4, first 2 shown]
	v_fmac_f32_e32 v22, 0x32a5705f, v14
	v_sub_f32_e32 v18, v18, v23
	v_fmac_f32_e32 v24, 0x32a5705f, v15
	v_sub_f32_e32 v19, v19, v25
	;; [unrolled: 2-line block ×4, first 2 shown]
	v_add_f32_e32 v18, v18, v22
	v_add_f32_e32 v19, v19, v24
	;; [unrolled: 1-line block ×4, first 2 shown]
	v_cvt_i32_f32_e32 v23, v23
	v_cvt_i32_f32_e32 v25, v25
	;; [unrolled: 1-line block ×4, first 2 shown]
	v_exp_f32_e32 v18, v18
	v_exp_f32_e32 v19, v19
	;; [unrolled: 1-line block ×4, first 2 shown]
	v_ldexp_f32 v18, v18, v23
	v_ldexp_f32 v19, v19, v25
	v_cmp_ngt_f32_e32 vcc, s27, v15
	v_ldexp_f32 v20, v20, v27
	v_cmp_ngt_f32_e64 s[0:1], s27, v16
	v_ldexp_f32 v21, v21, v29
	v_cmp_ngt_f32_e64 s[2:3], s27, v17
	v_cmp_ngt_f32_e64 s[4:5], s27, v14
	v_cndmask_b32_e32 v19, 0, v19, vcc
	v_cmp_nlt_f32_e32 vcc, s28, v15
	v_cndmask_b32_e64 v18, 0, v18, s[4:5]
	v_cndmask_b32_e64 v15, 0, v20, s[0:1]
	v_cmp_nlt_f32_e64 s[0:1], s28, v16
	v_cndmask_b32_e64 v16, 0, v21, s[2:3]
	v_cmp_nlt_f32_e64 s[2:3], s28, v17
	v_cmp_nlt_f32_e64 s[4:5], s28, v14
	v_cndmask_b32_e32 v17, v4, v19, vcc
	v_cndmask_b32_e64 v15, v4, v15, s[0:1]
	v_cndmask_b32_e64 v14, v4, v18, s[4:5]
	;; [unrolled: 1-line block ×3, first 2 shown]
	v_add_f32_e32 v14, 1.0, v14
	v_add_f32_e32 v17, 1.0, v17
	;; [unrolled: 1-line block ×4, first 2 shown]
	v_rcp_f32_e32 v14, v14
	v_rcp_f32_e32 v15, v17
	v_rcp_f32_e32 v16, v18
	v_rcp_f32_e32 v17, v19
	s_waitcnt vmcnt(0)
	v_max_f32_e32 v12, v12, v12
	v_max_f32_e32 v13, v13, v13
	;; [unrolled: 1-line block ×4, first 2 shown]
	v_med3_f32 v11, v11, s29, v5
	v_med3_f32 v10, v10, s29, v5
	;; [unrolled: 1-line block ×4, first 2 shown]
	v_pk_add_f32 v[12:13], v[12:13], 1.0 op_sel_hi:[1,0]
	v_pk_add_f32 v[10:11], v[10:11], 1.0 op_sel_hi:[1,0]
	v_pk_mul_f32 v[6:7], v[6:7], v[14:15]
	v_pk_mul_f32 v[8:9], v[8:9], v[16:17]
	;; [unrolled: 1-line block ×4, first 2 shown]
	s_nop 0
	v_perm_b32 v9, v9, v8, s30
	v_perm_b32 v8, v7, v6, s30
	buffer_store_dwordx2 v[8:9], v1, s[16:19], 0 offen
	v_add_u32_e32 v1, s24, v1
	s_andn2_b64 exec, exec, s[22:23]
	s_cbranch_execnz .LBB57_2
.LBB57_3:
	s_endpgm
	.section	.rodata,"a",@progbits
	.p2align	6, 0x0
	.amdhsa_kernel _ZN5aiter25swiglu_act_and_mul_kernelIftLi4EEEvPT0_PKT_i
		.amdhsa_group_segment_fixed_size 0
		.amdhsa_private_segment_fixed_size 0
		.amdhsa_kernarg_size 280
		.amdhsa_user_sgpr_count 2
		.amdhsa_user_sgpr_dispatch_ptr 0
		.amdhsa_user_sgpr_queue_ptr 0
		.amdhsa_user_sgpr_kernarg_segment_ptr 1
		.amdhsa_user_sgpr_dispatch_id 0
		.amdhsa_user_sgpr_kernarg_preload_length 0
		.amdhsa_user_sgpr_kernarg_preload_offset 0
		.amdhsa_user_sgpr_private_segment_size 0
		.amdhsa_uses_dynamic_stack 0
		.amdhsa_enable_private_segment 0
		.amdhsa_system_sgpr_workgroup_id_x 1
		.amdhsa_system_sgpr_workgroup_id_y 0
		.amdhsa_system_sgpr_workgroup_id_z 0
		.amdhsa_system_sgpr_workgroup_info 0
		.amdhsa_system_vgpr_workitem_id 0
		.amdhsa_next_free_vgpr 30
		.amdhsa_next_free_sgpr 31
		.amdhsa_accum_offset 32
		.amdhsa_reserve_vcc 1
		.amdhsa_float_round_mode_32 0
		.amdhsa_float_round_mode_16_64 0
		.amdhsa_float_denorm_mode_32 3
		.amdhsa_float_denorm_mode_16_64 3
		.amdhsa_dx10_clamp 1
		.amdhsa_ieee_mode 1
		.amdhsa_fp16_overflow 0
		.amdhsa_tg_split 0
		.amdhsa_exception_fp_ieee_invalid_op 0
		.amdhsa_exception_fp_denorm_src 0
		.amdhsa_exception_fp_ieee_div_zero 0
		.amdhsa_exception_fp_ieee_overflow 0
		.amdhsa_exception_fp_ieee_underflow 0
		.amdhsa_exception_fp_ieee_inexact 0
		.amdhsa_exception_int_div_zero 0
	.end_amdhsa_kernel
	.section	.text._ZN5aiter25swiglu_act_and_mul_kernelIftLi4EEEvPT0_PKT_i,"axG",@progbits,_ZN5aiter25swiglu_act_and_mul_kernelIftLi4EEEvPT0_PKT_i,comdat
.Lfunc_end57:
	.size	_ZN5aiter25swiglu_act_and_mul_kernelIftLi4EEEvPT0_PKT_i, .Lfunc_end57-_ZN5aiter25swiglu_act_and_mul_kernelIftLi4EEEvPT0_PKT_i
                                        ; -- End function
	.section	.AMDGPU.csdata,"",@progbits
; Kernel info:
; codeLenInByte = 884
; NumSgprs: 37
; NumVgprs: 30
; NumAgprs: 0
; TotalNumVgprs: 30
; ScratchSize: 0
; MemoryBound: 0
; FloatMode: 240
; IeeeMode: 1
; LDSByteSize: 0 bytes/workgroup (compile time only)
; SGPRBlocks: 4
; VGPRBlocks: 3
; NumSGPRsForWavesPerEU: 37
; NumVGPRsForWavesPerEU: 30
; AccumOffset: 32
; Occupancy: 8
; WaveLimiterHint : 0
; COMPUTE_PGM_RSRC2:SCRATCH_EN: 0
; COMPUTE_PGM_RSRC2:USER_SGPR: 2
; COMPUTE_PGM_RSRC2:TRAP_HANDLER: 0
; COMPUTE_PGM_RSRC2:TGID_X_EN: 1
; COMPUTE_PGM_RSRC2:TGID_Y_EN: 0
; COMPUTE_PGM_RSRC2:TGID_Z_EN: 0
; COMPUTE_PGM_RSRC2:TIDIG_COMP_CNT: 0
; COMPUTE_PGM_RSRC3_GFX90A:ACCUM_OFFSET: 7
; COMPUTE_PGM_RSRC3_GFX90A:TG_SPLIT: 0
	.section	.text._ZN5aiter25swiglu_act_and_mul_kernelIftLi2EEEvPT0_PKT_i,"axG",@progbits,_ZN5aiter25swiglu_act_and_mul_kernelIftLi2EEEvPT0_PKT_i,comdat
	.protected	_ZN5aiter25swiglu_act_and_mul_kernelIftLi2EEEvPT0_PKT_i ; -- Begin function _ZN5aiter25swiglu_act_and_mul_kernelIftLi2EEEvPT0_PKT_i
	.globl	_ZN5aiter25swiglu_act_and_mul_kernelIftLi2EEEvPT0_PKT_i
	.p2align	8
	.type	_ZN5aiter25swiglu_act_and_mul_kernelIftLi2EEEvPT0_PKT_i,@function
_ZN5aiter25swiglu_act_and_mul_kernelIftLi2EEEvPT0_PKT_i: ; @_ZN5aiter25swiglu_act_and_mul_kernelIftLi2EEEvPT0_PKT_i
; %bb.0:
	s_load_dword s16, s[0:1], 0x10
	v_lshlrev_b32_e32 v2, 1, v0
	s_waitcnt lgkmcnt(0)
	v_cmp_gt_i32_e32 vcc, s16, v2
	s_and_saveexec_b64 s[4:5], vcc
	s_cbranch_execz .LBB58_3
; %bb.1:
	s_load_dwordx4 s[12:15], s[0:1], 0x0
	s_load_dword s18, s[0:1], 0x24
	s_ashr_i32 s17, s16, 31
	s_mul_hi_u32 s3, s16, s2
	s_mul_i32 s4, s17, s2
	s_add_i32 s3, s3, s4
	s_mul_i32 s2, s16, s2
	s_lshl_b64 s[10:11], s[2:3], 1
	s_lshl_b64 s[2:3], s[2:3], 3
	s_waitcnt lgkmcnt(0)
	s_add_u32 s4, s14, s2
	s_addc_u32 s2, s15, s3
	s_lshl_b64 s[0:1], s[16:17], 2
	s_add_u32 s8, s4, s0
	s_addc_u32 s0, s2, s1
	s_lshl_b32 s6, s16, 2
	s_and_b32 s5, s2, 0xffff
	s_and_b32 s9, s0, 0xffff
	s_add_u32 s12, s12, s10
	s_addc_u32 s0, s13, s11
	s_add_i32 s1, s16, 1
	s_lshr_b32 s2, s1, 31
	s_add_i32 s1, s1, s2
	s_mov_b32 s7, 0x20000
	s_lshl_b32 s1, s1, 1
	s_and_b32 s13, s0, 0xffff
	s_and_b32 s0, s18, 0xffff
	s_and_b32 s14, s1, -4
	s_mov_b32 s15, s7
	s_mov_b32 s3, 0
	v_mov_b32_e32 v3, 0
	s_lshl_b32 s2, s0, 1
	v_lshlrev_b32_e32 v1, 2, v0
	s_lshl_b32 s20, s0, 2
	v_lshlrev_b32_e32 v0, 3, v0
	s_lshl_b32 s21, s0, 3
	s_mov_b64 s[18:19], 0
	s_mov_b32 s10, s6
	s_mov_b32 s11, s7
	;; [unrolled: 1-line block ×5, first 2 shown]
	v_mov_b32_e32 v4, 0x7f800000
	s_mov_b32 s25, 0xc0e00000
	v_mov_b32_e32 v5, 0x40e00000
	s_mov_b32 s26, 0x7060302
.LBB58_2:                               ; =>This Inner Loop Header: Depth=1
	buffer_load_dwordx2 v[6:7], v0, s[4:7], 0 offen
	buffer_load_dwordx2 v[8:9], v0, s[8:11], 0 offen
	v_lshl_add_u64 v[2:3], s[2:3], 0, v[2:3]
	v_cmp_le_i64_e32 vcc, s[16:17], v[2:3]
	s_or_b64 s[18:19], vcc, s[18:19]
	v_add_u32_e32 v0, s21, v0
	s_waitcnt vmcnt(1)
	v_max_f32_e32 v7, v7, v7
	v_max_f32_e32 v6, v6, v6
	v_min_f32_e32 v7, 0x40e00000, v7
	v_min_f32_e32 v6, 0x40e00000, v6
	v_mul_f32_e32 v10, 0xbfd9db23, v6
	v_mul_f32_e32 v11, 0xbfd9db23, v7
	;; [unrolled: 1-line block ×4, first 2 shown]
	v_fma_f32 v14, v10, s22, -v12
	v_rndne_f32_e32 v15, v12
	v_fma_f32 v16, v11, s22, -v13
	v_rndne_f32_e32 v17, v13
	v_fmac_f32_e32 v14, 0x32a5705f, v10
	v_sub_f32_e32 v12, v12, v15
	v_fmac_f32_e32 v16, 0x32a5705f, v11
	v_sub_f32_e32 v13, v13, v17
	v_add_f32_e32 v12, v12, v14
	v_add_f32_e32 v13, v13, v16
	v_cvt_i32_f32_e32 v15, v15
	v_cvt_i32_f32_e32 v17, v17
	v_exp_f32_e32 v12, v12
	v_exp_f32_e32 v13, v13
	v_cmp_ngt_f32_e32 vcc, s23, v11
	v_cmp_ngt_f32_e64 s[0:1], s23, v10
	v_ldexp_f32 v12, v12, v15
	v_ldexp_f32 v13, v13, v17
	v_cndmask_b32_e64 v12, 0, v12, s[0:1]
	v_cndmask_b32_e32 v13, 0, v13, vcc
	v_cmp_nlt_f32_e32 vcc, s24, v11
	v_cmp_nlt_f32_e64 s[0:1], s24, v10
	s_waitcnt vmcnt(0)
	v_max_f32_e32 v8, v8, v8
	v_cndmask_b32_e32 v11, v4, v13, vcc
	v_cndmask_b32_e64 v10, v4, v12, s[0:1]
	v_add_f32_e32 v10, 1.0, v10
	v_add_f32_e32 v11, 1.0, v11
	v_rcp_f32_e32 v10, v10
	v_rcp_f32_e32 v11, v11
	v_max_f32_e32 v9, v9, v9
	v_med3_f32 v9, v9, s25, v5
	v_med3_f32 v8, v8, s25, v5
	v_pk_add_f32 v[8:9], v[8:9], 1.0 op_sel_hi:[1,0]
	v_pk_mul_f32 v[6:7], v[6:7], v[10:11]
	s_nop 0
	v_pk_mul_f32 v[6:7], v[8:9], v[6:7]
	s_nop 0
	v_perm_b32 v6, v7, v6, s26
	buffer_store_dword v6, v1, s[12:15], 0 offen
	v_add_u32_e32 v1, s20, v1
	s_andn2_b64 exec, exec, s[18:19]
	s_cbranch_execnz .LBB58_2
.LBB58_3:
	s_endpgm
	.section	.rodata,"a",@progbits
	.p2align	6, 0x0
	.amdhsa_kernel _ZN5aiter25swiglu_act_and_mul_kernelIftLi2EEEvPT0_PKT_i
		.amdhsa_group_segment_fixed_size 0
		.amdhsa_private_segment_fixed_size 0
		.amdhsa_kernarg_size 280
		.amdhsa_user_sgpr_count 2
		.amdhsa_user_sgpr_dispatch_ptr 0
		.amdhsa_user_sgpr_queue_ptr 0
		.amdhsa_user_sgpr_kernarg_segment_ptr 1
		.amdhsa_user_sgpr_dispatch_id 0
		.amdhsa_user_sgpr_kernarg_preload_length 0
		.amdhsa_user_sgpr_kernarg_preload_offset 0
		.amdhsa_user_sgpr_private_segment_size 0
		.amdhsa_uses_dynamic_stack 0
		.amdhsa_enable_private_segment 0
		.amdhsa_system_sgpr_workgroup_id_x 1
		.amdhsa_system_sgpr_workgroup_id_y 0
		.amdhsa_system_sgpr_workgroup_id_z 0
		.amdhsa_system_sgpr_workgroup_info 0
		.amdhsa_system_vgpr_workitem_id 0
		.amdhsa_next_free_vgpr 18
		.amdhsa_next_free_sgpr 27
		.amdhsa_accum_offset 20
		.amdhsa_reserve_vcc 1
		.amdhsa_float_round_mode_32 0
		.amdhsa_float_round_mode_16_64 0
		.amdhsa_float_denorm_mode_32 3
		.amdhsa_float_denorm_mode_16_64 3
		.amdhsa_dx10_clamp 1
		.amdhsa_ieee_mode 1
		.amdhsa_fp16_overflow 0
		.amdhsa_tg_split 0
		.amdhsa_exception_fp_ieee_invalid_op 0
		.amdhsa_exception_fp_denorm_src 0
		.amdhsa_exception_fp_ieee_div_zero 0
		.amdhsa_exception_fp_ieee_overflow 0
		.amdhsa_exception_fp_ieee_underflow 0
		.amdhsa_exception_fp_ieee_inexact 0
		.amdhsa_exception_int_div_zero 0
	.end_amdhsa_kernel
	.section	.text._ZN5aiter25swiglu_act_and_mul_kernelIftLi2EEEvPT0_PKT_i,"axG",@progbits,_ZN5aiter25swiglu_act_and_mul_kernelIftLi2EEEvPT0_PKT_i,comdat
.Lfunc_end58:
	.size	_ZN5aiter25swiglu_act_and_mul_kernelIftLi2EEEvPT0_PKT_i, .Lfunc_end58-_ZN5aiter25swiglu_act_and_mul_kernelIftLi2EEEvPT0_PKT_i
                                        ; -- End function
	.section	.AMDGPU.csdata,"",@progbits
; Kernel info:
; codeLenInByte = 608
; NumSgprs: 33
; NumVgprs: 18
; NumAgprs: 0
; TotalNumVgprs: 18
; ScratchSize: 0
; MemoryBound: 0
; FloatMode: 240
; IeeeMode: 1
; LDSByteSize: 0 bytes/workgroup (compile time only)
; SGPRBlocks: 4
; VGPRBlocks: 2
; NumSGPRsForWavesPerEU: 33
; NumVGPRsForWavesPerEU: 18
; AccumOffset: 20
; Occupancy: 8
; WaveLimiterHint : 0
; COMPUTE_PGM_RSRC2:SCRATCH_EN: 0
; COMPUTE_PGM_RSRC2:USER_SGPR: 2
; COMPUTE_PGM_RSRC2:TRAP_HANDLER: 0
; COMPUTE_PGM_RSRC2:TGID_X_EN: 1
; COMPUTE_PGM_RSRC2:TGID_Y_EN: 0
; COMPUTE_PGM_RSRC2:TGID_Z_EN: 0
; COMPUTE_PGM_RSRC2:TIDIG_COMP_CNT: 0
; COMPUTE_PGM_RSRC3_GFX90A:ACCUM_OFFSET: 4
; COMPUTE_PGM_RSRC3_GFX90A:TG_SPLIT: 0
	.section	.text._ZN5aiter25swiglu_act_and_mul_kernelIftLi1EEEvPT0_PKT_i,"axG",@progbits,_ZN5aiter25swiglu_act_and_mul_kernelIftLi1EEEvPT0_PKT_i,comdat
	.protected	_ZN5aiter25swiglu_act_and_mul_kernelIftLi1EEEvPT0_PKT_i ; -- Begin function _ZN5aiter25swiglu_act_and_mul_kernelIftLi1EEEvPT0_PKT_i
	.globl	_ZN5aiter25swiglu_act_and_mul_kernelIftLi1EEEvPT0_PKT_i
	.p2align	8
	.type	_ZN5aiter25swiglu_act_and_mul_kernelIftLi1EEEvPT0_PKT_i,@function
_ZN5aiter25swiglu_act_and_mul_kernelIftLi1EEEvPT0_PKT_i: ; @_ZN5aiter25swiglu_act_and_mul_kernelIftLi1EEEvPT0_PKT_i
; %bb.0:
	s_load_dword s12, s[0:1], 0x10
	s_waitcnt lgkmcnt(0)
	v_cmp_gt_i32_e32 vcc, s12, v0
	s_and_saveexec_b64 s[4:5], vcc
	s_cbranch_execz .LBB59_3
; %bb.1:
	s_load_dwordx4 s[8:11], s[0:1], 0x0
	s_load_dword s14, s[0:1], 0x24
	s_ashr_i32 s13, s12, 31
	s_mul_hi_u32 s3, s12, s2
	s_mul_i32 s4, s13, s2
	s_add_i32 s3, s3, s4
	s_mul_i32 s2, s12, s2
	s_lshl_b64 s[6:7], s[2:3], 1
	s_lshl_b64 s[2:3], s[2:3], 3
	s_waitcnt lgkmcnt(0)
	s_add_u32 s0, s10, s2
	s_addc_u32 s1, s11, s3
	s_lshl_b64 s[2:3], s[12:13], 2
	s_add_u32 s4, s0, s2
	s_addc_u32 s5, s1, s3
	s_lshl_b32 s2, s12, 2
	s_and_b32 s1, s1, 0xffff
	s_and_b32 s5, s5, 0xffff
	s_add_u32 s8, s8, s6
	s_addc_u32 s6, s9, s7
	s_add_i32 s7, s12, 1
	s_lshr_b32 s9, s7, 31
	s_add_i32 s7, s7, s9
	s_mov_b32 s3, 0x20000
	s_lshl_b32 s7, s7, 1
	s_and_b32 s14, s14, 0xffff
	s_and_b32 s10, s7, -4
	s_and_b32 s9, s6, 0xffff
	s_mov_b32 s11, s3
	s_mov_b32 s15, 0
	v_mov_b32_e32 v1, 0
	v_lshlrev_b32_e32 v2, 1, v0
	s_lshl_b32 s18, s14, 1
	v_lshlrev_b32_e32 v3, 2, v0
	s_lshl_b32 s19, s14, 2
	s_mov_b64 s[16:17], 0
	s_mov_b32 s6, s2
	s_mov_b32 s7, s3
	;; [unrolled: 1-line block ×5, first 2 shown]
	v_mov_b32_e32 v4, 0x7f800000
.LBB59_2:                               ; =>This Inner Loop Header: Depth=1
	buffer_load_dword v5, v3, s[0:3], 0 offen
	buffer_load_dword v6, v3, s[4:7], 0 offen
	v_lshl_add_u64 v[0:1], v[0:1], 0, s[14:15]
	v_cmp_le_i64_e32 vcc, s[12:13], v[0:1]
	s_or_b64 s[16:17], vcc, s[16:17]
	v_add_u32_e32 v3, s19, v3
	s_waitcnt vmcnt(1)
	v_max_f32_e32 v5, v5, v5
	v_min_f32_e32 v5, 0x40e00000, v5
	v_mul_f32_e32 v7, 0xbfd9db23, v5
	v_mul_f32_e32 v8, 0x3fb8aa3b, v7
	v_fma_f32 v9, v7, s20, -v8
	v_rndne_f32_e32 v10, v8
	v_fmac_f32_e32 v9, 0x32a5705f, v7
	v_sub_f32_e32 v8, v8, v10
	v_add_f32_e32 v8, v8, v9
	v_cvt_i32_f32_e32 v10, v10
	v_exp_f32_e32 v8, v8
	v_cmp_ngt_f32_e32 vcc, s21, v7
	s_waitcnt vmcnt(0)
	v_max_f32_e32 v6, v6, v6
	v_max_f32_e32 v6, 0xc0e00000, v6
	v_ldexp_f32 v8, v8, v10
	v_cndmask_b32_e32 v8, 0, v8, vcc
	v_cmp_nlt_f32_e32 vcc, s22, v7
	v_min_f32_e32 v6, 0x40e00000, v6
	v_add_f32_e32 v6, 1.0, v6
	v_cndmask_b32_e32 v7, v4, v8, vcc
	v_add_f32_e32 v7, 1.0, v7
	v_rcp_f32_e32 v7, v7
	s_nop 0
	v_mul_f32_e32 v5, v5, v7
	v_mul_f32_e32 v5, v6, v5
	v_lshrrev_b32_e32 v5, 16, v5
	buffer_store_short v5, v2, s[8:11], 0 offen
	v_add_u32_e32 v2, s18, v2
	s_andn2_b64 exec, exec, s[16:17]
	s_cbranch_execnz .LBB59_2
.LBB59_3:
	s_endpgm
	.section	.rodata,"a",@progbits
	.p2align	6, 0x0
	.amdhsa_kernel _ZN5aiter25swiglu_act_and_mul_kernelIftLi1EEEvPT0_PKT_i
		.amdhsa_group_segment_fixed_size 0
		.amdhsa_private_segment_fixed_size 0
		.amdhsa_kernarg_size 280
		.amdhsa_user_sgpr_count 2
		.amdhsa_user_sgpr_dispatch_ptr 0
		.amdhsa_user_sgpr_queue_ptr 0
		.amdhsa_user_sgpr_kernarg_segment_ptr 1
		.amdhsa_user_sgpr_dispatch_id 0
		.amdhsa_user_sgpr_kernarg_preload_length 0
		.amdhsa_user_sgpr_kernarg_preload_offset 0
		.amdhsa_user_sgpr_private_segment_size 0
		.amdhsa_uses_dynamic_stack 0
		.amdhsa_enable_private_segment 0
		.amdhsa_system_sgpr_workgroup_id_x 1
		.amdhsa_system_sgpr_workgroup_id_y 0
		.amdhsa_system_sgpr_workgroup_id_z 0
		.amdhsa_system_sgpr_workgroup_info 0
		.amdhsa_system_vgpr_workitem_id 0
		.amdhsa_next_free_vgpr 11
		.amdhsa_next_free_sgpr 23
		.amdhsa_accum_offset 12
		.amdhsa_reserve_vcc 1
		.amdhsa_float_round_mode_32 0
		.amdhsa_float_round_mode_16_64 0
		.amdhsa_float_denorm_mode_32 3
		.amdhsa_float_denorm_mode_16_64 3
		.amdhsa_dx10_clamp 1
		.amdhsa_ieee_mode 1
		.amdhsa_fp16_overflow 0
		.amdhsa_tg_split 0
		.amdhsa_exception_fp_ieee_invalid_op 0
		.amdhsa_exception_fp_denorm_src 0
		.amdhsa_exception_fp_ieee_div_zero 0
		.amdhsa_exception_fp_ieee_overflow 0
		.amdhsa_exception_fp_ieee_underflow 0
		.amdhsa_exception_fp_ieee_inexact 0
		.amdhsa_exception_int_div_zero 0
	.end_amdhsa_kernel
	.section	.text._ZN5aiter25swiglu_act_and_mul_kernelIftLi1EEEvPT0_PKT_i,"axG",@progbits,_ZN5aiter25swiglu_act_and_mul_kernelIftLi1EEEvPT0_PKT_i,comdat
.Lfunc_end59:
	.size	_ZN5aiter25swiglu_act_and_mul_kernelIftLi1EEEvPT0_PKT_i, .Lfunc_end59-_ZN5aiter25swiglu_act_and_mul_kernelIftLi1EEEvPT0_PKT_i
                                        ; -- End function
	.section	.AMDGPU.csdata,"",@progbits
; Kernel info:
; codeLenInByte = 440
; NumSgprs: 29
; NumVgprs: 11
; NumAgprs: 0
; TotalNumVgprs: 11
; ScratchSize: 0
; MemoryBound: 0
; FloatMode: 240
; IeeeMode: 1
; LDSByteSize: 0 bytes/workgroup (compile time only)
; SGPRBlocks: 3
; VGPRBlocks: 1
; NumSGPRsForWavesPerEU: 29
; NumVGPRsForWavesPerEU: 11
; AccumOffset: 12
; Occupancy: 8
; WaveLimiterHint : 0
; COMPUTE_PGM_RSRC2:SCRATCH_EN: 0
; COMPUTE_PGM_RSRC2:USER_SGPR: 2
; COMPUTE_PGM_RSRC2:TRAP_HANDLER: 0
; COMPUTE_PGM_RSRC2:TGID_X_EN: 1
; COMPUTE_PGM_RSRC2:TGID_Y_EN: 0
; COMPUTE_PGM_RSRC2:TGID_Z_EN: 0
; COMPUTE_PGM_RSRC2:TIDIG_COMP_CNT: 0
; COMPUTE_PGM_RSRC3_GFX90A:ACCUM_OFFSET: 2
; COMPUTE_PGM_RSRC3_GFX90A:TG_SPLIT: 0
	.section	.text._ZN5aiter25swiglu_act_and_mul_kernelIfDF16_Li16EEEvPT0_PKT_i,"axG",@progbits,_ZN5aiter25swiglu_act_and_mul_kernelIfDF16_Li16EEEvPT0_PKT_i,comdat
	.protected	_ZN5aiter25swiglu_act_and_mul_kernelIfDF16_Li16EEEvPT0_PKT_i ; -- Begin function _ZN5aiter25swiglu_act_and_mul_kernelIfDF16_Li16EEEvPT0_PKT_i
	.globl	_ZN5aiter25swiglu_act_and_mul_kernelIfDF16_Li16EEEvPT0_PKT_i
	.p2align	8
	.type	_ZN5aiter25swiglu_act_and_mul_kernelIfDF16_Li16EEEvPT0_PKT_i,@function
_ZN5aiter25swiglu_act_and_mul_kernelIfDF16_Li16EEEvPT0_PKT_i: ; @_ZN5aiter25swiglu_act_and_mul_kernelIfDF16_Li16EEEvPT0_PKT_i
; %bb.0:
	s_load_dword s12, s[0:1], 0x10
	v_lshlrev_b32_e32 v28, 4, v0
	s_waitcnt lgkmcnt(0)
	v_cmp_gt_i32_e32 vcc, s12, v28
	s_and_saveexec_b64 s[4:5], vcc
	s_cbranch_execz .LBB60_3
; %bb.1:
	s_load_dwordx4 s[8:11], s[0:1], 0x0
	s_load_dword s14, s[0:1], 0x24
	s_ashr_i32 s13, s12, 31
	s_mul_hi_u32 s3, s12, s2
	s_mul_i32 s4, s13, s2
	s_add_i32 s3, s3, s4
	s_mul_i32 s2, s12, s2
	s_lshl_b64 s[6:7], s[2:3], 1
	s_lshl_b64 s[2:3], s[2:3], 3
	s_waitcnt lgkmcnt(0)
	s_add_u32 s0, s10, s2
	s_addc_u32 s1, s11, s3
	s_lshl_b64 s[2:3], s[12:13], 2
	s_add_u32 s4, s0, s2
	s_addc_u32 s5, s1, s3
	s_lshl_b32 s2, s12, 2
	s_and_b32 s1, s1, 0xffff
	s_and_b32 s5, s5, 0xffff
	s_add_u32 s8, s8, s6
	s_addc_u32 s6, s9, s7
	s_add_i32 s7, s12, 1
	s_lshr_b32 s9, s7, 31
	s_add_i32 s7, s7, s9
	s_mov_b32 s3, 0x20000
	s_lshl_b32 s7, s7, 1
	s_and_b32 s9, s6, 0xffff
	s_and_b32 s6, s14, 0xffff
	s_and_b32 s10, s7, -4
	s_mov_b32 s11, s3
	s_mov_b32 s15, 0
	v_mov_b32_e32 v29, 0
	s_lshl_b32 s14, s6, 4
	v_lshlrev_b32_e32 v30, 5, v0
	s_lshl_b32 s18, s6, 5
	v_lshlrev_b32_e32 v31, 6, v0
	s_lshl_b32 s19, s6, 6
	s_mov_b64 s[16:17], 0
	s_mov_b32 s20, 0x3fb8aa3b
	s_mov_b32 s21, 0xc2ce8ed0
	;; [unrolled: 1-line block ×3, first 2 shown]
	v_mov_b32_e32 v32, 0x7f800000
	s_mov_b32 s23, 0xc0e00000
	v_mov_b32_e32 v33, 0x40e00000
	s_mov_b32 s6, s2
	s_mov_b32 s7, s3
.LBB60_2:                               ; =>This Inner Loop Header: Depth=1
	buffer_load_dwordx4 v[34:37], v31, s[0:3], 0 offen
	buffer_load_dwordx4 v[20:23], v31, s[0:3], 16 offen
	;; [unrolled: 1-line block ×8, first 2 shown]
	v_lshl_add_u64 v[28:29], s[14:15], 0, v[28:29]
	v_add_u32_e32 v31, s19, v31
	s_waitcnt vmcnt(7)
	v_max_f32_e32 v34, v34, v34
	v_min_f32_e32 v34, 0x40e00000, v34
	v_mul_f32_e32 v38, 0xbfd9db23, v34
	v_mul_f32_e32 v39, 0x3fb8aa3b, v38
	v_fma_f32 v40, v38, s20, -v39
	v_rndne_f32_e32 v41, v39
	v_fmac_f32_e32 v40, 0x32a5705f, v38
	v_sub_f32_e32 v39, v39, v41
	v_add_f32_e32 v39, v39, v40
	v_exp_f32_e32 v39, v39
	v_cvt_i32_f32_e32 v40, v41
	v_max_f32_e32 v35, v35, v35
	v_cmp_ngt_f32_e32 vcc, s21, v38
	v_min_f32_e32 v35, 0x40e00000, v35
	v_ldexp_f32 v39, v39, v40
	v_cndmask_b32_e32 v39, 0, v39, vcc
	v_cmp_nlt_f32_e32 vcc, s22, v38
	s_waitcnt vmcnt(3)
	v_max_f32_e32 v24, v24, v24
	v_max_f32_e32 v25, v25, v25
	v_cndmask_b32_e32 v38, v32, v39, vcc
	v_mul_f32_e32 v39, 0xbfd9db23, v35
	v_mul_f32_e32 v40, 0x3fb8aa3b, v39
	v_fma_f32 v41, v39, s20, -v40
	v_rndne_f32_e32 v42, v40
	v_fmac_f32_e32 v41, 0x32a5705f, v39
	v_sub_f32_e32 v40, v40, v42
	v_add_f32_e32 v40, v40, v41
	v_exp_f32_e32 v40, v40
	v_cvt_i32_f32_e32 v41, v42
	v_cmp_ngt_f32_e32 vcc, s21, v39
	v_add_f32_e32 v38, 1.0, v38
	v_rcp_f32_e32 v38, v38
	v_ldexp_f32 v40, v40, v41
	v_cndmask_b32_e32 v40, 0, v40, vcc
	v_cmp_nlt_f32_e32 vcc, s22, v39
	v_med3_f32 v25, v25, s23, v33
	v_med3_f32 v24, v24, s23, v33
	v_cndmask_b32_e32 v39, v32, v40, vcc
	v_add_f32_e32 v39, 1.0, v39
	v_rcp_f32_e32 v39, v39
	v_pk_add_f32 v[24:25], v[24:25], 1.0 op_sel_hi:[1,0]
	v_max_f32_e32 v26, v26, v26
	v_max_f32_e32 v27, v27, v27
	v_pk_mul_f32 v[34:35], v[34:35], v[38:39]
	v_med3_f32 v27, v27, s23, v33
	v_pk_mul_f32 v[34:35], v[24:25], v[34:35]
	v_med3_f32 v26, v26, s23, v33
	v_cvt_f16_f32_e32 v25, v34
	v_max_f32_e32 v34, v37, v37
	v_cvt_f16_f32_e32 v24, v35
	v_min_f32_e32 v35, 0x40e00000, v34
	v_max_f32_e32 v34, v36, v36
	v_min_f32_e32 v34, 0x40e00000, v34
	v_mul_f32_e32 v36, 0xbfd9db23, v34
	v_mul_f32_e32 v37, 0x3fb8aa3b, v36
	v_fma_f32 v38, v36, s20, -v37
	v_rndne_f32_e32 v39, v37
	v_fmac_f32_e32 v38, 0x32a5705f, v36
	v_sub_f32_e32 v37, v37, v39
	v_add_f32_e32 v37, v37, v38
	v_exp_f32_e32 v37, v37
	v_cvt_i32_f32_e32 v38, v39
	v_cmp_ngt_f32_e32 vcc, s21, v36
	v_pk_add_f32 v[26:27], v[26:27], 1.0 op_sel_hi:[1,0]
	v_max_f32_e32 v20, v20, v20
	v_ldexp_f32 v37, v37, v38
	v_cndmask_b32_e32 v37, 0, v37, vcc
	v_cmp_nlt_f32_e32 vcc, s22, v36
	v_min_f32_e32 v20, 0x40e00000, v20
	v_max_f32_e32 v21, v21, v21
	v_cndmask_b32_e32 v36, v32, v37, vcc
	v_mul_f32_e32 v37, 0xbfd9db23, v35
	v_mul_f32_e32 v38, 0x3fb8aa3b, v37
	v_fma_f32 v39, v37, s20, -v38
	v_rndne_f32_e32 v40, v38
	v_fmac_f32_e32 v39, 0x32a5705f, v37
	v_sub_f32_e32 v38, v38, v40
	v_add_f32_e32 v38, v38, v39
	v_exp_f32_e32 v38, v38
	v_cvt_i32_f32_e32 v39, v40
	v_cmp_ngt_f32_e32 vcc, s21, v37
	v_add_f32_e32 v36, 1.0, v36
	v_rcp_f32_e32 v36, v36
	v_ldexp_f32 v38, v38, v39
	v_cndmask_b32_e32 v38, 0, v38, vcc
	v_cmp_nlt_f32_e32 vcc, s22, v37
	v_min_f32_e32 v21, 0x40e00000, v21
	s_waitcnt vmcnt(2)
	v_max_f32_e32 v16, v16, v16
	v_cndmask_b32_e32 v37, v32, v38, vcc
	v_add_f32_e32 v37, 1.0, v37
	v_rcp_f32_e32 v37, v37
	v_max_f32_e32 v17, v17, v17
	v_med3_f32 v17, v17, s23, v33
	v_med3_f32 v16, v16, s23, v33
	v_pk_mul_f32 v[34:35], v[34:35], v[36:37]
	v_pk_add_f32 v[16:17], v[16:17], 1.0 op_sel_hi:[1,0]
	v_pk_mul_f32 v[34:35], v[26:27], v[34:35]
	v_max_f32_e32 v18, v18, v18
	v_cvt_f16_f32_e32 v27, v34
	v_mul_f32_e32 v34, 0xbfd9db23, v20
	v_cvt_f16_f32_e32 v26, v35
	v_mul_f32_e32 v35, 0x3fb8aa3b, v34
	v_fma_f32 v36, v34, s20, -v35
	v_rndne_f32_e32 v37, v35
	v_fmac_f32_e32 v36, 0x32a5705f, v34
	v_sub_f32_e32 v35, v35, v37
	v_add_f32_e32 v35, v35, v36
	v_exp_f32_e32 v35, v35
	v_cvt_i32_f32_e32 v36, v37
	v_cmp_ngt_f32_e32 vcc, s21, v34
	v_max_f32_e32 v19, v19, v19
	v_med3_f32 v19, v19, s23, v33
	v_ldexp_f32 v35, v35, v36
	v_cndmask_b32_e32 v35, 0, v35, vcc
	v_cmp_nlt_f32_e32 vcc, s22, v34
	v_med3_f32 v18, v18, s23, v33
	v_pk_add_f32 v[18:19], v[18:19], 1.0 op_sel_hi:[1,0]
	v_cndmask_b32_e32 v34, v32, v35, vcc
	v_mul_f32_e32 v35, 0xbfd9db23, v21
	v_mul_f32_e32 v36, 0x3fb8aa3b, v35
	v_fma_f32 v37, v35, s20, -v36
	v_rndne_f32_e32 v38, v36
	v_fmac_f32_e32 v37, 0x32a5705f, v35
	v_sub_f32_e32 v36, v36, v38
	v_add_f32_e32 v36, v36, v37
	v_exp_f32_e32 v36, v36
	v_cvt_i32_f32_e32 v37, v38
	v_cmp_ngt_f32_e32 vcc, s21, v35
	v_add_f32_e32 v34, 1.0, v34
	v_rcp_f32_e32 v34, v34
	v_ldexp_f32 v36, v36, v37
	v_cndmask_b32_e32 v36, 0, v36, vcc
	v_cmp_nlt_f32_e32 vcc, s22, v35
	v_max_f32_e32 v12, v12, v12
	v_min_f32_e32 v12, 0x40e00000, v12
	v_cndmask_b32_e32 v35, v32, v36, vcc
	v_add_f32_e32 v35, 1.0, v35
	v_rcp_f32_e32 v35, v35
	v_max_f32_e32 v13, v13, v13
	v_min_f32_e32 v13, 0x40e00000, v13
	s_waitcnt vmcnt(1)
	v_max_f32_e32 v8, v8, v8
	v_pk_mul_f32 v[20:21], v[20:21], v[34:35]
	v_max_f32_e32 v9, v9, v9
	v_pk_mul_f32 v[20:21], v[16:17], v[20:21]
	v_med3_f32 v9, v9, s23, v33
	v_cvt_f16_f32_e32 v17, v20
	v_max_f32_e32 v20, v23, v23
	v_cvt_f16_f32_e32 v16, v21
	v_min_f32_e32 v21, 0x40e00000, v20
	v_max_f32_e32 v20, v22, v22
	v_min_f32_e32 v20, 0x40e00000, v20
	v_mul_f32_e32 v22, 0xbfd9db23, v20
	v_mul_f32_e32 v23, 0x3fb8aa3b, v22
	v_fma_f32 v34, v22, s20, -v23
	v_rndne_f32_e32 v35, v23
	v_fmac_f32_e32 v34, 0x32a5705f, v22
	v_sub_f32_e32 v23, v23, v35
	v_add_f32_e32 v23, v23, v34
	v_exp_f32_e32 v23, v23
	v_cvt_i32_f32_e32 v34, v35
	v_cmp_ngt_f32_e32 vcc, s21, v22
	v_med3_f32 v8, v8, s23, v33
	v_pk_add_f32 v[8:9], v[8:9], 1.0 op_sel_hi:[1,0]
	v_ldexp_f32 v23, v23, v34
	v_cndmask_b32_e32 v23, 0, v23, vcc
	v_cmp_nlt_f32_e32 vcc, s22, v22
	v_max_f32_e32 v10, v10, v10
	v_max_f32_e32 v11, v11, v11
	v_cndmask_b32_e32 v22, v32, v23, vcc
	v_mul_f32_e32 v23, 0xbfd9db23, v21
	v_mul_f32_e32 v34, 0x3fb8aa3b, v23
	v_fma_f32 v35, v23, s20, -v34
	v_rndne_f32_e32 v36, v34
	v_fmac_f32_e32 v35, 0x32a5705f, v23
	v_sub_f32_e32 v34, v34, v36
	v_add_f32_e32 v34, v34, v35
	v_exp_f32_e32 v34, v34
	v_cvt_i32_f32_e32 v35, v36
	v_cmp_ngt_f32_e32 vcc, s21, v23
	v_add_f32_e32 v22, 1.0, v22
	v_rcp_f32_e32 v22, v22
	v_ldexp_f32 v34, v34, v35
	v_cndmask_b32_e32 v34, 0, v34, vcc
	v_cmp_nlt_f32_e32 vcc, s22, v23
	v_med3_f32 v11, v11, s23, v33
	v_med3_f32 v10, v10, s23, v33
	v_cndmask_b32_e32 v23, v32, v34, vcc
	v_add_f32_e32 v23, 1.0, v23
	v_rcp_f32_e32 v23, v23
	v_pk_add_f32 v[10:11], v[10:11], 1.0 op_sel_hi:[1,0]
	v_max_f32_e32 v4, v4, v4
	v_min_f32_e32 v4, 0x40e00000, v4
	v_pk_mul_f32 v[20:21], v[20:21], v[22:23]
	v_max_f32_e32 v5, v5, v5
	v_pk_mul_f32 v[20:21], v[18:19], v[20:21]
	v_min_f32_e32 v5, 0x40e00000, v5
	v_cvt_f16_f32_e32 v19, v20
	v_mul_f32_e32 v20, 0xbfd9db23, v12
	v_cvt_f16_f32_e32 v18, v21
	v_mul_f32_e32 v21, 0x3fb8aa3b, v20
	v_fma_f32 v22, v20, s20, -v21
	v_rndne_f32_e32 v23, v21
	v_fmac_f32_e32 v22, 0x32a5705f, v20
	v_sub_f32_e32 v21, v21, v23
	v_add_f32_e32 v21, v21, v22
	v_exp_f32_e32 v21, v21
	v_cvt_i32_f32_e32 v22, v23
	v_cmp_ngt_f32_e32 vcc, s21, v20
	s_waitcnt vmcnt(0)
	v_max_f32_e32 v0, v0, v0
	v_max_f32_e32 v1, v1, v1
	v_ldexp_f32 v21, v21, v22
	v_cndmask_b32_e32 v21, 0, v21, vcc
	v_cmp_nlt_f32_e32 vcc, s22, v20
	v_med3_f32 v1, v1, s23, v33
	v_med3_f32 v0, v0, s23, v33
	v_cndmask_b32_e32 v20, v32, v21, vcc
	v_mul_f32_e32 v21, 0xbfd9db23, v13
	v_mul_f32_e32 v22, 0x3fb8aa3b, v21
	v_fma_f32 v23, v21, s20, -v22
	v_rndne_f32_e32 v34, v22
	v_fmac_f32_e32 v23, 0x32a5705f, v21
	v_sub_f32_e32 v22, v22, v34
	v_add_f32_e32 v22, v22, v23
	v_exp_f32_e32 v22, v22
	v_cvt_i32_f32_e32 v23, v34
	v_cmp_ngt_f32_e32 vcc, s21, v21
	v_add_f32_e32 v20, 1.0, v20
	v_rcp_f32_e32 v20, v20
	v_ldexp_f32 v22, v22, v23
	v_cndmask_b32_e32 v22, 0, v22, vcc
	v_cmp_nlt_f32_e32 vcc, s22, v21
	v_pk_add_f32 v[0:1], v[0:1], 1.0 op_sel_hi:[1,0]
	v_max_f32_e32 v2, v2, v2
	v_cndmask_b32_e32 v21, v32, v22, vcc
	v_add_f32_e32 v21, 1.0, v21
	v_rcp_f32_e32 v21, v21
	v_max_f32_e32 v3, v3, v3
	v_med3_f32 v3, v3, s23, v33
	v_med3_f32 v2, v2, s23, v33
	v_pk_mul_f32 v[12:13], v[12:13], v[20:21]
	v_pk_add_f32 v[2:3], v[2:3], 1.0 op_sel_hi:[1,0]
	v_pk_mul_f32 v[12:13], v[8:9], v[12:13]
	s_nop 0
	v_cvt_f16_f32_e32 v9, v12
	v_max_f32_e32 v12, v15, v15
	v_cvt_f16_f32_e32 v8, v13
	v_min_f32_e32 v13, 0x40e00000, v12
	v_max_f32_e32 v12, v14, v14
	v_min_f32_e32 v12, 0x40e00000, v12
	v_mul_f32_e32 v14, 0xbfd9db23, v12
	v_mul_f32_e32 v15, 0x3fb8aa3b, v14
	v_fma_f32 v20, v14, s20, -v15
	v_rndne_f32_e32 v21, v15
	v_fmac_f32_e32 v20, 0x32a5705f, v14
	v_sub_f32_e32 v15, v15, v21
	v_add_f32_e32 v15, v15, v20
	v_exp_f32_e32 v15, v15
	v_cvt_i32_f32_e32 v20, v21
	v_cmp_ngt_f32_e32 vcc, s21, v14
	v_ldexp_f32 v15, v15, v20
	s_nop 0
	v_cndmask_b32_e32 v15, 0, v15, vcc
	v_cmp_nlt_f32_e32 vcc, s22, v14
	s_nop 1
	v_cndmask_b32_e32 v14, v32, v15, vcc
	v_mul_f32_e32 v15, 0xbfd9db23, v13
	v_mul_f32_e32 v20, 0x3fb8aa3b, v15
	v_fma_f32 v21, v15, s20, -v20
	v_rndne_f32_e32 v22, v20
	v_fmac_f32_e32 v21, 0x32a5705f, v15
	v_sub_f32_e32 v20, v20, v22
	v_add_f32_e32 v20, v20, v21
	v_exp_f32_e32 v20, v20
	v_cvt_i32_f32_e32 v21, v22
	v_cmp_ngt_f32_e32 vcc, s21, v15
	v_add_f32_e32 v14, 1.0, v14
	v_rcp_f32_e32 v14, v14
	v_ldexp_f32 v20, v20, v21
	v_cndmask_b32_e32 v20, 0, v20, vcc
	v_cmp_nlt_f32_e32 vcc, s22, v15
	s_nop 1
	v_cndmask_b32_e32 v15, v32, v20, vcc
	v_add_f32_e32 v15, 1.0, v15
	v_rcp_f32_e32 v15, v15
	s_nop 0
	v_pk_mul_f32 v[12:13], v[12:13], v[14:15]
	s_nop 0
	v_pk_mul_f32 v[12:13], v[10:11], v[12:13]
	s_nop 0
	v_cvt_f16_f32_e32 v11, v12
	v_mul_f32_e32 v12, 0xbfd9db23, v4
	v_cvt_f16_f32_e32 v10, v13
	v_mul_f32_e32 v13, 0x3fb8aa3b, v12
	v_fma_f32 v14, v12, s20, -v13
	v_rndne_f32_e32 v15, v13
	v_fmac_f32_e32 v14, 0x32a5705f, v12
	v_sub_f32_e32 v13, v13, v15
	v_add_f32_e32 v13, v13, v14
	v_exp_f32_e32 v13, v13
	v_cvt_i32_f32_e32 v14, v15
	v_cmp_ngt_f32_e32 vcc, s21, v12
	v_ldexp_f32 v13, v13, v14
	s_nop 0
	v_cndmask_b32_e32 v13, 0, v13, vcc
	v_cmp_nlt_f32_e32 vcc, s22, v12
	s_nop 1
	v_cndmask_b32_e32 v12, v32, v13, vcc
	v_mul_f32_e32 v13, 0xbfd9db23, v5
	v_mul_f32_e32 v14, 0x3fb8aa3b, v13
	v_fma_f32 v15, v13, s20, -v14
	v_rndne_f32_e32 v20, v14
	v_fmac_f32_e32 v15, 0x32a5705f, v13
	v_sub_f32_e32 v14, v14, v20
	v_add_f32_e32 v14, v14, v15
	v_exp_f32_e32 v14, v14
	v_cvt_i32_f32_e32 v15, v20
	v_cmp_ngt_f32_e32 vcc, s21, v13
	v_add_f32_e32 v12, 1.0, v12
	v_rcp_f32_e32 v12, v12
	v_ldexp_f32 v14, v14, v15
	v_cndmask_b32_e32 v14, 0, v14, vcc
	v_cmp_nlt_f32_e32 vcc, s22, v13
	s_nop 1
	v_cndmask_b32_e32 v13, v32, v14, vcc
	v_add_f32_e32 v13, 1.0, v13
	v_rcp_f32_e32 v13, v13
	s_nop 0
	v_pk_mul_f32 v[4:5], v[4:5], v[12:13]
	s_nop 0
	v_pk_mul_f32 v[0:1], v[0:1], v[4:5]
	s_nop 0
	v_cvt_f16_f32_e32 v13, v0
	v_max_f32_e32 v0, v7, v7
	v_cvt_f16_f32_e32 v12, v1
	v_min_f32_e32 v1, 0x40e00000, v0
	v_max_f32_e32 v0, v6, v6
	v_min_f32_e32 v0, 0x40e00000, v0
	v_mul_f32_e32 v4, 0xbfd9db23, v0
	v_mul_f32_e32 v5, 0x3fb8aa3b, v4
	v_fma_f32 v6, v4, s20, -v5
	v_rndne_f32_e32 v7, v5
	v_fmac_f32_e32 v6, 0x32a5705f, v4
	v_sub_f32_e32 v5, v5, v7
	v_add_f32_e32 v5, v5, v6
	v_exp_f32_e32 v5, v5
	v_cvt_i32_f32_e32 v6, v7
	v_cmp_ngt_f32_e32 vcc, s21, v4
	v_ldexp_f32 v5, v5, v6
	s_nop 0
	v_cndmask_b32_e32 v5, 0, v5, vcc
	v_cmp_nlt_f32_e32 vcc, s22, v4
	s_nop 1
	v_cndmask_b32_e32 v4, v32, v5, vcc
	v_mul_f32_e32 v5, 0xbfd9db23, v1
	v_mul_f32_e32 v6, 0x3fb8aa3b, v5
	v_fma_f32 v7, v5, s20, -v6
	v_rndne_f32_e32 v14, v6
	v_fmac_f32_e32 v7, 0x32a5705f, v5
	v_sub_f32_e32 v6, v6, v14
	v_add_f32_e32 v6, v6, v7
	v_exp_f32_e32 v6, v6
	v_cvt_i32_f32_e32 v7, v14
	v_cmp_ngt_f32_e32 vcc, s21, v5
	v_add_f32_e32 v4, 1.0, v4
	v_rcp_f32_e32 v4, v4
	v_ldexp_f32 v6, v6, v7
	v_cndmask_b32_e32 v6, 0, v6, vcc
	v_cmp_nlt_f32_e32 vcc, s22, v5
	s_nop 1
	v_cndmask_b32_e32 v5, v32, v6, vcc
	v_add_f32_e32 v5, 1.0, v5
	v_rcp_f32_e32 v5, v5
	v_cmp_le_i64_e32 vcc, s[12:13], v[28:29]
	s_or_b64 s[16:17], vcc, s[16:17]
	v_pk_mul_f32 v[0:1], v[0:1], v[4:5]
	s_nop 0
	v_pk_mul_f32 v[0:1], v[2:3], v[0:1]
	v_pack_b32_f16 v3, v19, v18
	v_cvt_f16_f32_e32 v4, v1
	v_cvt_f16_f32_e32 v5, v0
	v_pack_b32_f16 v2, v17, v16
	v_pack_b32_f16 v1, v27, v26
	;; [unrolled: 1-line block ×3, first 2 shown]
	buffer_store_dwordx4 v[0:3], v30, s[8:11], 0 offen
	s_nop 1
	v_pack_b32_f16 v3, v5, v4
	v_pack_b32_f16 v2, v13, v12
	;; [unrolled: 1-line block ×4, first 2 shown]
	buffer_store_dwordx4 v[0:3], v30, s[8:11], 16 offen
	v_add_u32_e32 v30, s18, v30
	s_andn2_b64 exec, exec, s[16:17]
	s_cbranch_execnz .LBB60_2
.LBB60_3:
	s_endpgm
	.section	.rodata,"a",@progbits
	.p2align	6, 0x0
	.amdhsa_kernel _ZN5aiter25swiglu_act_and_mul_kernelIfDF16_Li16EEEvPT0_PKT_i
		.amdhsa_group_segment_fixed_size 0
		.amdhsa_private_segment_fixed_size 0
		.amdhsa_kernarg_size 280
		.amdhsa_user_sgpr_count 2
		.amdhsa_user_sgpr_dispatch_ptr 0
		.amdhsa_user_sgpr_queue_ptr 0
		.amdhsa_user_sgpr_kernarg_segment_ptr 1
		.amdhsa_user_sgpr_dispatch_id 0
		.amdhsa_user_sgpr_kernarg_preload_length 0
		.amdhsa_user_sgpr_kernarg_preload_offset 0
		.amdhsa_user_sgpr_private_segment_size 0
		.amdhsa_uses_dynamic_stack 0
		.amdhsa_enable_private_segment 0
		.amdhsa_system_sgpr_workgroup_id_x 1
		.amdhsa_system_sgpr_workgroup_id_y 0
		.amdhsa_system_sgpr_workgroup_id_z 0
		.amdhsa_system_sgpr_workgroup_info 0
		.amdhsa_system_vgpr_workitem_id 0
		.amdhsa_next_free_vgpr 43
		.amdhsa_next_free_sgpr 24
		.amdhsa_accum_offset 44
		.amdhsa_reserve_vcc 1
		.amdhsa_float_round_mode_32 0
		.amdhsa_float_round_mode_16_64 0
		.amdhsa_float_denorm_mode_32 3
		.amdhsa_float_denorm_mode_16_64 3
		.amdhsa_dx10_clamp 1
		.amdhsa_ieee_mode 1
		.amdhsa_fp16_overflow 0
		.amdhsa_tg_split 0
		.amdhsa_exception_fp_ieee_invalid_op 0
		.amdhsa_exception_fp_denorm_src 0
		.amdhsa_exception_fp_ieee_div_zero 0
		.amdhsa_exception_fp_ieee_overflow 0
		.amdhsa_exception_fp_ieee_underflow 0
		.amdhsa_exception_fp_ieee_inexact 0
		.amdhsa_exception_int_div_zero 0
	.end_amdhsa_kernel
	.section	.text._ZN5aiter25swiglu_act_and_mul_kernelIfDF16_Li16EEEvPT0_PKT_i,"axG",@progbits,_ZN5aiter25swiglu_act_and_mul_kernelIfDF16_Li16EEEvPT0_PKT_i,comdat
.Lfunc_end60:
	.size	_ZN5aiter25swiglu_act_and_mul_kernelIfDF16_Li16EEEvPT0_PKT_i, .Lfunc_end60-_ZN5aiter25swiglu_act_and_mul_kernelIfDF16_Li16EEEvPT0_PKT_i
                                        ; -- End function
	.section	.AMDGPU.csdata,"",@progbits
; Kernel info:
; codeLenInByte = 2516
; NumSgprs: 30
; NumVgprs: 43
; NumAgprs: 0
; TotalNumVgprs: 43
; ScratchSize: 0
; MemoryBound: 0
; FloatMode: 240
; IeeeMode: 1
; LDSByteSize: 0 bytes/workgroup (compile time only)
; SGPRBlocks: 3
; VGPRBlocks: 5
; NumSGPRsForWavesPerEU: 30
; NumVGPRsForWavesPerEU: 43
; AccumOffset: 44
; Occupancy: 8
; WaveLimiterHint : 0
; COMPUTE_PGM_RSRC2:SCRATCH_EN: 0
; COMPUTE_PGM_RSRC2:USER_SGPR: 2
; COMPUTE_PGM_RSRC2:TRAP_HANDLER: 0
; COMPUTE_PGM_RSRC2:TGID_X_EN: 1
; COMPUTE_PGM_RSRC2:TGID_Y_EN: 0
; COMPUTE_PGM_RSRC2:TGID_Z_EN: 0
; COMPUTE_PGM_RSRC2:TIDIG_COMP_CNT: 0
; COMPUTE_PGM_RSRC3_GFX90A:ACCUM_OFFSET: 10
; COMPUTE_PGM_RSRC3_GFX90A:TG_SPLIT: 0
	.section	.text._ZN5aiter25swiglu_act_and_mul_kernelIfDF16_Li8EEEvPT0_PKT_i,"axG",@progbits,_ZN5aiter25swiglu_act_and_mul_kernelIfDF16_Li8EEEvPT0_PKT_i,comdat
	.protected	_ZN5aiter25swiglu_act_and_mul_kernelIfDF16_Li8EEEvPT0_PKT_i ; -- Begin function _ZN5aiter25swiglu_act_and_mul_kernelIfDF16_Li8EEEvPT0_PKT_i
	.globl	_ZN5aiter25swiglu_act_and_mul_kernelIfDF16_Li8EEEvPT0_PKT_i
	.p2align	8
	.type	_ZN5aiter25swiglu_act_and_mul_kernelIfDF16_Li8EEEvPT0_PKT_i,@function
_ZN5aiter25swiglu_act_and_mul_kernelIfDF16_Li8EEEvPT0_PKT_i: ; @_ZN5aiter25swiglu_act_and_mul_kernelIfDF16_Li8EEEvPT0_PKT_i
; %bb.0:
	s_load_dword s14, s[0:1], 0x10
	v_lshlrev_b32_e32 v16, 3, v0
	s_waitcnt lgkmcnt(0)
	v_cmp_gt_i32_e32 vcc, s14, v16
	s_and_saveexec_b64 s[4:5], vcc
	s_cbranch_execz .LBB61_3
; %bb.1:
	s_ashr_i32 s15, s14, 31
	s_mul_hi_u32 s3, s14, s2
	s_mul_i32 s4, s15, s2
	s_add_i32 s3, s3, s4
	s_load_dwordx4 s[4:7], s[0:1], 0x0
	s_load_dword s10, s[0:1], 0x24
	s_mul_i32 s2, s14, s2
	s_lshl_b64 s[8:9], s[2:3], 1
	s_lshl_b64 s[2:3], s[2:3], 3
	s_waitcnt lgkmcnt(0)
	s_add_u32 s16, s6, s2
	s_addc_u32 s2, s7, s3
	s_lshl_b64 s[0:1], s[14:15], 2
	s_add_u32 s20, s16, s0
	s_addc_u32 s0, s2, s1
	s_lshl_b32 s18, s14, 2
	s_and_b32 s17, s2, 0xffff
	s_and_b32 s21, s0, 0xffff
	s_add_u32 s24, s4, s8
	s_addc_u32 s0, s5, s9
	s_add_i32 s1, s14, 1
	s_lshr_b32 s2, s1, 31
	s_add_i32 s1, s1, s2
	s_mov_b32 s19, 0x20000
	s_lshl_b32 s1, s1, 1
	s_and_b32 s25, s0, 0xffff
	s_and_b32 s0, s10, 0xffff
	s_and_b32 s26, s1, -4
	s_mov_b32 s27, s19
	s_mov_b32 s29, 0
	v_mov_b32_e32 v17, 0
	s_lshl_b32 s28, s0, 3
	v_lshlrev_b32_e32 v18, 4, v0
	s_lshl_b32 s33, s0, 4
	v_lshlrev_b32_e32 v19, 5, v0
	s_lshl_b32 s34, s0, 5
	s_mov_b64 s[30:31], 0
	s_mov_b32 s35, 0x3fb8aa3b
	s_mov_b32 s36, 0xc2ce8ed0
	;; [unrolled: 1-line block ×3, first 2 shown]
	v_mov_b32_e32 v20, 0x7f800000
	s_mov_b32 s38, 0xc0e00000
	v_mov_b32_e32 v21, 0x40e00000
	s_mov_b32 s22, s18
	s_mov_b32 s23, s19
.LBB61_2:                               ; =>This Inner Loop Header: Depth=1
	buffer_load_dwordx4 v[8:11], v19, s[16:19], 0 offen
	buffer_load_dwordx4 v[12:15], v19, s[20:23], 0 offen
	buffer_load_dwordx4 v[4:7], v19, s[16:19], 16 offen
	buffer_load_dwordx4 v[0:3], v19, s[20:23], 16 offen
	v_lshl_add_u64 v[16:17], s[28:29], 0, v[16:17]
	v_cmp_le_i64_e32 vcc, s[14:15], v[16:17]
	s_or_b64 s[30:31], vcc, s[30:31]
	v_add_u32_e32 v19, s34, v19
	s_waitcnt vmcnt(3)
	v_max_f32_e32 v9, v9, v9
	v_max_f32_e32 v8, v8, v8
	;; [unrolled: 1-line block ×4, first 2 shown]
	s_waitcnt vmcnt(1)
	v_max_f32_e32 v5, v5, v5
	v_max_f32_e32 v4, v4, v4
	;; [unrolled: 1-line block ×8, first 2 shown]
	s_waitcnt vmcnt(0)
	v_max_f32_e32 v22, v0, v0
	v_max_f32_e32 v23, v1, v1
	;; [unrolled: 1-line block ×4, first 2 shown]
	v_min_f32_e32 v1, 0x40e00000, v9
	v_min_f32_e32 v0, 0x40e00000, v8
	;; [unrolled: 1-line block ×8, first 2 shown]
	v_med3_f32 v9, v13, s38, v21
	v_med3_f32 v8, v12, s38, v21
	;; [unrolled: 1-line block ×8, first 2 shown]
	v_mul_f32_e32 v22, 0xbfd9db23, v0
	v_mul_f32_e32 v23, 0xbfd9db23, v1
	;; [unrolled: 1-line block ×16, first 2 shown]
	v_fma_f32 v38, v22, s35, -v30
	v_rndne_f32_e32 v39, v30
	v_fma_f32 v40, v23, s35, -v31
	v_rndne_f32_e32 v41, v31
	;; [unrolled: 2-line block ×8, first 2 shown]
	v_fmac_f32_e32 v38, 0x32a5705f, v22
	v_sub_f32_e32 v30, v30, v39
	v_fmac_f32_e32 v40, 0x32a5705f, v23
	v_sub_f32_e32 v31, v31, v41
	;; [unrolled: 2-line block ×8, first 2 shown]
	v_add_f32_e32 v30, v30, v38
	v_add_f32_e32 v31, v31, v40
	;; [unrolled: 1-line block ×8, first 2 shown]
	v_cvt_i32_f32_e32 v39, v39
	v_cvt_i32_f32_e32 v41, v41
	;; [unrolled: 1-line block ×8, first 2 shown]
	v_exp_f32_e32 v30, v30
	v_exp_f32_e32 v31, v31
	v_exp_f32_e32 v32, v32
	v_exp_f32_e32 v33, v33
	v_exp_f32_e32 v34, v34
	v_exp_f32_e32 v35, v35
	v_exp_f32_e32 v36, v36
	v_exp_f32_e32 v37, v37
	v_ldexp_f32 v30, v30, v39
	v_ldexp_f32 v31, v31, v41
	v_cmp_ngt_f32_e32 vcc, s36, v23
	v_ldexp_f32 v32, v32, v43
	v_cmp_ngt_f32_e64 s[0:1], s36, v24
	v_ldexp_f32 v33, v33, v45
	v_cmp_ngt_f32_e64 s[2:3], s36, v25
	;; [unrolled: 2-line block ×6, first 2 shown]
	v_cmp_ngt_f32_e64 s[12:13], s36, v22
	v_cndmask_b32_e32 v31, 0, v31, vcc
	v_cmp_nlt_f32_e32 vcc, s37, v23
	v_cndmask_b32_e64 v30, 0, v30, s[12:13]
	v_cndmask_b32_e64 v23, 0, v32, s[0:1]
	v_cmp_nlt_f32_e64 s[0:1], s37, v24
	v_cndmask_b32_e64 v24, 0, v33, s[2:3]
	v_cmp_nlt_f32_e64 s[2:3], s37, v25
	v_cndmask_b32_e64 v25, 0, v34, s[4:5]
	v_cmp_nlt_f32_e64 s[4:5], s37, v26
	v_cndmask_b32_e64 v26, 0, v35, s[6:7]
	v_cmp_nlt_f32_e64 s[6:7], s37, v27
	v_cndmask_b32_e64 v27, 0, v36, s[8:9]
	v_cmp_nlt_f32_e64 s[8:9], s37, v28
	v_cndmask_b32_e64 v28, 0, v37, s[10:11]
	v_cmp_nlt_f32_e64 s[10:11], s37, v29
	v_cmp_nlt_f32_e64 s[12:13], s37, v22
	v_cndmask_b32_e32 v29, v20, v31, vcc
	v_cndmask_b32_e64 v23, v20, v23, s[0:1]
	v_cndmask_b32_e64 v22, v20, v30, s[12:13]
	;; [unrolled: 1-line block ×7, first 2 shown]
	v_add_f32_e32 v22, 1.0, v22
	v_add_f32_e32 v29, 1.0, v29
	v_add_f32_e32 v30, 1.0, v23
	v_add_f32_e32 v31, 1.0, v24
	v_add_f32_e32 v32, 1.0, v25
	v_add_f32_e32 v33, 1.0, v26
	v_add_f32_e32 v34, 1.0, v27
	v_add_f32_e32 v35, 1.0, v28
	v_rcp_f32_e32 v22, v22
	v_rcp_f32_e32 v23, v29
	;; [unrolled: 1-line block ×8, first 2 shown]
	v_pk_add_f32 v[8:9], v[8:9], 1.0 op_sel_hi:[1,0]
	v_pk_add_f32 v[10:11], v[10:11], 1.0 op_sel_hi:[1,0]
	;; [unrolled: 1-line block ×4, first 2 shown]
	v_pk_mul_f32 v[0:1], v[0:1], v[22:23]
	v_pk_mul_f32 v[2:3], v[2:3], v[24:25]
	;; [unrolled: 1-line block ×8, first 2 shown]
	v_cvt_f16_f32_e32 v8, v1
	v_cvt_f16_f32_e32 v1, v3
	;; [unrolled: 1-line block ×8, first 2 shown]
	v_pack_b32_f16 v3, v6, v3
	v_pack_b32_f16 v2, v4, v5
	;; [unrolled: 1-line block ×4, first 2 shown]
	buffer_store_dwordx4 v[0:3], v18, s[24:27], 0 offen
	v_add_u32_e32 v18, s33, v18
	s_andn2_b64 exec, exec, s[30:31]
	s_cbranch_execnz .LBB61_2
.LBB61_3:
	s_endpgm
	.section	.rodata,"a",@progbits
	.p2align	6, 0x0
	.amdhsa_kernel _ZN5aiter25swiglu_act_and_mul_kernelIfDF16_Li8EEEvPT0_PKT_i
		.amdhsa_group_segment_fixed_size 0
		.amdhsa_private_segment_fixed_size 0
		.amdhsa_kernarg_size 280
		.amdhsa_user_sgpr_count 2
		.amdhsa_user_sgpr_dispatch_ptr 0
		.amdhsa_user_sgpr_queue_ptr 0
		.amdhsa_user_sgpr_kernarg_segment_ptr 1
		.amdhsa_user_sgpr_dispatch_id 0
		.amdhsa_user_sgpr_kernarg_preload_length 0
		.amdhsa_user_sgpr_kernarg_preload_offset 0
		.amdhsa_user_sgpr_private_segment_size 0
		.amdhsa_uses_dynamic_stack 0
		.amdhsa_enable_private_segment 0
		.amdhsa_system_sgpr_workgroup_id_x 1
		.amdhsa_system_sgpr_workgroup_id_y 0
		.amdhsa_system_sgpr_workgroup_id_z 0
		.amdhsa_system_sgpr_workgroup_info 0
		.amdhsa_system_vgpr_workitem_id 0
		.amdhsa_next_free_vgpr 54
		.amdhsa_next_free_sgpr 39
		.amdhsa_accum_offset 56
		.amdhsa_reserve_vcc 1
		.amdhsa_float_round_mode_32 0
		.amdhsa_float_round_mode_16_64 0
		.amdhsa_float_denorm_mode_32 3
		.amdhsa_float_denorm_mode_16_64 3
		.amdhsa_dx10_clamp 1
		.amdhsa_ieee_mode 1
		.amdhsa_fp16_overflow 0
		.amdhsa_tg_split 0
		.amdhsa_exception_fp_ieee_invalid_op 0
		.amdhsa_exception_fp_denorm_src 0
		.amdhsa_exception_fp_ieee_div_zero 0
		.amdhsa_exception_fp_ieee_overflow 0
		.amdhsa_exception_fp_ieee_underflow 0
		.amdhsa_exception_fp_ieee_inexact 0
		.amdhsa_exception_int_div_zero 0
	.end_amdhsa_kernel
	.section	.text._ZN5aiter25swiglu_act_and_mul_kernelIfDF16_Li8EEEvPT0_PKT_i,"axG",@progbits,_ZN5aiter25swiglu_act_and_mul_kernelIfDF16_Li8EEEvPT0_PKT_i,comdat
.Lfunc_end61:
	.size	_ZN5aiter25swiglu_act_and_mul_kernelIfDF16_Li8EEEvPT0_PKT_i, .Lfunc_end61-_ZN5aiter25swiglu_act_and_mul_kernelIfDF16_Li8EEEvPT0_PKT_i
                                        ; -- End function
	.section	.AMDGPU.csdata,"",@progbits
; Kernel info:
; codeLenInByte = 1484
; NumSgprs: 45
; NumVgprs: 54
; NumAgprs: 0
; TotalNumVgprs: 54
; ScratchSize: 0
; MemoryBound: 0
; FloatMode: 240
; IeeeMode: 1
; LDSByteSize: 0 bytes/workgroup (compile time only)
; SGPRBlocks: 5
; VGPRBlocks: 6
; NumSGPRsForWavesPerEU: 45
; NumVGPRsForWavesPerEU: 54
; AccumOffset: 56
; Occupancy: 8
; WaveLimiterHint : 0
; COMPUTE_PGM_RSRC2:SCRATCH_EN: 0
; COMPUTE_PGM_RSRC2:USER_SGPR: 2
; COMPUTE_PGM_RSRC2:TRAP_HANDLER: 0
; COMPUTE_PGM_RSRC2:TGID_X_EN: 1
; COMPUTE_PGM_RSRC2:TGID_Y_EN: 0
; COMPUTE_PGM_RSRC2:TGID_Z_EN: 0
; COMPUTE_PGM_RSRC2:TIDIG_COMP_CNT: 0
; COMPUTE_PGM_RSRC3_GFX90A:ACCUM_OFFSET: 13
; COMPUTE_PGM_RSRC3_GFX90A:TG_SPLIT: 0
	.section	.text._ZN5aiter25swiglu_act_and_mul_kernelIfDF16_Li4EEEvPT0_PKT_i,"axG",@progbits,_ZN5aiter25swiglu_act_and_mul_kernelIfDF16_Li4EEEvPT0_PKT_i,comdat
	.protected	_ZN5aiter25swiglu_act_and_mul_kernelIfDF16_Li4EEEvPT0_PKT_i ; -- Begin function _ZN5aiter25swiglu_act_and_mul_kernelIfDF16_Li4EEEvPT0_PKT_i
	.globl	_ZN5aiter25swiglu_act_and_mul_kernelIfDF16_Li4EEEvPT0_PKT_i
	.p2align	8
	.type	_ZN5aiter25swiglu_act_and_mul_kernelIfDF16_Li4EEEvPT0_PKT_i,@function
_ZN5aiter25swiglu_act_and_mul_kernelIfDF16_Li4EEEvPT0_PKT_i: ; @_ZN5aiter25swiglu_act_and_mul_kernelIfDF16_Li4EEEvPT0_PKT_i
; %bb.0:
	s_load_dword s20, s[0:1], 0x10
	v_lshlrev_b32_e32 v2, 2, v0
	s_waitcnt lgkmcnt(0)
	v_cmp_gt_i32_e32 vcc, s20, v2
	s_and_saveexec_b64 s[4:5], vcc
	s_cbranch_execz .LBB62_3
; %bb.1:
	s_ashr_i32 s21, s20, 31
	s_mul_hi_u32 s3, s20, s2
	s_mul_i32 s4, s21, s2
	s_add_i32 s3, s3, s4
	s_load_dwordx4 s[4:7], s[0:1], 0x0
	s_load_dword s22, s[0:1], 0x24
	s_mul_i32 s2, s20, s2
	s_lshl_b64 s[14:15], s[2:3], 1
	s_lshl_b64 s[2:3], s[2:3], 3
	s_waitcnt lgkmcnt(0)
	s_add_u32 s8, s6, s2
	s_addc_u32 s2, s7, s3
	s_lshl_b64 s[0:1], s[20:21], 2
	s_add_u32 s12, s8, s0
	s_addc_u32 s0, s2, s1
	s_lshl_b32 s10, s20, 2
	s_and_b32 s9, s2, 0xffff
	s_and_b32 s13, s0, 0xffff
	s_add_u32 s16, s4, s14
	s_addc_u32 s0, s5, s15
	s_add_i32 s1, s20, 1
	s_lshr_b32 s2, s1, 31
	s_add_i32 s1, s1, s2
	s_mov_b32 s11, 0x20000
	s_lshl_b32 s1, s1, 1
	s_and_b32 s17, s0, 0xffff
	s_and_b32 s0, s22, 0xffff
	s_and_b32 s18, s1, -4
	s_mov_b32 s19, s11
	s_mov_b32 s23, 0
	v_mov_b32_e32 v3, 0
	s_lshl_b32 s22, s0, 2
	v_lshlrev_b32_e32 v1, 3, v0
	s_lshl_b32 s26, s0, 3
	v_lshlrev_b32_e32 v0, 4, v0
	s_lshl_b32 s27, s0, 4
	s_mov_b64 s[24:25], 0
	s_mov_b32 s28, 0x3fb8aa3b
	s_mov_b32 s29, 0xc2ce8ed0
	;; [unrolled: 1-line block ×3, first 2 shown]
	v_mov_b32_e32 v4, 0x7f800000
	s_mov_b32 s31, 0xc0e00000
	v_mov_b32_e32 v5, 0x40e00000
	s_mov_b32 s14, s10
	s_mov_b32 s15, s11
.LBB62_2:                               ; =>This Inner Loop Header: Depth=1
	buffer_load_dwordx4 v[6:9], v0, s[8:11], 0 offen
	buffer_load_dwordx4 v[10:13], v0, s[12:15], 0 offen
	v_lshl_add_u64 v[2:3], s[22:23], 0, v[2:3]
	v_cmp_le_i64_e32 vcc, s[20:21], v[2:3]
	v_add_u32_e32 v0, s27, v0
	s_or_b64 s[24:25], vcc, s[24:25]
	s_waitcnt vmcnt(1)
	v_max_f32_e32 v7, v7, v7
	v_max_f32_e32 v6, v6, v6
	s_waitcnt vmcnt(0)
	v_max_f32_e32 v10, v10, v10
	v_max_f32_e32 v11, v11, v11
	;; [unrolled: 1-line block ×4, first 2 shown]
	v_min_f32_e32 v7, 0x40e00000, v7
	v_min_f32_e32 v6, 0x40e00000, v6
	v_med3_f32 v9, v11, s31, v5
	v_med3_f32 v8, v10, s31, v5
	v_min_f32_e32 v11, 0x40e00000, v14
	v_min_f32_e32 v10, 0x40e00000, v15
	v_mul_f32_e32 v14, 0xbfd9db23, v6
	v_mul_f32_e32 v15, 0xbfd9db23, v7
	;; [unrolled: 1-line block ×8, first 2 shown]
	v_fma_f32 v22, v14, s28, -v18
	v_rndne_f32_e32 v23, v18
	v_fma_f32 v24, v15, s28, -v19
	v_rndne_f32_e32 v25, v19
	;; [unrolled: 2-line block ×4, first 2 shown]
	v_fmac_f32_e32 v22, 0x32a5705f, v14
	v_sub_f32_e32 v18, v18, v23
	v_fmac_f32_e32 v24, 0x32a5705f, v15
	v_sub_f32_e32 v19, v19, v25
	;; [unrolled: 2-line block ×4, first 2 shown]
	v_add_f32_e32 v18, v18, v22
	v_add_f32_e32 v19, v19, v24
	;; [unrolled: 1-line block ×4, first 2 shown]
	v_cvt_i32_f32_e32 v23, v23
	v_cvt_i32_f32_e32 v25, v25
	;; [unrolled: 1-line block ×4, first 2 shown]
	v_exp_f32_e32 v18, v18
	v_exp_f32_e32 v19, v19
	;; [unrolled: 1-line block ×4, first 2 shown]
	v_ldexp_f32 v18, v18, v23
	v_ldexp_f32 v19, v19, v25
	v_cmp_ngt_f32_e64 s[0:1], s29, v15
	v_ldexp_f32 v20, v20, v27
	v_cmp_ngt_f32_e64 s[2:3], s29, v16
	;; [unrolled: 2-line block ×3, first 2 shown]
	v_cmp_ngt_f32_e64 s[6:7], s29, v14
	v_cndmask_b32_e64 v19, 0, v19, s[0:1]
	v_cmp_nlt_f32_e64 s[0:1], s30, v15
	v_cndmask_b32_e64 v18, 0, v18, s[6:7]
	v_cndmask_b32_e64 v15, 0, v20, s[2:3]
	v_cmp_nlt_f32_e64 s[2:3], s30, v16
	v_cndmask_b32_e64 v16, 0, v21, s[4:5]
	v_cmp_nlt_f32_e64 s[4:5], s30, v17
	v_cmp_nlt_f32_e64 s[6:7], s30, v14
	v_cndmask_b32_e64 v17, v4, v19, s[0:1]
	v_cndmask_b32_e64 v15, v4, v15, s[2:3]
	;; [unrolled: 1-line block ×4, first 2 shown]
	v_add_f32_e32 v14, 1.0, v14
	v_add_f32_e32 v17, 1.0, v17
	;; [unrolled: 1-line block ×4, first 2 shown]
	v_rcp_f32_e32 v14, v14
	v_rcp_f32_e32 v15, v17
	;; [unrolled: 1-line block ×4, first 2 shown]
	v_max_f32_e32 v12, v12, v12
	v_max_f32_e32 v13, v13, v13
	v_med3_f32 v13, v13, s31, v5
	v_med3_f32 v12, v12, s31, v5
	v_pk_add_f32 v[8:9], v[8:9], 1.0 op_sel_hi:[1,0]
	v_pk_add_f32 v[12:13], v[12:13], 1.0 op_sel_hi:[1,0]
	v_pk_mul_f32 v[6:7], v[6:7], v[14:15]
	v_pk_mul_f32 v[10:11], v[10:11], v[16:17]
	;; [unrolled: 1-line block ×4, first 2 shown]
	v_cvt_f16_f32_e32 v10, v7
	v_cvt_f16_f32_e32 v7, v9
	;; [unrolled: 1-line block ×4, first 2 shown]
	v_pack_b32_f16 v7, v8, v7
	v_pack_b32_f16 v6, v6, v10
	buffer_store_dwordx2 v[6:7], v1, s[16:19], 0 offen
	v_add_u32_e32 v1, s26, v1
	s_andn2_b64 exec, exec, s[24:25]
	s_cbranch_execnz .LBB62_2
.LBB62_3:
	s_endpgm
	.section	.rodata,"a",@progbits
	.p2align	6, 0x0
	.amdhsa_kernel _ZN5aiter25swiglu_act_and_mul_kernelIfDF16_Li4EEEvPT0_PKT_i
		.amdhsa_group_segment_fixed_size 0
		.amdhsa_private_segment_fixed_size 0
		.amdhsa_kernarg_size 280
		.amdhsa_user_sgpr_count 2
		.amdhsa_user_sgpr_dispatch_ptr 0
		.amdhsa_user_sgpr_queue_ptr 0
		.amdhsa_user_sgpr_kernarg_segment_ptr 1
		.amdhsa_user_sgpr_dispatch_id 0
		.amdhsa_user_sgpr_kernarg_preload_length 0
		.amdhsa_user_sgpr_kernarg_preload_offset 0
		.amdhsa_user_sgpr_private_segment_size 0
		.amdhsa_uses_dynamic_stack 0
		.amdhsa_enable_private_segment 0
		.amdhsa_system_sgpr_workgroup_id_x 1
		.amdhsa_system_sgpr_workgroup_id_y 0
		.amdhsa_system_sgpr_workgroup_id_z 0
		.amdhsa_system_sgpr_workgroup_info 0
		.amdhsa_system_vgpr_workitem_id 0
		.amdhsa_next_free_vgpr 30
		.amdhsa_next_free_sgpr 32
		.amdhsa_accum_offset 32
		.amdhsa_reserve_vcc 1
		.amdhsa_float_round_mode_32 0
		.amdhsa_float_round_mode_16_64 0
		.amdhsa_float_denorm_mode_32 3
		.amdhsa_float_denorm_mode_16_64 3
		.amdhsa_dx10_clamp 1
		.amdhsa_ieee_mode 1
		.amdhsa_fp16_overflow 0
		.amdhsa_tg_split 0
		.amdhsa_exception_fp_ieee_invalid_op 0
		.amdhsa_exception_fp_denorm_src 0
		.amdhsa_exception_fp_ieee_div_zero 0
		.amdhsa_exception_fp_ieee_overflow 0
		.amdhsa_exception_fp_ieee_underflow 0
		.amdhsa_exception_fp_ieee_inexact 0
		.amdhsa_exception_int_div_zero 0
	.end_amdhsa_kernel
	.section	.text._ZN5aiter25swiglu_act_and_mul_kernelIfDF16_Li4EEEvPT0_PKT_i,"axG",@progbits,_ZN5aiter25swiglu_act_and_mul_kernelIfDF16_Li4EEEvPT0_PKT_i,comdat
.Lfunc_end62:
	.size	_ZN5aiter25swiglu_act_and_mul_kernelIfDF16_Li4EEEvPT0_PKT_i, .Lfunc_end62-_ZN5aiter25swiglu_act_and_mul_kernelIfDF16_Li4EEEvPT0_PKT_i
                                        ; -- End function
	.section	.AMDGPU.csdata,"",@progbits
; Kernel info:
; codeLenInByte = 904
; NumSgprs: 38
; NumVgprs: 30
; NumAgprs: 0
; TotalNumVgprs: 30
; ScratchSize: 0
; MemoryBound: 0
; FloatMode: 240
; IeeeMode: 1
; LDSByteSize: 0 bytes/workgroup (compile time only)
; SGPRBlocks: 4
; VGPRBlocks: 3
; NumSGPRsForWavesPerEU: 38
; NumVGPRsForWavesPerEU: 30
; AccumOffset: 32
; Occupancy: 8
; WaveLimiterHint : 0
; COMPUTE_PGM_RSRC2:SCRATCH_EN: 0
; COMPUTE_PGM_RSRC2:USER_SGPR: 2
; COMPUTE_PGM_RSRC2:TRAP_HANDLER: 0
; COMPUTE_PGM_RSRC2:TGID_X_EN: 1
; COMPUTE_PGM_RSRC2:TGID_Y_EN: 0
; COMPUTE_PGM_RSRC2:TGID_Z_EN: 0
; COMPUTE_PGM_RSRC2:TIDIG_COMP_CNT: 0
; COMPUTE_PGM_RSRC3_GFX90A:ACCUM_OFFSET: 7
; COMPUTE_PGM_RSRC3_GFX90A:TG_SPLIT: 0
	.section	.text._ZN5aiter25swiglu_act_and_mul_kernelIfDF16_Li2EEEvPT0_PKT_i,"axG",@progbits,_ZN5aiter25swiglu_act_and_mul_kernelIfDF16_Li2EEEvPT0_PKT_i,comdat
	.protected	_ZN5aiter25swiglu_act_and_mul_kernelIfDF16_Li2EEEvPT0_PKT_i ; -- Begin function _ZN5aiter25swiglu_act_and_mul_kernelIfDF16_Li2EEEvPT0_PKT_i
	.globl	_ZN5aiter25swiglu_act_and_mul_kernelIfDF16_Li2EEEvPT0_PKT_i
	.p2align	8
	.type	_ZN5aiter25swiglu_act_and_mul_kernelIfDF16_Li2EEEvPT0_PKT_i,@function
_ZN5aiter25swiglu_act_and_mul_kernelIfDF16_Li2EEEvPT0_PKT_i: ; @_ZN5aiter25swiglu_act_and_mul_kernelIfDF16_Li2EEEvPT0_PKT_i
; %bb.0:
	s_load_dword s16, s[0:1], 0x10
	v_lshlrev_b32_e32 v2, 1, v0
	s_waitcnt lgkmcnt(0)
	v_cmp_gt_i32_e32 vcc, s16, v2
	s_and_saveexec_b64 s[4:5], vcc
	s_cbranch_execz .LBB63_3
; %bb.1:
	s_load_dwordx4 s[12:15], s[0:1], 0x0
	s_load_dword s18, s[0:1], 0x24
	s_ashr_i32 s17, s16, 31
	s_mul_hi_u32 s3, s16, s2
	s_mul_i32 s4, s17, s2
	s_add_i32 s3, s3, s4
	s_mul_i32 s2, s16, s2
	s_lshl_b64 s[10:11], s[2:3], 1
	s_lshl_b64 s[2:3], s[2:3], 3
	s_waitcnt lgkmcnt(0)
	s_add_u32 s4, s14, s2
	s_addc_u32 s2, s15, s3
	s_lshl_b64 s[0:1], s[16:17], 2
	s_add_u32 s8, s4, s0
	s_addc_u32 s0, s2, s1
	s_lshl_b32 s6, s16, 2
	s_and_b32 s5, s2, 0xffff
	s_and_b32 s9, s0, 0xffff
	s_add_u32 s12, s12, s10
	s_addc_u32 s0, s13, s11
	s_add_i32 s1, s16, 1
	s_lshr_b32 s2, s1, 31
	s_add_i32 s1, s1, s2
	s_mov_b32 s7, 0x20000
	s_lshl_b32 s1, s1, 1
	s_and_b32 s13, s0, 0xffff
	s_and_b32 s0, s18, 0xffff
	s_and_b32 s14, s1, -4
	s_mov_b32 s15, s7
	s_mov_b32 s3, 0
	v_mov_b32_e32 v3, 0
	s_lshl_b32 s2, s0, 1
	v_lshlrev_b32_e32 v1, 2, v0
	s_lshl_b32 s20, s0, 2
	v_lshlrev_b32_e32 v0, 3, v0
	s_lshl_b32 s21, s0, 3
	s_mov_b64 s[18:19], 0
	s_mov_b32 s10, s6
	s_mov_b32 s11, s7
	;; [unrolled: 1-line block ×5, first 2 shown]
	v_mov_b32_e32 v4, 0x7f800000
	s_mov_b32 s25, 0xc0e00000
	v_mov_b32_e32 v5, 0x40e00000
.LBB63_2:                               ; =>This Inner Loop Header: Depth=1
	buffer_load_dwordx2 v[6:7], v0, s[4:7], 0 offen
	buffer_load_dwordx2 v[8:9], v0, s[8:11], 0 offen
	v_lshl_add_u64 v[2:3], s[2:3], 0, v[2:3]
	v_add_u32_e32 v0, s21, v0
	s_waitcnt vmcnt(1)
	v_max_f32_e32 v7, v7, v7
	v_max_f32_e32 v6, v6, v6
	v_min_f32_e32 v7, 0x40e00000, v7
	v_min_f32_e32 v6, 0x40e00000, v6
	v_mul_f32_e32 v10, 0xbfd9db23, v6
	v_mul_f32_e32 v11, 0xbfd9db23, v7
	;; [unrolled: 1-line block ×4, first 2 shown]
	v_fma_f32 v14, v10, s22, -v12
	v_rndne_f32_e32 v15, v12
	v_fma_f32 v16, v11, s22, -v13
	v_rndne_f32_e32 v17, v13
	v_fmac_f32_e32 v14, 0x32a5705f, v10
	v_sub_f32_e32 v12, v12, v15
	v_fmac_f32_e32 v16, 0x32a5705f, v11
	v_sub_f32_e32 v13, v13, v17
	v_add_f32_e32 v12, v12, v14
	v_add_f32_e32 v13, v13, v16
	v_cvt_i32_f32_e32 v15, v15
	v_cvt_i32_f32_e32 v17, v17
	v_exp_f32_e32 v12, v12
	v_exp_f32_e32 v13, v13
	v_cmp_ngt_f32_e32 vcc, s23, v11
	v_cmp_ngt_f32_e64 s[0:1], s23, v10
	v_ldexp_f32 v12, v12, v15
	v_ldexp_f32 v13, v13, v17
	v_cndmask_b32_e64 v12, 0, v12, s[0:1]
	v_cndmask_b32_e32 v13, 0, v13, vcc
	v_cmp_nlt_f32_e32 vcc, s24, v11
	v_cmp_nlt_f32_e64 s[0:1], s24, v10
	s_waitcnt vmcnt(0)
	v_max_f32_e32 v8, v8, v8
	v_cndmask_b32_e32 v11, v4, v13, vcc
	v_cndmask_b32_e64 v10, v4, v12, s[0:1]
	v_add_f32_e32 v10, 1.0, v10
	v_add_f32_e32 v11, 1.0, v11
	v_rcp_f32_e32 v10, v10
	v_rcp_f32_e32 v11, v11
	v_max_f32_e32 v9, v9, v9
	v_med3_f32 v9, v9, s25, v5
	v_med3_f32 v8, v8, s25, v5
	v_pk_add_f32 v[8:9], v[8:9], 1.0 op_sel_hi:[1,0]
	v_pk_mul_f32 v[6:7], v[6:7], v[10:11]
	v_cmp_le_i64_e32 vcc, s[16:17], v[2:3]
	v_pk_mul_f32 v[6:7], v[8:9], v[6:7]
	s_or_b64 s[18:19], vcc, s[18:19]
	v_cvt_f16_f32_e32 v7, v7
	v_cvt_f16_f32_e32 v6, v6
	v_pack_b32_f16 v6, v6, v7
	buffer_store_dword v6, v1, s[12:15], 0 offen
	v_add_u32_e32 v1, s20, v1
	s_andn2_b64 exec, exec, s[18:19]
	s_cbranch_execnz .LBB63_2
.LBB63_3:
	s_endpgm
	.section	.rodata,"a",@progbits
	.p2align	6, 0x0
	.amdhsa_kernel _ZN5aiter25swiglu_act_and_mul_kernelIfDF16_Li2EEEvPT0_PKT_i
		.amdhsa_group_segment_fixed_size 0
		.amdhsa_private_segment_fixed_size 0
		.amdhsa_kernarg_size 280
		.amdhsa_user_sgpr_count 2
		.amdhsa_user_sgpr_dispatch_ptr 0
		.amdhsa_user_sgpr_queue_ptr 0
		.amdhsa_user_sgpr_kernarg_segment_ptr 1
		.amdhsa_user_sgpr_dispatch_id 0
		.amdhsa_user_sgpr_kernarg_preload_length 0
		.amdhsa_user_sgpr_kernarg_preload_offset 0
		.amdhsa_user_sgpr_private_segment_size 0
		.amdhsa_uses_dynamic_stack 0
		.amdhsa_enable_private_segment 0
		.amdhsa_system_sgpr_workgroup_id_x 1
		.amdhsa_system_sgpr_workgroup_id_y 0
		.amdhsa_system_sgpr_workgroup_id_z 0
		.amdhsa_system_sgpr_workgroup_info 0
		.amdhsa_system_vgpr_workitem_id 0
		.amdhsa_next_free_vgpr 18
		.amdhsa_next_free_sgpr 26
		.amdhsa_accum_offset 20
		.amdhsa_reserve_vcc 1
		.amdhsa_float_round_mode_32 0
		.amdhsa_float_round_mode_16_64 0
		.amdhsa_float_denorm_mode_32 3
		.amdhsa_float_denorm_mode_16_64 3
		.amdhsa_dx10_clamp 1
		.amdhsa_ieee_mode 1
		.amdhsa_fp16_overflow 0
		.amdhsa_tg_split 0
		.amdhsa_exception_fp_ieee_invalid_op 0
		.amdhsa_exception_fp_denorm_src 0
		.amdhsa_exception_fp_ieee_div_zero 0
		.amdhsa_exception_fp_ieee_overflow 0
		.amdhsa_exception_fp_ieee_underflow 0
		.amdhsa_exception_fp_ieee_inexact 0
		.amdhsa_exception_int_div_zero 0
	.end_amdhsa_kernel
	.section	.text._ZN5aiter25swiglu_act_and_mul_kernelIfDF16_Li2EEEvPT0_PKT_i,"axG",@progbits,_ZN5aiter25swiglu_act_and_mul_kernelIfDF16_Li2EEEvPT0_PKT_i,comdat
.Lfunc_end63:
	.size	_ZN5aiter25swiglu_act_and_mul_kernelIfDF16_Li2EEEvPT0_PKT_i, .Lfunc_end63-_ZN5aiter25swiglu_act_and_mul_kernelIfDF16_Li2EEEvPT0_PKT_i
                                        ; -- End function
	.section	.AMDGPU.csdata,"",@progbits
; Kernel info:
; codeLenInByte = 600
; NumSgprs: 32
; NumVgprs: 18
; NumAgprs: 0
; TotalNumVgprs: 18
; ScratchSize: 0
; MemoryBound: 0
; FloatMode: 240
; IeeeMode: 1
; LDSByteSize: 0 bytes/workgroup (compile time only)
; SGPRBlocks: 3
; VGPRBlocks: 2
; NumSGPRsForWavesPerEU: 32
; NumVGPRsForWavesPerEU: 18
; AccumOffset: 20
; Occupancy: 8
; WaveLimiterHint : 0
; COMPUTE_PGM_RSRC2:SCRATCH_EN: 0
; COMPUTE_PGM_RSRC2:USER_SGPR: 2
; COMPUTE_PGM_RSRC2:TRAP_HANDLER: 0
; COMPUTE_PGM_RSRC2:TGID_X_EN: 1
; COMPUTE_PGM_RSRC2:TGID_Y_EN: 0
; COMPUTE_PGM_RSRC2:TGID_Z_EN: 0
; COMPUTE_PGM_RSRC2:TIDIG_COMP_CNT: 0
; COMPUTE_PGM_RSRC3_GFX90A:ACCUM_OFFSET: 4
; COMPUTE_PGM_RSRC3_GFX90A:TG_SPLIT: 0
	.section	.text._ZN5aiter25swiglu_act_and_mul_kernelIfDF16_Li1EEEvPT0_PKT_i,"axG",@progbits,_ZN5aiter25swiglu_act_and_mul_kernelIfDF16_Li1EEEvPT0_PKT_i,comdat
	.protected	_ZN5aiter25swiglu_act_and_mul_kernelIfDF16_Li1EEEvPT0_PKT_i ; -- Begin function _ZN5aiter25swiglu_act_and_mul_kernelIfDF16_Li1EEEvPT0_PKT_i
	.globl	_ZN5aiter25swiglu_act_and_mul_kernelIfDF16_Li1EEEvPT0_PKT_i
	.p2align	8
	.type	_ZN5aiter25swiglu_act_and_mul_kernelIfDF16_Li1EEEvPT0_PKT_i,@function
_ZN5aiter25swiglu_act_and_mul_kernelIfDF16_Li1EEEvPT0_PKT_i: ; @_ZN5aiter25swiglu_act_and_mul_kernelIfDF16_Li1EEEvPT0_PKT_i
; %bb.0:
	s_load_dword s12, s[0:1], 0x10
	s_waitcnt lgkmcnt(0)
	v_cmp_gt_i32_e32 vcc, s12, v0
	s_and_saveexec_b64 s[4:5], vcc
	s_cbranch_execz .LBB64_3
; %bb.1:
	s_load_dwordx4 s[8:11], s[0:1], 0x0
	s_load_dword s14, s[0:1], 0x24
	s_ashr_i32 s13, s12, 31
	s_mul_hi_u32 s3, s12, s2
	s_mul_i32 s4, s13, s2
	s_add_i32 s3, s3, s4
	s_mul_i32 s2, s12, s2
	s_lshl_b64 s[6:7], s[2:3], 1
	s_lshl_b64 s[2:3], s[2:3], 3
	s_waitcnt lgkmcnt(0)
	s_add_u32 s0, s10, s2
	s_addc_u32 s1, s11, s3
	s_lshl_b64 s[2:3], s[12:13], 2
	s_add_u32 s4, s0, s2
	s_addc_u32 s5, s1, s3
	s_lshl_b32 s2, s12, 2
	s_and_b32 s1, s1, 0xffff
	s_and_b32 s5, s5, 0xffff
	s_add_u32 s8, s8, s6
	s_addc_u32 s6, s9, s7
	s_add_i32 s7, s12, 1
	s_lshr_b32 s9, s7, 31
	s_add_i32 s7, s7, s9
	s_mov_b32 s3, 0x20000
	s_lshl_b32 s7, s7, 1
	s_and_b32 s14, s14, 0xffff
	s_and_b32 s10, s7, -4
	s_and_b32 s9, s6, 0xffff
	s_mov_b32 s11, s3
	s_mov_b32 s15, 0
	v_mov_b32_e32 v1, 0
	v_lshlrev_b32_e32 v2, 1, v0
	s_lshl_b32 s18, s14, 1
	v_lshlrev_b32_e32 v3, 2, v0
	s_lshl_b32 s19, s14, 2
	s_mov_b64 s[16:17], 0
	s_mov_b32 s6, s2
	s_mov_b32 s7, s3
	;; [unrolled: 1-line block ×5, first 2 shown]
	v_mov_b32_e32 v4, 0x7f800000
.LBB64_2:                               ; =>This Inner Loop Header: Depth=1
	buffer_load_dword v5, v3, s[0:3], 0 offen
	buffer_load_dword v6, v3, s[4:7], 0 offen
	v_lshl_add_u64 v[0:1], v[0:1], 0, s[14:15]
	v_cmp_le_i64_e32 vcc, s[12:13], v[0:1]
	s_or_b64 s[16:17], vcc, s[16:17]
	v_add_u32_e32 v3, s19, v3
	s_waitcnt vmcnt(1)
	v_max_f32_e32 v5, v5, v5
	v_min_f32_e32 v5, 0x40e00000, v5
	v_mul_f32_e32 v7, 0xbfd9db23, v5
	v_mul_f32_e32 v8, 0x3fb8aa3b, v7
	v_fma_f32 v9, v7, s20, -v8
	v_rndne_f32_e32 v10, v8
	v_fmac_f32_e32 v9, 0x32a5705f, v7
	v_sub_f32_e32 v8, v8, v10
	v_add_f32_e32 v8, v8, v9
	v_cvt_i32_f32_e32 v10, v10
	v_exp_f32_e32 v8, v8
	v_cmp_ngt_f32_e32 vcc, s21, v7
	s_waitcnt vmcnt(0)
	v_max_f32_e32 v6, v6, v6
	v_max_f32_e32 v6, 0xc0e00000, v6
	v_ldexp_f32 v8, v8, v10
	v_cndmask_b32_e32 v8, 0, v8, vcc
	v_cmp_nlt_f32_e32 vcc, s22, v7
	v_min_f32_e32 v6, 0x40e00000, v6
	v_add_f32_e32 v6, 1.0, v6
	v_cndmask_b32_e32 v7, v4, v8, vcc
	v_add_f32_e32 v7, 1.0, v7
	v_rcp_f32_e32 v7, v7
	s_nop 0
	v_mul_f32_e32 v5, v5, v7
	v_fma_mixlo_f16 v5, v6, v5, 0
	buffer_store_short v5, v2, s[8:11], 0 offen
	v_add_u32_e32 v2, s18, v2
	s_andn2_b64 exec, exec, s[16:17]
	s_cbranch_execnz .LBB64_2
.LBB64_3:
	s_endpgm
	.section	.rodata,"a",@progbits
	.p2align	6, 0x0
	.amdhsa_kernel _ZN5aiter25swiglu_act_and_mul_kernelIfDF16_Li1EEEvPT0_PKT_i
		.amdhsa_group_segment_fixed_size 0
		.amdhsa_private_segment_fixed_size 0
		.amdhsa_kernarg_size 280
		.amdhsa_user_sgpr_count 2
		.amdhsa_user_sgpr_dispatch_ptr 0
		.amdhsa_user_sgpr_queue_ptr 0
		.amdhsa_user_sgpr_kernarg_segment_ptr 1
		.amdhsa_user_sgpr_dispatch_id 0
		.amdhsa_user_sgpr_kernarg_preload_length 0
		.amdhsa_user_sgpr_kernarg_preload_offset 0
		.amdhsa_user_sgpr_private_segment_size 0
		.amdhsa_uses_dynamic_stack 0
		.amdhsa_enable_private_segment 0
		.amdhsa_system_sgpr_workgroup_id_x 1
		.amdhsa_system_sgpr_workgroup_id_y 0
		.amdhsa_system_sgpr_workgroup_id_z 0
		.amdhsa_system_sgpr_workgroup_info 0
		.amdhsa_system_vgpr_workitem_id 0
		.amdhsa_next_free_vgpr 11
		.amdhsa_next_free_sgpr 23
		.amdhsa_accum_offset 12
		.amdhsa_reserve_vcc 1
		.amdhsa_float_round_mode_32 0
		.amdhsa_float_round_mode_16_64 0
		.amdhsa_float_denorm_mode_32 3
		.amdhsa_float_denorm_mode_16_64 3
		.amdhsa_dx10_clamp 1
		.amdhsa_ieee_mode 1
		.amdhsa_fp16_overflow 0
		.amdhsa_tg_split 0
		.amdhsa_exception_fp_ieee_invalid_op 0
		.amdhsa_exception_fp_denorm_src 0
		.amdhsa_exception_fp_ieee_div_zero 0
		.amdhsa_exception_fp_ieee_overflow 0
		.amdhsa_exception_fp_ieee_underflow 0
		.amdhsa_exception_fp_ieee_inexact 0
		.amdhsa_exception_int_div_zero 0
	.end_amdhsa_kernel
	.section	.text._ZN5aiter25swiglu_act_and_mul_kernelIfDF16_Li1EEEvPT0_PKT_i,"axG",@progbits,_ZN5aiter25swiglu_act_and_mul_kernelIfDF16_Li1EEEvPT0_PKT_i,comdat
.Lfunc_end64:
	.size	_ZN5aiter25swiglu_act_and_mul_kernelIfDF16_Li1EEEvPT0_PKT_i, .Lfunc_end64-_ZN5aiter25swiglu_act_and_mul_kernelIfDF16_Li1EEEvPT0_PKT_i
                                        ; -- End function
	.section	.AMDGPU.csdata,"",@progbits
; Kernel info:
; codeLenInByte = 440
; NumSgprs: 29
; NumVgprs: 11
; NumAgprs: 0
; TotalNumVgprs: 11
; ScratchSize: 0
; MemoryBound: 0
; FloatMode: 240
; IeeeMode: 1
; LDSByteSize: 0 bytes/workgroup (compile time only)
; SGPRBlocks: 3
; VGPRBlocks: 1
; NumSGPRsForWavesPerEU: 29
; NumVGPRsForWavesPerEU: 11
; AccumOffset: 12
; Occupancy: 8
; WaveLimiterHint : 0
; COMPUTE_PGM_RSRC2:SCRATCH_EN: 0
; COMPUTE_PGM_RSRC2:USER_SGPR: 2
; COMPUTE_PGM_RSRC2:TRAP_HANDLER: 0
; COMPUTE_PGM_RSRC2:TGID_X_EN: 1
; COMPUTE_PGM_RSRC2:TGID_Y_EN: 0
; COMPUTE_PGM_RSRC2:TGID_Z_EN: 0
; COMPUTE_PGM_RSRC2:TIDIG_COMP_CNT: 0
; COMPUTE_PGM_RSRC3_GFX90A:ACCUM_OFFSET: 2
; COMPUTE_PGM_RSRC3_GFX90A:TG_SPLIT: 0
	.section	.text._ZN5aiter25swiglu_act_and_mul_kernelIffLi16EEEvPT0_PKT_i,"axG",@progbits,_ZN5aiter25swiglu_act_and_mul_kernelIffLi16EEEvPT0_PKT_i,comdat
	.protected	_ZN5aiter25swiglu_act_and_mul_kernelIffLi16EEEvPT0_PKT_i ; -- Begin function _ZN5aiter25swiglu_act_and_mul_kernelIffLi16EEEvPT0_PKT_i
	.globl	_ZN5aiter25swiglu_act_and_mul_kernelIffLi16EEEvPT0_PKT_i
	.p2align	8
	.type	_ZN5aiter25swiglu_act_and_mul_kernelIffLi16EEEvPT0_PKT_i,@function
_ZN5aiter25swiglu_act_and_mul_kernelIffLi16EEEvPT0_PKT_i: ; @_ZN5aiter25swiglu_act_and_mul_kernelIffLi16EEEvPT0_PKT_i
; %bb.0:
	s_load_dword s12, s[0:1], 0x10
	v_lshlrev_b32_e32 v28, 4, v0
	s_waitcnt lgkmcnt(0)
	v_cmp_gt_i32_e32 vcc, s12, v28
	s_and_saveexec_b64 s[4:5], vcc
	s_cbranch_execz .LBB65_3
; %bb.1:
	s_load_dwordx4 s[8:11], s[0:1], 0x0
	s_load_dword s14, s[0:1], 0x24
	s_ashr_i32 s13, s12, 31
	s_mul_hi_u32 s3, s12, s2
	s_mul_i32 s4, s13, s2
	s_add_i32 s7, s3, s4
	s_mul_i32 s6, s12, s2
	s_lshl_b64 s[2:3], s[6:7], 3
	s_waitcnt lgkmcnt(0)
	s_add_u32 s0, s10, s2
	s_addc_u32 s1, s11, s3
	s_lshl_b64 s[2:3], s[12:13], 2
	s_add_u32 s4, s0, s2
	s_addc_u32 s5, s1, s3
	s_lshl_b32 s2, s12, 2
	s_and_b32 s1, s1, 0xffff
	s_and_b32 s5, s5, 0xffff
	s_lshl_b64 s[6:7], s[6:7], 2
	s_add_u32 s8, s8, s6
	s_addc_u32 s6, s9, s7
	s_mov_b32 s3, 0x20000
	s_and_b32 s9, s6, 0xffff
	s_and_b32 s6, s14, 0xffff
	s_mov_b32 s15, 0
	v_mov_b32_e32 v29, 0
	s_lshl_b32 s14, s6, 4
	v_lshlrev_b32_e32 v30, 6, v0
	s_lshl_b32 s18, s6, 6
	s_mov_b64 s[16:17], 0
	s_mov_b32 s6, s2
	s_mov_b32 s7, s3
	;; [unrolled: 1-line block ×5, first 2 shown]
	v_mov_b32_e32 v31, 0x7f800000
	s_mov_b32 s22, 0xc0e00000
	v_mov_b32_e32 v32, 0x40e00000
	s_mov_b32 s10, s2
	s_mov_b32 s11, s3
.LBB65_2:                               ; =>This Inner Loop Header: Depth=1
	buffer_load_dwordx4 v[16:19], v30, s[0:3], 0 offen
	buffer_load_dwordx4 v[34:37], v30, s[4:7], 0 offen
	;; [unrolled: 1-line block ×8, first 2 shown]
	v_lshl_add_u64 v[28:29], s[14:15], 0, v[28:29]
	s_waitcnt vmcnt(7)
	v_max_f32_e32 v16, v16, v16
	v_max_f32_e32 v17, v17, v17
	s_waitcnt vmcnt(6)
	v_max_f32_e32 v33, v34, v34
	v_min_f32_e32 v16, 0x40e00000, v16
	v_max_f32_e32 v18, v18, v18
	v_max_f32_e32 v38, v35, v35
	v_max_f32_e32 v34, v36, v36
	v_min_f32_e32 v17, 0x40e00000, v17
	v_med3_f32 v36, v33, s22, v32
	v_mul_f32_e32 v33, 0xbfd9db23, v16
	v_max_f32_e32 v19, v19, v19
	v_max_f32_e32 v35, v37, v37
	v_min_f32_e32 v18, 0x40e00000, v18
	v_med3_f32 v37, v38, s22, v32
	v_mul_f32_e32 v38, 0xbfd9db23, v17
	v_mul_f32_e32 v41, 0x3fb8aa3b, v33
	v_min_f32_e32 v19, 0x40e00000, v19
	v_mul_f32_e32 v39, 0xbfd9db23, v18
	v_mul_f32_e32 v43, 0x3fb8aa3b, v38
	v_fma_f32 v47, v33, s19, -v41
	v_rndne_f32_e32 v48, v41
	v_mul_f32_e32 v40, 0xbfd9db23, v19
	v_mul_f32_e32 v44, 0x3fb8aa3b, v39
	v_fma_f32 v49, v38, s19, -v43
	v_rndne_f32_e32 v50, v43
	v_fmac_f32_e32 v47, 0x32a5705f, v33
	v_sub_f32_e32 v41, v41, v48
	v_mul_f32_e32 v45, 0x3fb8aa3b, v40
	v_fma_f32 v51, v39, s19, -v44
	v_rndne_f32_e32 v52, v44
	v_fmac_f32_e32 v49, 0x32a5705f, v38
	v_sub_f32_e32 v43, v43, v50
	v_add_f32_e32 v41, v41, v47
	v_fma_f32 v53, v40, s19, -v45
	v_rndne_f32_e32 v54, v45
	v_cvt_i32_f32_e32 v48, v48
	v_fmac_f32_e32 v51, 0x32a5705f, v39
	v_sub_f32_e32 v44, v44, v52
	v_add_f32_e32 v43, v43, v49
	v_exp_f32_e32 v41, v41
	v_cvt_i32_f32_e32 v50, v50
	v_fmac_f32_e32 v53, 0x32a5705f, v40
	v_sub_f32_e32 v45, v45, v54
	v_add_f32_e32 v44, v44, v51
	v_exp_f32_e32 v43, v43
	v_cvt_i32_f32_e32 v52, v52
	v_add_f32_e32 v45, v45, v53
	v_exp_f32_e32 v44, v44
	v_cvt_i32_f32_e32 v54, v54
	v_exp_f32_e32 v45, v45
	v_ldexp_f32 v41, v41, v48
	v_cmp_ngt_f32_e32 vcc, s20, v33
	v_ldexp_f32 v43, v43, v50
	v_ldexp_f32 v44, v44, v52
	v_cndmask_b32_e32 v41, 0, v41, vcc
	v_cmp_ngt_f32_e32 vcc, s20, v38
	v_ldexp_f32 v45, v45, v54
	s_waitcnt vmcnt(5)
	v_max_f32_e32 v24, v24, v24
	v_cndmask_b32_e32 v43, 0, v43, vcc
	v_cmp_ngt_f32_e32 vcc, s20, v39
	v_min_f32_e32 v24, 0x40e00000, v24
	v_mul_f32_e32 v42, 0xbfd9db23, v24
	v_cndmask_b32_e32 v44, 0, v44, vcc
	v_cmp_ngt_f32_e32 vcc, s20, v40
	v_mul_f32_e32 v46, 0x3fb8aa3b, v42
	v_fma_f32 v55, v42, s19, -v46
	v_cndmask_b32_e32 v45, 0, v45, vcc
	v_cmp_nlt_f32_e32 vcc, s21, v33
	v_rndne_f32_e32 v56, v46
	v_med3_f32 v35, v35, s22, v32
	v_cndmask_b32_e32 v33, v31, v41, vcc
	v_cmp_nlt_f32_e32 vcc, s21, v38
	v_add_f32_e32 v33, 1.0, v33
	v_med3_f32 v34, v34, s22, v32
	v_cndmask_b32_e32 v38, v31, v43, vcc
	v_cmp_nlt_f32_e32 vcc, s21, v39
	v_add_f32_e32 v41, 1.0, v38
	v_rcp_f32_e32 v38, v33
	v_cndmask_b32_e32 v39, v31, v44, vcc
	v_cmp_nlt_f32_e32 vcc, s21, v40
	v_add_f32_e32 v43, 1.0, v39
	v_rcp_f32_e32 v39, v41
	v_cndmask_b32_e32 v40, v31, v45, vcc
	v_add_f32_e32 v44, 1.0, v40
	v_rcp_f32_e32 v40, v43
	v_rcp_f32_e32 v41, v44
	v_fmac_f32_e32 v55, 0x32a5705f, v42
	v_sub_f32_e32 v33, v46, v56
	v_pk_add_f32 v[34:35], v[34:35], 1.0 op_sel_hi:[1,0]
	v_pk_mul_f32 v[18:19], v[18:19], v[40:41]
	v_add_f32_e32 v33, v33, v55
	v_pk_mul_f32 v[18:19], v[34:35], v[18:19]
	v_exp_f32_e32 v33, v33
	v_cvt_i32_f32_e32 v34, v56
	v_max_f32_e32 v25, v25, v25
	v_min_f32_e32 v25, 0x40e00000, v25
	v_mul_f32_e32 v35, 0xbfd9db23, v25
	v_pk_add_f32 v[36:37], v[36:37], 1.0 op_sel_hi:[1,0]
	v_pk_mul_f32 v[16:17], v[16:17], v[38:39]
	v_ldexp_f32 v33, v33, v34
	v_mul_f32_e32 v34, 0x3fb8aa3b, v35
	v_pk_mul_f32 v[16:17], v[36:37], v[16:17]
	v_fma_f32 v36, v35, s19, -v34
	v_rndne_f32_e32 v37, v34
	v_fmac_f32_e32 v36, 0x32a5705f, v35
	v_sub_f32_e32 v34, v34, v37
	v_add_f32_e32 v34, v34, v36
	v_cmp_ngt_f32_e32 vcc, s20, v42
	v_exp_f32_e32 v36, v34
	v_cvt_i32_f32_e32 v37, v37
	v_cndmask_b32_e32 v33, 0, v33, vcc
	v_cmp_nlt_f32_e32 vcc, s21, v42
	v_max_f32_e32 v26, v26, v26
	v_min_f32_e32 v26, 0x40e00000, v26
	v_cndmask_b32_e32 v33, v31, v33, vcc
	v_add_f32_e32 v33, 1.0, v33
	v_rcp_f32_e32 v34, v33
	v_ldexp_f32 v33, v36, v37
	v_cmp_ngt_f32_e32 vcc, s20, v35
	v_mul_f32_e32 v36, 0xbfd9db23, v26
	v_max_f32_e32 v27, v27, v27
	v_cndmask_b32_e32 v33, 0, v33, vcc
	v_cmp_nlt_f32_e32 vcc, s21, v35
	v_mul_f32_e32 v35, 0x3fb8aa3b, v36
	v_fma_f32 v37, v36, s19, -v35
	v_rndne_f32_e32 v38, v35
	v_fmac_f32_e32 v37, 0x32a5705f, v36
	v_sub_f32_e32 v35, v35, v38
	v_add_f32_e32 v35, v35, v37
	v_exp_f32_e32 v37, v35
	v_cvt_i32_f32_e32 v38, v38
	v_cndmask_b32_e32 v33, v31, v33, vcc
	v_add_f32_e32 v33, 1.0, v33
	v_min_f32_e32 v27, 0x40e00000, v27
	v_rcp_f32_e32 v35, v33
	v_ldexp_f32 v33, v37, v38
	v_mul_f32_e32 v37, 0xbfd9db23, v27
	v_mul_f32_e32 v38, 0x3fb8aa3b, v37
	v_fma_f32 v39, v37, s19, -v38
	v_rndne_f32_e32 v40, v38
	v_fmac_f32_e32 v39, 0x32a5705f, v37
	v_sub_f32_e32 v38, v38, v40
	v_add_f32_e32 v38, v38, v39
	v_cmp_ngt_f32_e32 vcc, s20, v36
	v_exp_f32_e32 v38, v38
	v_cvt_i32_f32_e32 v39, v40
	v_cndmask_b32_e32 v33, 0, v33, vcc
	v_cmp_nlt_f32_e32 vcc, s21, v36
	s_waitcnt vmcnt(4)
	v_max_f32_e32 v12, v12, v12
	v_min_f32_e32 v12, 0x40e00000, v12
	v_cndmask_b32_e32 v33, v31, v33, vcc
	v_add_f32_e32 v33, 1.0, v33
	v_rcp_f32_e32 v36, v33
	v_ldexp_f32 v33, v38, v39
	v_cmp_ngt_f32_e32 vcc, s20, v37
	s_waitcnt vmcnt(2)
	v_max_f32_e32 v38, v21, v21
	v_max_f32_e32 v21, v23, v23
	v_cndmask_b32_e32 v33, 0, v33, vcc
	v_cmp_nlt_f32_e32 vcc, s21, v37
	v_med3_f32 v21, v21, s22, v32
	v_med3_f32 v23, v38, s22, v32
	v_cndmask_b32_e32 v33, v31, v33, vcc
	v_add_f32_e32 v33, 1.0, v33
	v_rcp_f32_e32 v37, v33
	v_max_f32_e32 v33, v20, v20
	v_max_f32_e32 v20, v22, v22
	v_med3_f32 v20, v20, s22, v32
	v_med3_f32 v22, v33, s22, v32
	v_pk_add_f32 v[38:39], v[22:23], 1.0 op_sel_hi:[1,0]
	v_pk_add_f32 v[20:21], v[20:21], 1.0 op_sel_hi:[1,0]
	v_pk_mul_f32 v[22:23], v[26:27], v[36:37]
	v_mul_f32_e32 v26, 0xbfd9db23, v12
	v_pk_mul_f32 v[22:23], v[20:21], v[22:23]
	v_mul_f32_e32 v20, 0x3fb8aa3b, v26
	v_fma_f32 v21, v26, s19, -v20
	v_rndne_f32_e32 v27, v20
	v_fmac_f32_e32 v21, 0x32a5705f, v26
	v_sub_f32_e32 v20, v20, v27
	v_add_f32_e32 v20, v20, v21
	v_exp_f32_e32 v33, v20
	v_cvt_i32_f32_e32 v27, v27
	v_max_f32_e32 v13, v13, v13
	v_pk_mul_f32 v[24:25], v[24:25], v[34:35]
	v_min_f32_e32 v13, 0x40e00000, v13
	v_pk_mul_f32 v[20:21], v[38:39], v[24:25]
	v_mul_f32_e32 v25, 0xbfd9db23, v13
	v_ldexp_f32 v24, v33, v27
	v_mul_f32_e32 v27, 0x3fb8aa3b, v25
	v_fma_f32 v33, v25, s19, -v27
	v_rndne_f32_e32 v34, v27
	v_fmac_f32_e32 v33, 0x32a5705f, v25
	v_sub_f32_e32 v27, v27, v34
	v_add_f32_e32 v27, v27, v33
	v_exp_f32_e32 v27, v27
	v_cvt_i32_f32_e32 v33, v34
	v_cmp_ngt_f32_e32 vcc, s20, v26
	v_max_f32_e32 v14, v14, v14
	v_min_f32_e32 v14, 0x40e00000, v14
	v_cndmask_b32_e32 v24, 0, v24, vcc
	v_cmp_nlt_f32_e32 vcc, s21, v26
	v_ldexp_f32 v26, v27, v33
	v_max_f32_e32 v15, v15, v15
	v_cndmask_b32_e32 v24, v31, v24, vcc
	v_cmp_ngt_f32_e32 vcc, s20, v25
	v_min_f32_e32 v15, 0x40e00000, v15
	v_max_f32_e32 v4, v4, v4
	v_cndmask_b32_e32 v26, 0, v26, vcc
	v_cmp_nlt_f32_e32 vcc, s21, v25
	v_min_f32_e32 v4, 0x40e00000, v4
	v_add_f32_e32 v24, 1.0, v24
	v_cndmask_b32_e32 v25, v31, v26, vcc
	v_mul_f32_e32 v26, 0xbfd9db23, v14
	v_mul_f32_e32 v27, 0x3fb8aa3b, v26
	v_fma_f32 v33, v26, s19, -v27
	v_rndne_f32_e32 v34, v27
	v_fmac_f32_e32 v33, 0x32a5705f, v26
	v_sub_f32_e32 v27, v27, v34
	v_add_f32_e32 v27, v27, v33
	v_exp_f32_e32 v27, v27
	v_cvt_i32_f32_e32 v33, v34
	v_cmp_ngt_f32_e32 vcc, s20, v26
	v_add_f32_e32 v25, 1.0, v25
	v_rcp_f32_e32 v24, v24
	v_ldexp_f32 v27, v27, v33
	v_mul_f32_e32 v33, 0xbfd9db23, v15
	v_mul_f32_e32 v34, 0x3fb8aa3b, v33
	v_fma_f32 v35, v33, s19, -v34
	v_rndne_f32_e32 v36, v34
	v_fmac_f32_e32 v35, 0x32a5705f, v33
	v_sub_f32_e32 v34, v34, v36
	v_add_f32_e32 v34, v34, v35
	v_exp_f32_e32 v34, v34
	v_cvt_i32_f32_e32 v35, v36
	v_cndmask_b32_e32 v27, 0, v27, vcc
	v_cmp_nlt_f32_e32 vcc, s21, v26
	v_rcp_f32_e32 v25, v25
	v_max_f32_e32 v5, v5, v5
	v_cndmask_b32_e32 v26, v31, v27, vcc
	v_ldexp_f32 v27, v34, v35
	v_cmp_ngt_f32_e32 vcc, s20, v33
	v_add_f32_e32 v26, 1.0, v26
	v_rcp_f32_e32 v26, v26
	v_cndmask_b32_e32 v27, 0, v27, vcc
	v_cmp_nlt_f32_e32 vcc, s21, v33
	s_waitcnt vmcnt(1)
	v_max_f32_e32 v33, v8, v8
	v_max_f32_e32 v34, v9, v9
	v_cndmask_b32_e32 v27, v31, v27, vcc
	v_add_f32_e32 v27, 1.0, v27
	v_rcp_f32_e32 v27, v27
	v_max_f32_e32 v8, v10, v10
	v_max_f32_e32 v9, v11, v11
	v_med3_f32 v9, v9, s22, v32
	v_med3_f32 v8, v8, s22, v32
	;; [unrolled: 1-line block ×4, first 2 shown]
	v_pk_add_f32 v[34:35], v[10:11], 1.0 op_sel_hi:[1,0]
	v_pk_add_f32 v[8:9], v[8:9], 1.0 op_sel_hi:[1,0]
	v_pk_mul_f32 v[10:11], v[14:15], v[26:27]
	v_mul_f32_e32 v14, 0xbfd9db23, v4
	v_pk_mul_f32 v[10:11], v[8:9], v[10:11]
	v_mul_f32_e32 v8, 0x3fb8aa3b, v14
	v_fma_f32 v9, v14, s19, -v8
	v_rndne_f32_e32 v15, v8
	v_fmac_f32_e32 v9, 0x32a5705f, v14
	v_sub_f32_e32 v8, v8, v15
	v_add_f32_e32 v8, v8, v9
	v_pk_mul_f32 v[12:13], v[12:13], v[24:25]
	v_exp_f32_e32 v24, v8
	v_cvt_i32_f32_e32 v15, v15
	v_min_f32_e32 v5, 0x40e00000, v5
	v_pk_mul_f32 v[8:9], v[34:35], v[12:13]
	v_mul_f32_e32 v13, 0xbfd9db23, v5
	v_ldexp_f32 v12, v24, v15
	v_mul_f32_e32 v15, 0x3fb8aa3b, v13
	v_fma_f32 v24, v13, s19, -v15
	v_rndne_f32_e32 v25, v15
	v_fmac_f32_e32 v24, 0x32a5705f, v13
	v_sub_f32_e32 v15, v15, v25
	v_add_f32_e32 v15, v15, v24
	v_exp_f32_e32 v15, v15
	v_cvt_i32_f32_e32 v24, v25
	v_cmp_ngt_f32_e32 vcc, s20, v14
	v_max_f32_e32 v6, v6, v6
	v_min_f32_e32 v6, 0x40e00000, v6
	v_cndmask_b32_e32 v12, 0, v12, vcc
	v_cmp_nlt_f32_e32 vcc, s21, v14
	v_ldexp_f32 v14, v15, v24
	v_max_f32_e32 v7, v7, v7
	v_cndmask_b32_e32 v12, v31, v12, vcc
	v_cmp_ngt_f32_e32 vcc, s20, v13
	v_min_f32_e32 v7, 0x40e00000, v7
	v_add_f32_e32 v12, 1.0, v12
	v_cndmask_b32_e32 v14, 0, v14, vcc
	v_cmp_nlt_f32_e32 vcc, s21, v13
	v_rcp_f32_e32 v12, v12
	s_nop 0
	v_cndmask_b32_e32 v13, v31, v14, vcc
	v_mul_f32_e32 v14, 0xbfd9db23, v6
	v_mul_f32_e32 v15, 0x3fb8aa3b, v14
	v_fma_f32 v24, v14, s19, -v15
	v_rndne_f32_e32 v25, v15
	v_fmac_f32_e32 v24, 0x32a5705f, v14
	v_sub_f32_e32 v15, v15, v25
	v_add_f32_e32 v15, v15, v24
	v_exp_f32_e32 v15, v15
	v_cvt_i32_f32_e32 v24, v25
	v_cmp_ngt_f32_e32 vcc, s20, v14
	v_add_f32_e32 v13, 1.0, v13
	v_rcp_f32_e32 v13, v13
	v_ldexp_f32 v15, v15, v24
	v_mul_f32_e32 v24, 0xbfd9db23, v7
	v_mul_f32_e32 v25, 0x3fb8aa3b, v24
	v_fma_f32 v26, v24, s19, -v25
	v_rndne_f32_e32 v27, v25
	v_fmac_f32_e32 v26, 0x32a5705f, v24
	v_sub_f32_e32 v25, v25, v27
	v_add_f32_e32 v25, v25, v26
	v_exp_f32_e32 v25, v25
	v_cvt_i32_f32_e32 v26, v27
	v_cndmask_b32_e32 v15, 0, v15, vcc
	v_cmp_nlt_f32_e32 vcc, s21, v14
	v_pk_mul_f32 v[4:5], v[4:5], v[12:13]
	s_nop 0
	v_cndmask_b32_e32 v14, v31, v15, vcc
	v_ldexp_f32 v15, v25, v26
	v_cmp_ngt_f32_e32 vcc, s20, v24
	v_add_f32_e32 v14, 1.0, v14
	v_rcp_f32_e32 v14, v14
	v_cndmask_b32_e32 v15, 0, v15, vcc
	v_cmp_nlt_f32_e32 vcc, s21, v24
	s_waitcnt vmcnt(0)
	v_max_f32_e32 v24, v0, v0
	v_max_f32_e32 v25, v1, v1
	v_cndmask_b32_e32 v15, v31, v15, vcc
	v_add_f32_e32 v15, 1.0, v15
	v_rcp_f32_e32 v15, v15
	v_max_f32_e32 v0, v2, v2
	v_max_f32_e32 v1, v3, v3
	v_med3_f32 v1, v1, s22, v32
	v_med3_f32 v0, v0, s22, v32
	;; [unrolled: 1-line block ×4, first 2 shown]
	v_pk_add_f32 v[24:25], v[2:3], 1.0 op_sel_hi:[1,0]
	v_pk_add_f32 v[0:1], v[0:1], 1.0 op_sel_hi:[1,0]
	v_pk_mul_f32 v[2:3], v[6:7], v[14:15]
	v_cmp_le_i64_e32 vcc, s[12:13], v[28:29]
	v_pk_mul_f32 v[2:3], v[0:1], v[2:3]
	v_pk_mul_f32 v[0:1], v[24:25], v[4:5]
	buffer_store_dwordx4 v[16:19], v30, s[8:11], 0 offen
	buffer_store_dwordx4 v[20:23], v30, s[8:11], 16 offen
	;; [unrolled: 1-line block ×4, first 2 shown]
	s_or_b64 s[16:17], vcc, s[16:17]
	v_add_u32_e32 v30, s18, v30
	s_andn2_b64 exec, exec, s[16:17]
	s_cbranch_execnz .LBB65_2
.LBB65_3:
	s_endpgm
	.section	.rodata,"a",@progbits
	.p2align	6, 0x0
	.amdhsa_kernel _ZN5aiter25swiglu_act_and_mul_kernelIffLi16EEEvPT0_PKT_i
		.amdhsa_group_segment_fixed_size 0
		.amdhsa_private_segment_fixed_size 0
		.amdhsa_kernarg_size 280
		.amdhsa_user_sgpr_count 2
		.amdhsa_user_sgpr_dispatch_ptr 0
		.amdhsa_user_sgpr_queue_ptr 0
		.amdhsa_user_sgpr_kernarg_segment_ptr 1
		.amdhsa_user_sgpr_dispatch_id 0
		.amdhsa_user_sgpr_kernarg_preload_length 0
		.amdhsa_user_sgpr_kernarg_preload_offset 0
		.amdhsa_user_sgpr_private_segment_size 0
		.amdhsa_uses_dynamic_stack 0
		.amdhsa_enable_private_segment 0
		.amdhsa_system_sgpr_workgroup_id_x 1
		.amdhsa_system_sgpr_workgroup_id_y 0
		.amdhsa_system_sgpr_workgroup_id_z 0
		.amdhsa_system_sgpr_workgroup_info 0
		.amdhsa_system_vgpr_workitem_id 0
		.amdhsa_next_free_vgpr 57
		.amdhsa_next_free_sgpr 23
		.amdhsa_accum_offset 60
		.amdhsa_reserve_vcc 1
		.amdhsa_float_round_mode_32 0
		.amdhsa_float_round_mode_16_64 0
		.amdhsa_float_denorm_mode_32 3
		.amdhsa_float_denorm_mode_16_64 3
		.amdhsa_dx10_clamp 1
		.amdhsa_ieee_mode 1
		.amdhsa_fp16_overflow 0
		.amdhsa_tg_split 0
		.amdhsa_exception_fp_ieee_invalid_op 0
		.amdhsa_exception_fp_denorm_src 0
		.amdhsa_exception_fp_ieee_div_zero 0
		.amdhsa_exception_fp_ieee_overflow 0
		.amdhsa_exception_fp_ieee_underflow 0
		.amdhsa_exception_fp_ieee_inexact 0
		.amdhsa_exception_int_div_zero 0
	.end_amdhsa_kernel
	.section	.text._ZN5aiter25swiglu_act_and_mul_kernelIffLi16EEEvPT0_PKT_i,"axG",@progbits,_ZN5aiter25swiglu_act_and_mul_kernelIffLi16EEEvPT0_PKT_i,comdat
.Lfunc_end65:
	.size	_ZN5aiter25swiglu_act_and_mul_kernelIffLi16EEEvPT0_PKT_i, .Lfunc_end65-_ZN5aiter25swiglu_act_and_mul_kernelIffLi16EEEvPT0_PKT_i
                                        ; -- End function
	.section	.AMDGPU.csdata,"",@progbits
; Kernel info:
; codeLenInByte = 2320
; NumSgprs: 29
; NumVgprs: 57
; NumAgprs: 0
; TotalNumVgprs: 57
; ScratchSize: 0
; MemoryBound: 0
; FloatMode: 240
; IeeeMode: 1
; LDSByteSize: 0 bytes/workgroup (compile time only)
; SGPRBlocks: 3
; VGPRBlocks: 7
; NumSGPRsForWavesPerEU: 29
; NumVGPRsForWavesPerEU: 57
; AccumOffset: 60
; Occupancy: 8
; WaveLimiterHint : 0
; COMPUTE_PGM_RSRC2:SCRATCH_EN: 0
; COMPUTE_PGM_RSRC2:USER_SGPR: 2
; COMPUTE_PGM_RSRC2:TRAP_HANDLER: 0
; COMPUTE_PGM_RSRC2:TGID_X_EN: 1
; COMPUTE_PGM_RSRC2:TGID_Y_EN: 0
; COMPUTE_PGM_RSRC2:TGID_Z_EN: 0
; COMPUTE_PGM_RSRC2:TIDIG_COMP_CNT: 0
; COMPUTE_PGM_RSRC3_GFX90A:ACCUM_OFFSET: 14
; COMPUTE_PGM_RSRC3_GFX90A:TG_SPLIT: 0
	.section	.text._ZN5aiter25swiglu_act_and_mul_kernelIffLi8EEEvPT0_PKT_i,"axG",@progbits,_ZN5aiter25swiglu_act_and_mul_kernelIffLi8EEEvPT0_PKT_i,comdat
	.protected	_ZN5aiter25swiglu_act_and_mul_kernelIffLi8EEEvPT0_PKT_i ; -- Begin function _ZN5aiter25swiglu_act_and_mul_kernelIffLi8EEEvPT0_PKT_i
	.globl	_ZN5aiter25swiglu_act_and_mul_kernelIffLi8EEEvPT0_PKT_i
	.p2align	8
	.type	_ZN5aiter25swiglu_act_and_mul_kernelIffLi8EEEvPT0_PKT_i,@function
_ZN5aiter25swiglu_act_and_mul_kernelIffLi8EEEvPT0_PKT_i: ; @_ZN5aiter25swiglu_act_and_mul_kernelIffLi8EEEvPT0_PKT_i
; %bb.0:
	s_load_dword s12, s[0:1], 0x10
	v_lshlrev_b32_e32 v8, 3, v0
	s_waitcnt lgkmcnt(0)
	v_cmp_gt_i32_e32 vcc, s12, v8
	s_and_saveexec_b64 s[4:5], vcc
	s_cbranch_execz .LBB66_3
; %bb.1:
	s_load_dwordx4 s[8:11], s[0:1], 0x0
	s_load_dword s14, s[0:1], 0x24
	s_ashr_i32 s13, s12, 31
	s_mul_hi_u32 s3, s12, s2
	s_mul_i32 s4, s13, s2
	s_add_i32 s7, s3, s4
	s_mul_i32 s6, s12, s2
	s_lshl_b64 s[2:3], s[6:7], 3
	s_waitcnt lgkmcnt(0)
	s_add_u32 s0, s10, s2
	s_addc_u32 s1, s11, s3
	s_lshl_b64 s[2:3], s[12:13], 2
	s_add_u32 s4, s0, s2
	s_addc_u32 s5, s1, s3
	s_lshl_b32 s2, s12, 2
	s_and_b32 s1, s1, 0xffff
	s_and_b32 s5, s5, 0xffff
	s_lshl_b64 s[6:7], s[6:7], 2
	s_add_u32 s8, s8, s6
	s_addc_u32 s6, s9, s7
	s_mov_b32 s3, 0x20000
	s_and_b32 s9, s6, 0xffff
	s_and_b32 s6, s14, 0xffff
	s_mov_b32 s15, 0
	v_mov_b32_e32 v9, 0
	s_lshl_b32 s14, s6, 3
	v_lshlrev_b32_e32 v10, 5, v0
	s_lshl_b32 s18, s6, 5
	s_mov_b64 s[16:17], 0
	s_mov_b32 s6, s2
	s_mov_b32 s7, s3
	s_mov_b32 s19, 0x3fb8aa3b
	s_mov_b32 s20, 0xc2ce8ed0
	s_mov_b32 s21, 0x42b17218
	v_mov_b32_e32 v11, 0x7f800000
	s_mov_b32 s22, 0xc0e00000
	v_mov_b32_e32 v12, 0x40e00000
	s_mov_b32 s10, s2
	s_mov_b32 s11, s3
.LBB66_2:                               ; =>This Inner Loop Header: Depth=1
	buffer_load_dwordx4 v[14:17], v10, s[0:3], 0 offen
	buffer_load_dwordx4 v[18:21], v10, s[4:7], 0 offen
	buffer_load_dwordx4 v[4:7], v10, s[0:3], 16 offen
	buffer_load_dwordx4 v[0:3], v10, s[4:7], 16 offen
	v_lshl_add_u64 v[8:9], s[14:15], 0, v[8:9]
	s_waitcnt vmcnt(3)
	v_max_f32_e32 v14, v14, v14
	v_max_f32_e32 v13, v15, v15
	v_min_f32_e32 v14, 0x40e00000, v14
	v_max_f32_e32 v16, v16, v16
	s_waitcnt vmcnt(2)
	v_max_f32_e32 v22, v18, v18
	v_min_f32_e32 v15, 0x40e00000, v13
	v_mul_f32_e32 v13, 0xbfd9db23, v14
	v_max_f32_e32 v17, v17, v17
	v_max_f32_e32 v23, v19, v19
	;; [unrolled: 1-line block ×3, first 2 shown]
	v_min_f32_e32 v16, 0x40e00000, v16
	v_med3_f32 v20, v22, s22, v12
	v_mul_f32_e32 v22, 0xbfd9db23, v15
	v_mul_f32_e32 v25, 0x3fb8aa3b, v13
	v_max_f32_e32 v19, v21, v21
	v_min_f32_e32 v17, 0x40e00000, v17
	v_med3_f32 v21, v23, s22, v12
	v_mul_f32_e32 v23, 0xbfd9db23, v16
	v_mul_f32_e32 v27, 0x3fb8aa3b, v22
	v_fma_f32 v31, v13, s19, -v25
	v_rndne_f32_e32 v32, v25
	v_mul_f32_e32 v24, 0xbfd9db23, v17
	v_mul_f32_e32 v28, 0x3fb8aa3b, v23
	v_fma_f32 v33, v22, s19, -v27
	v_rndne_f32_e32 v34, v27
	v_fmac_f32_e32 v31, 0x32a5705f, v13
	v_sub_f32_e32 v25, v25, v32
	v_mul_f32_e32 v29, 0x3fb8aa3b, v24
	v_fma_f32 v35, v23, s19, -v28
	v_rndne_f32_e32 v36, v28
	v_fmac_f32_e32 v33, 0x32a5705f, v22
	v_sub_f32_e32 v27, v27, v34
	v_add_f32_e32 v25, v25, v31
	v_fma_f32 v37, v24, s19, -v29
	v_rndne_f32_e32 v38, v29
	v_cvt_i32_f32_e32 v32, v32
	v_fmac_f32_e32 v35, 0x32a5705f, v23
	v_sub_f32_e32 v28, v28, v36
	v_add_f32_e32 v27, v27, v33
	v_exp_f32_e32 v25, v25
	v_cvt_i32_f32_e32 v34, v34
	v_fmac_f32_e32 v37, 0x32a5705f, v24
	v_sub_f32_e32 v29, v29, v38
	v_add_f32_e32 v28, v28, v35
	v_exp_f32_e32 v27, v27
	v_cvt_i32_f32_e32 v36, v36
	v_add_f32_e32 v29, v29, v37
	v_exp_f32_e32 v28, v28
	v_cvt_i32_f32_e32 v38, v38
	v_exp_f32_e32 v29, v29
	v_ldexp_f32 v25, v25, v32
	v_cmp_ngt_f32_e32 vcc, s20, v13
	v_ldexp_f32 v27, v27, v34
	v_ldexp_f32 v28, v28, v36
	v_cndmask_b32_e32 v25, 0, v25, vcc
	v_cmp_ngt_f32_e32 vcc, s20, v22
	v_ldexp_f32 v29, v29, v38
	s_waitcnt vmcnt(1)
	v_max_f32_e32 v4, v4, v4
	v_cndmask_b32_e32 v27, 0, v27, vcc
	v_cmp_ngt_f32_e32 vcc, s20, v23
	v_min_f32_e32 v4, 0x40e00000, v4
	v_mul_f32_e32 v26, 0xbfd9db23, v4
	v_cndmask_b32_e32 v28, 0, v28, vcc
	v_cmp_ngt_f32_e32 vcc, s20, v24
	v_mul_f32_e32 v30, 0x3fb8aa3b, v26
	v_med3_f32 v19, v19, s22, v12
	v_cndmask_b32_e32 v29, 0, v29, vcc
	v_cmp_nlt_f32_e32 vcc, s21, v13
	v_med3_f32 v18, v18, s22, v12
	v_fma_f32 v39, v26, s19, -v30
	v_cndmask_b32_e32 v13, v11, v25, vcc
	v_cmp_nlt_f32_e32 vcc, s21, v22
	v_add_f32_e32 v13, 1.0, v13
	v_rndne_f32_e32 v40, v30
	v_cndmask_b32_e32 v22, v11, v27, vcc
	v_cmp_nlt_f32_e32 vcc, s21, v23
	v_add_f32_e32 v25, 1.0, v22
	v_rcp_f32_e32 v22, v13
	v_cndmask_b32_e32 v23, v11, v28, vcc
	v_cmp_nlt_f32_e32 vcc, s21, v24
	v_add_f32_e32 v27, 1.0, v23
	v_rcp_f32_e32 v23, v25
	v_cndmask_b32_e32 v24, v11, v29, vcc
	v_add_f32_e32 v28, 1.0, v24
	v_rcp_f32_e32 v24, v27
	v_rcp_f32_e32 v25, v28
	v_max_f32_e32 v5, v5, v5
	v_pk_add_f32 v[18:19], v[18:19], 1.0 op_sel_hi:[1,0]
	v_fmac_f32_e32 v39, 0x32a5705f, v26
	v_sub_f32_e32 v30, v30, v40
	v_pk_mul_f32 v[16:17], v[16:17], v[24:25]
	v_min_f32_e32 v5, 0x40e00000, v5
	v_add_f32_e32 v13, v30, v39
	v_pk_mul_f32 v[16:17], v[18:19], v[16:17]
	v_mul_f32_e32 v19, 0xbfd9db23, v5
	v_pk_add_f32 v[20:21], v[20:21], 1.0 op_sel_hi:[1,0]
	v_cvt_i32_f32_e32 v40, v40
	v_exp_f32_e32 v13, v13
	v_pk_mul_f32 v[14:15], v[14:15], v[22:23]
	v_mul_f32_e32 v18, 0x3fb8aa3b, v19
	v_pk_mul_f32 v[14:15], v[20:21], v[14:15]
	v_fma_f32 v20, v19, s19, -v18
	v_rndne_f32_e32 v21, v18
	v_fmac_f32_e32 v20, 0x32a5705f, v19
	v_sub_f32_e32 v18, v18, v21
	v_add_f32_e32 v18, v18, v20
	v_ldexp_f32 v13, v13, v40
	v_cmp_ngt_f32_e32 vcc, s20, v26
	v_exp_f32_e32 v20, v18
	v_cvt_i32_f32_e32 v21, v21
	v_cndmask_b32_e32 v13, 0, v13, vcc
	v_cmp_nlt_f32_e32 vcc, s21, v26
	v_max_f32_e32 v6, v6, v6
	v_min_f32_e32 v6, 0x40e00000, v6
	v_cndmask_b32_e32 v13, v11, v13, vcc
	v_add_f32_e32 v13, 1.0, v13
	v_rcp_f32_e32 v18, v13
	v_ldexp_f32 v13, v20, v21
	v_cmp_ngt_f32_e32 vcc, s20, v19
	v_mul_f32_e32 v20, 0xbfd9db23, v6
	v_max_f32_e32 v7, v7, v7
	v_cndmask_b32_e32 v13, 0, v13, vcc
	v_cmp_nlt_f32_e32 vcc, s21, v19
	v_mul_f32_e32 v19, 0x3fb8aa3b, v20
	v_fma_f32 v21, v20, s19, -v19
	v_rndne_f32_e32 v22, v19
	v_fmac_f32_e32 v21, 0x32a5705f, v20
	v_sub_f32_e32 v19, v19, v22
	v_add_f32_e32 v19, v19, v21
	v_exp_f32_e32 v21, v19
	v_cvt_i32_f32_e32 v22, v22
	v_cndmask_b32_e32 v13, v11, v13, vcc
	v_add_f32_e32 v13, 1.0, v13
	v_min_f32_e32 v7, 0x40e00000, v7
	v_rcp_f32_e32 v19, v13
	v_ldexp_f32 v13, v21, v22
	v_mul_f32_e32 v21, 0xbfd9db23, v7
	v_mul_f32_e32 v22, 0x3fb8aa3b, v21
	v_fma_f32 v23, v21, s19, -v22
	v_rndne_f32_e32 v24, v22
	v_fmac_f32_e32 v23, 0x32a5705f, v21
	v_sub_f32_e32 v22, v22, v24
	v_add_f32_e32 v22, v22, v23
	v_cmp_ngt_f32_e32 vcc, s20, v20
	v_exp_f32_e32 v22, v22
	v_cvt_i32_f32_e32 v23, v24
	v_cndmask_b32_e32 v13, 0, v13, vcc
	v_cmp_nlt_f32_e32 vcc, s21, v20
	v_pk_mul_f32 v[4:5], v[4:5], v[18:19]
	s_nop 0
	v_cndmask_b32_e32 v13, v11, v13, vcc
	v_add_f32_e32 v13, 1.0, v13
	v_rcp_f32_e32 v20, v13
	v_ldexp_f32 v13, v22, v23
	v_cmp_ngt_f32_e32 vcc, s20, v21
	s_waitcnt vmcnt(0)
	v_max_f32_e32 v22, v1, v1
	v_max_f32_e32 v1, v3, v3
	v_cndmask_b32_e32 v13, 0, v13, vcc
	v_cmp_nlt_f32_e32 vcc, s21, v21
	v_med3_f32 v1, v1, s22, v12
	v_med3_f32 v3, v22, s22, v12
	v_cndmask_b32_e32 v13, v11, v13, vcc
	v_add_f32_e32 v13, 1.0, v13
	v_rcp_f32_e32 v21, v13
	v_max_f32_e32 v13, v0, v0
	v_max_f32_e32 v0, v2, v2
	v_med3_f32 v0, v0, s22, v12
	v_med3_f32 v2, v13, s22, v12
	v_pk_add_f32 v[22:23], v[2:3], 1.0 op_sel_hi:[1,0]
	v_pk_add_f32 v[0:1], v[0:1], 1.0 op_sel_hi:[1,0]
	v_pk_mul_f32 v[2:3], v[6:7], v[20:21]
	v_cmp_le_i64_e32 vcc, s[12:13], v[8:9]
	v_pk_mul_f32 v[2:3], v[0:1], v[2:3]
	v_pk_mul_f32 v[0:1], v[22:23], v[4:5]
	buffer_store_dwordx4 v[14:17], v10, s[8:11], 0 offen
	buffer_store_dwordx4 v[0:3], v10, s[8:11], 16 offen
	s_or_b64 s[16:17], vcc, s[16:17]
	v_add_u32_e32 v10, s18, v10
	s_andn2_b64 exec, exec, s[16:17]
	s_cbranch_execnz .LBB66_2
.LBB66_3:
	s_endpgm
	.section	.rodata,"a",@progbits
	.p2align	6, 0x0
	.amdhsa_kernel _ZN5aiter25swiglu_act_and_mul_kernelIffLi8EEEvPT0_PKT_i
		.amdhsa_group_segment_fixed_size 0
		.amdhsa_private_segment_fixed_size 0
		.amdhsa_kernarg_size 280
		.amdhsa_user_sgpr_count 2
		.amdhsa_user_sgpr_dispatch_ptr 0
		.amdhsa_user_sgpr_queue_ptr 0
		.amdhsa_user_sgpr_kernarg_segment_ptr 1
		.amdhsa_user_sgpr_dispatch_id 0
		.amdhsa_user_sgpr_kernarg_preload_length 0
		.amdhsa_user_sgpr_kernarg_preload_offset 0
		.amdhsa_user_sgpr_private_segment_size 0
		.amdhsa_uses_dynamic_stack 0
		.amdhsa_enable_private_segment 0
		.amdhsa_system_sgpr_workgroup_id_x 1
		.amdhsa_system_sgpr_workgroup_id_y 0
		.amdhsa_system_sgpr_workgroup_id_z 0
		.amdhsa_system_sgpr_workgroup_info 0
		.amdhsa_system_vgpr_workitem_id 0
		.amdhsa_next_free_vgpr 41
		.amdhsa_next_free_sgpr 23
		.amdhsa_accum_offset 44
		.amdhsa_reserve_vcc 1
		.amdhsa_float_round_mode_32 0
		.amdhsa_float_round_mode_16_64 0
		.amdhsa_float_denorm_mode_32 3
		.amdhsa_float_denorm_mode_16_64 3
		.amdhsa_dx10_clamp 1
		.amdhsa_ieee_mode 1
		.amdhsa_fp16_overflow 0
		.amdhsa_tg_split 0
		.amdhsa_exception_fp_ieee_invalid_op 0
		.amdhsa_exception_fp_denorm_src 0
		.amdhsa_exception_fp_ieee_div_zero 0
		.amdhsa_exception_fp_ieee_overflow 0
		.amdhsa_exception_fp_ieee_underflow 0
		.amdhsa_exception_fp_ieee_inexact 0
		.amdhsa_exception_int_div_zero 0
	.end_amdhsa_kernel
	.section	.text._ZN5aiter25swiglu_act_and_mul_kernelIffLi8EEEvPT0_PKT_i,"axG",@progbits,_ZN5aiter25swiglu_act_and_mul_kernelIffLi8EEEvPT0_PKT_i,comdat
.Lfunc_end66:
	.size	_ZN5aiter25swiglu_act_and_mul_kernelIffLi8EEEvPT0_PKT_i, .Lfunc_end66-_ZN5aiter25swiglu_act_and_mul_kernelIffLi8EEEvPT0_PKT_i
                                        ; -- End function
	.section	.AMDGPU.csdata,"",@progbits
; Kernel info:
; codeLenInByte = 1296
; NumSgprs: 29
; NumVgprs: 41
; NumAgprs: 0
; TotalNumVgprs: 41
; ScratchSize: 0
; MemoryBound: 0
; FloatMode: 240
; IeeeMode: 1
; LDSByteSize: 0 bytes/workgroup (compile time only)
; SGPRBlocks: 3
; VGPRBlocks: 5
; NumSGPRsForWavesPerEU: 29
; NumVGPRsForWavesPerEU: 41
; AccumOffset: 44
; Occupancy: 8
; WaveLimiterHint : 0
; COMPUTE_PGM_RSRC2:SCRATCH_EN: 0
; COMPUTE_PGM_RSRC2:USER_SGPR: 2
; COMPUTE_PGM_RSRC2:TRAP_HANDLER: 0
; COMPUTE_PGM_RSRC2:TGID_X_EN: 1
; COMPUTE_PGM_RSRC2:TGID_Y_EN: 0
; COMPUTE_PGM_RSRC2:TGID_Z_EN: 0
; COMPUTE_PGM_RSRC2:TIDIG_COMP_CNT: 0
; COMPUTE_PGM_RSRC3_GFX90A:ACCUM_OFFSET: 10
; COMPUTE_PGM_RSRC3_GFX90A:TG_SPLIT: 0
	.section	.text._ZN5aiter25swiglu_act_and_mul_kernelIffLi4EEEvPT0_PKT_i,"axG",@progbits,_ZN5aiter25swiglu_act_and_mul_kernelIffLi4EEEvPT0_PKT_i,comdat
	.protected	_ZN5aiter25swiglu_act_and_mul_kernelIffLi4EEEvPT0_PKT_i ; -- Begin function _ZN5aiter25swiglu_act_and_mul_kernelIffLi4EEEvPT0_PKT_i
	.globl	_ZN5aiter25swiglu_act_and_mul_kernelIffLi4EEEvPT0_PKT_i
	.p2align	8
	.type	_ZN5aiter25swiglu_act_and_mul_kernelIffLi4EEEvPT0_PKT_i,@function
_ZN5aiter25swiglu_act_and_mul_kernelIffLi4EEEvPT0_PKT_i: ; @_ZN5aiter25swiglu_act_and_mul_kernelIffLi4EEEvPT0_PKT_i
; %bb.0:
	s_load_dword s12, s[0:1], 0x10
	v_lshlrev_b32_e32 v2, 2, v0
	s_waitcnt lgkmcnt(0)
	v_cmp_gt_i32_e32 vcc, s12, v2
	s_and_saveexec_b64 s[4:5], vcc
	s_cbranch_execz .LBB67_3
; %bb.1:
	s_load_dwordx4 s[8:11], s[0:1], 0x0
	s_load_dword s14, s[0:1], 0x24
	s_ashr_i32 s13, s12, 31
	s_mul_hi_u32 s3, s12, s2
	s_mul_i32 s4, s13, s2
	s_add_i32 s7, s3, s4
	s_mul_i32 s6, s12, s2
	s_lshl_b64 s[2:3], s[6:7], 3
	s_waitcnt lgkmcnt(0)
	s_add_u32 s0, s10, s2
	s_addc_u32 s1, s11, s3
	s_lshl_b64 s[2:3], s[12:13], 2
	s_add_u32 s4, s0, s2
	s_addc_u32 s5, s1, s3
	s_lshl_b32 s2, s12, 2
	s_and_b32 s1, s1, 0xffff
	s_and_b32 s5, s5, 0xffff
	s_lshl_b64 s[6:7], s[6:7], 2
	s_add_u32 s8, s8, s6
	s_addc_u32 s6, s9, s7
	s_mov_b32 s3, 0x20000
	s_and_b32 s9, s6, 0xffff
	s_and_b32 s6, s14, 0xffff
	s_mov_b32 s15, 0
	v_mov_b32_e32 v3, 0
	s_lshl_b32 s14, s6, 2
	v_lshlrev_b32_e32 v0, 4, v0
	s_lshl_b32 s18, s6, 4
	s_mov_b64 s[16:17], 0
	s_mov_b32 s6, s2
	s_mov_b32 s7, s3
	;; [unrolled: 1-line block ×5, first 2 shown]
	v_mov_b32_e32 v1, 0x7f800000
	s_mov_b32 s22, 0xc0e00000
	v_mov_b32_e32 v4, 0x40e00000
	s_mov_b32 s10, s2
	s_mov_b32 s11, s3
.LBB67_2:                               ; =>This Inner Loop Header: Depth=1
	buffer_load_dwordx4 v[6:9], v0, s[0:3], 0 offen
	buffer_load_dwordx4 v[10:13], v0, s[4:7], 0 offen
	v_lshl_add_u64 v[2:3], s[14:15], 0, v[2:3]
	v_cmp_le_i64_e32 vcc, s[12:13], v[2:3]
	s_or_b64 s[16:17], vcc, s[16:17]
	s_waitcnt vmcnt(1)
	v_max_f32_e32 v6, v6, v6
	v_max_f32_e32 v5, v7, v7
	v_min_f32_e32 v6, 0x40e00000, v6
	v_max_f32_e32 v8, v8, v8
	s_waitcnt vmcnt(0)
	v_max_f32_e32 v14, v10, v10
	v_min_f32_e32 v7, 0x40e00000, v5
	v_mul_f32_e32 v5, 0xbfd9db23, v6
	v_max_f32_e32 v9, v9, v9
	v_max_f32_e32 v15, v11, v11
	;; [unrolled: 1-line block ×3, first 2 shown]
	v_min_f32_e32 v8, 0x40e00000, v8
	v_med3_f32 v12, v14, s22, v4
	v_mul_f32_e32 v14, 0xbfd9db23, v7
	v_mul_f32_e32 v17, 0x3fb8aa3b, v5
	v_max_f32_e32 v11, v13, v13
	v_min_f32_e32 v9, 0x40e00000, v9
	v_med3_f32 v13, v15, s22, v4
	v_mul_f32_e32 v15, 0xbfd9db23, v8
	v_mul_f32_e32 v18, 0x3fb8aa3b, v14
	v_fma_f32 v21, v5, s19, -v17
	v_rndne_f32_e32 v22, v17
	v_mul_f32_e32 v16, 0xbfd9db23, v9
	v_mul_f32_e32 v19, 0x3fb8aa3b, v15
	v_fma_f32 v23, v14, s19, -v18
	v_rndne_f32_e32 v24, v18
	v_fmac_f32_e32 v21, 0x32a5705f, v5
	v_sub_f32_e32 v17, v17, v22
	v_mul_f32_e32 v20, 0x3fb8aa3b, v16
	v_fma_f32 v25, v15, s19, -v19
	v_rndne_f32_e32 v26, v19
	v_fmac_f32_e32 v23, 0x32a5705f, v14
	v_sub_f32_e32 v18, v18, v24
	v_add_f32_e32 v17, v17, v21
	v_fma_f32 v27, v16, s19, -v20
	v_rndne_f32_e32 v28, v20
	v_cvt_i32_f32_e32 v22, v22
	v_fmac_f32_e32 v25, 0x32a5705f, v15
	v_sub_f32_e32 v19, v19, v26
	v_add_f32_e32 v18, v18, v23
	v_exp_f32_e32 v17, v17
	v_cvt_i32_f32_e32 v24, v24
	v_fmac_f32_e32 v27, 0x32a5705f, v16
	v_sub_f32_e32 v20, v20, v28
	v_add_f32_e32 v19, v19, v25
	v_exp_f32_e32 v18, v18
	v_cvt_i32_f32_e32 v26, v26
	v_add_f32_e32 v20, v20, v27
	v_exp_f32_e32 v19, v19
	v_cvt_i32_f32_e32 v28, v28
	v_exp_f32_e32 v20, v20
	v_ldexp_f32 v17, v17, v22
	v_cmp_ngt_f32_e32 vcc, s20, v5
	v_ldexp_f32 v18, v18, v24
	v_ldexp_f32 v19, v19, v26
	v_cndmask_b32_e32 v17, 0, v17, vcc
	v_cmp_ngt_f32_e32 vcc, s20, v14
	v_ldexp_f32 v20, v20, v28
	v_med3_f32 v11, v11, s22, v4
	v_cndmask_b32_e32 v18, 0, v18, vcc
	v_cmp_ngt_f32_e32 vcc, s20, v15
	v_med3_f32 v10, v10, s22, v4
	v_pk_add_f32 v[12:13], v[12:13], 1.0 op_sel_hi:[1,0]
	v_cndmask_b32_e32 v19, 0, v19, vcc
	v_cmp_ngt_f32_e32 vcc, s20, v16
	v_pk_add_f32 v[10:11], v[10:11], 1.0 op_sel_hi:[1,0]
	s_nop 0
	v_cndmask_b32_e32 v20, 0, v20, vcc
	v_cmp_nlt_f32_e32 vcc, s21, v5
	s_nop 1
	v_cndmask_b32_e32 v5, v1, v17, vcc
	v_cmp_nlt_f32_e32 vcc, s21, v14
	v_add_f32_e32 v5, 1.0, v5
	s_nop 0
	v_cndmask_b32_e32 v14, v1, v18, vcc
	v_cmp_nlt_f32_e32 vcc, s21, v15
	v_add_f32_e32 v17, 1.0, v14
	v_rcp_f32_e32 v14, v5
	v_cndmask_b32_e32 v15, v1, v19, vcc
	v_cmp_nlt_f32_e32 vcc, s21, v16
	v_add_f32_e32 v18, 1.0, v15
	v_rcp_f32_e32 v15, v17
	v_cndmask_b32_e32 v16, v1, v20, vcc
	v_add_f32_e32 v19, 1.0, v16
	v_rcp_f32_e32 v16, v18
	v_rcp_f32_e32 v17, v19
	v_pk_mul_f32 v[6:7], v[6:7], v[14:15]
	v_pk_mul_f32 v[8:9], v[8:9], v[16:17]
	s_nop 0
	v_pk_mul_f32 v[8:9], v[10:11], v[8:9]
	v_pk_mul_f32 v[6:7], v[12:13], v[6:7]
	buffer_store_dwordx4 v[6:9], v0, s[8:11], 0 offen
	v_add_u32_e32 v0, s18, v0
	s_andn2_b64 exec, exec, s[16:17]
	s_cbranch_execnz .LBB67_2
.LBB67_3:
	s_endpgm
	.section	.rodata,"a",@progbits
	.p2align	6, 0x0
	.amdhsa_kernel _ZN5aiter25swiglu_act_and_mul_kernelIffLi4EEEvPT0_PKT_i
		.amdhsa_group_segment_fixed_size 0
		.amdhsa_private_segment_fixed_size 0
		.amdhsa_kernarg_size 280
		.amdhsa_user_sgpr_count 2
		.amdhsa_user_sgpr_dispatch_ptr 0
		.amdhsa_user_sgpr_queue_ptr 0
		.amdhsa_user_sgpr_kernarg_segment_ptr 1
		.amdhsa_user_sgpr_dispatch_id 0
		.amdhsa_user_sgpr_kernarg_preload_length 0
		.amdhsa_user_sgpr_kernarg_preload_offset 0
		.amdhsa_user_sgpr_private_segment_size 0
		.amdhsa_uses_dynamic_stack 0
		.amdhsa_enable_private_segment 0
		.amdhsa_system_sgpr_workgroup_id_x 1
		.amdhsa_system_sgpr_workgroup_id_y 0
		.amdhsa_system_sgpr_workgroup_id_z 0
		.amdhsa_system_sgpr_workgroup_info 0
		.amdhsa_system_vgpr_workitem_id 0
		.amdhsa_next_free_vgpr 29
		.amdhsa_next_free_sgpr 23
		.amdhsa_accum_offset 32
		.amdhsa_reserve_vcc 1
		.amdhsa_float_round_mode_32 0
		.amdhsa_float_round_mode_16_64 0
		.amdhsa_float_denorm_mode_32 3
		.amdhsa_float_denorm_mode_16_64 3
		.amdhsa_dx10_clamp 1
		.amdhsa_ieee_mode 1
		.amdhsa_fp16_overflow 0
		.amdhsa_tg_split 0
		.amdhsa_exception_fp_ieee_invalid_op 0
		.amdhsa_exception_fp_denorm_src 0
		.amdhsa_exception_fp_ieee_div_zero 0
		.amdhsa_exception_fp_ieee_overflow 0
		.amdhsa_exception_fp_ieee_underflow 0
		.amdhsa_exception_fp_ieee_inexact 0
		.amdhsa_exception_int_div_zero 0
	.end_amdhsa_kernel
	.section	.text._ZN5aiter25swiglu_act_and_mul_kernelIffLi4EEEvPT0_PKT_i,"axG",@progbits,_ZN5aiter25swiglu_act_and_mul_kernelIffLi4EEEvPT0_PKT_i,comdat
.Lfunc_end67:
	.size	_ZN5aiter25swiglu_act_and_mul_kernelIffLi4EEEvPT0_PKT_i, .Lfunc_end67-_ZN5aiter25swiglu_act_and_mul_kernelIffLi4EEEvPT0_PKT_i
                                        ; -- End function
	.section	.AMDGPU.csdata,"",@progbits
; Kernel info:
; codeLenInByte = 796
; NumSgprs: 29
; NumVgprs: 29
; NumAgprs: 0
; TotalNumVgprs: 29
; ScratchSize: 0
; MemoryBound: 0
; FloatMode: 240
; IeeeMode: 1
; LDSByteSize: 0 bytes/workgroup (compile time only)
; SGPRBlocks: 3
; VGPRBlocks: 3
; NumSGPRsForWavesPerEU: 29
; NumVGPRsForWavesPerEU: 29
; AccumOffset: 32
; Occupancy: 8
; WaveLimiterHint : 0
; COMPUTE_PGM_RSRC2:SCRATCH_EN: 0
; COMPUTE_PGM_RSRC2:USER_SGPR: 2
; COMPUTE_PGM_RSRC2:TRAP_HANDLER: 0
; COMPUTE_PGM_RSRC2:TGID_X_EN: 1
; COMPUTE_PGM_RSRC2:TGID_Y_EN: 0
; COMPUTE_PGM_RSRC2:TGID_Z_EN: 0
; COMPUTE_PGM_RSRC2:TIDIG_COMP_CNT: 0
; COMPUTE_PGM_RSRC3_GFX90A:ACCUM_OFFSET: 7
; COMPUTE_PGM_RSRC3_GFX90A:TG_SPLIT: 0
	.section	.text._ZN5aiter25swiglu_act_and_mul_kernelIffLi2EEEvPT0_PKT_i,"axG",@progbits,_ZN5aiter25swiglu_act_and_mul_kernelIffLi2EEEvPT0_PKT_i,comdat
	.protected	_ZN5aiter25swiglu_act_and_mul_kernelIffLi2EEEvPT0_PKT_i ; -- Begin function _ZN5aiter25swiglu_act_and_mul_kernelIffLi2EEEvPT0_PKT_i
	.globl	_ZN5aiter25swiglu_act_and_mul_kernelIffLi2EEEvPT0_PKT_i
	.p2align	8
	.type	_ZN5aiter25swiglu_act_and_mul_kernelIffLi2EEEvPT0_PKT_i,@function
_ZN5aiter25swiglu_act_and_mul_kernelIffLi2EEEvPT0_PKT_i: ; @_ZN5aiter25swiglu_act_and_mul_kernelIffLi2EEEvPT0_PKT_i
; %bb.0:
	s_load_dword s12, s[0:1], 0x10
	v_lshlrev_b32_e32 v2, 1, v0
	s_waitcnt lgkmcnt(0)
	v_cmp_gt_i32_e32 vcc, s12, v2
	s_and_saveexec_b64 s[4:5], vcc
	s_cbranch_execz .LBB68_3
; %bb.1:
	s_load_dwordx4 s[8:11], s[0:1], 0x0
	s_load_dword s14, s[0:1], 0x24
	s_ashr_i32 s13, s12, 31
	s_mul_hi_u32 s3, s12, s2
	s_mul_i32 s4, s13, s2
	s_add_i32 s7, s3, s4
	s_mul_i32 s6, s12, s2
	s_lshl_b64 s[2:3], s[6:7], 3
	s_waitcnt lgkmcnt(0)
	s_add_u32 s0, s10, s2
	s_addc_u32 s1, s11, s3
	s_lshl_b64 s[2:3], s[12:13], 2
	s_add_u32 s4, s0, s2
	s_addc_u32 s5, s1, s3
	s_lshl_b32 s2, s12, 2
	s_and_b32 s1, s1, 0xffff
	s_and_b32 s5, s5, 0xffff
	s_lshl_b64 s[6:7], s[6:7], 2
	s_add_u32 s8, s8, s6
	s_addc_u32 s6, s9, s7
	s_mov_b32 s3, 0x20000
	s_and_b32 s9, s6, 0xffff
	s_and_b32 s6, s14, 0xffff
	s_mov_b32 s15, 0
	v_mov_b32_e32 v3, 0
	s_lshl_b32 s14, s6, 1
	v_lshlrev_b32_e32 v0, 3, v0
	s_lshl_b32 s18, s6, 3
	s_mov_b64 s[16:17], 0
	s_mov_b32 s6, s2
	s_mov_b32 s7, s3
	;; [unrolled: 1-line block ×5, first 2 shown]
	v_mov_b32_e32 v1, 0x7f800000
	s_mov_b32 s22, 0xc0e00000
	v_mov_b32_e32 v4, 0x40e00000
	s_mov_b32 s10, s2
	s_mov_b32 s11, s3
.LBB68_2:                               ; =>This Inner Loop Header: Depth=1
	buffer_load_dwordx2 v[6:7], v0, s[0:3], 0 offen
	buffer_load_dwordx2 v[8:9], v0, s[4:7], 0 offen
	v_lshl_add_u64 v[2:3], s[14:15], 0, v[2:3]
	v_cmp_le_i64_e32 vcc, s[12:13], v[2:3]
	s_or_b64 s[16:17], vcc, s[16:17]
	s_waitcnt vmcnt(1)
	v_max_f32_e32 v6, v6, v6
	v_max_f32_e32 v5, v7, v7
	v_min_f32_e32 v6, 0x40e00000, v6
	v_min_f32_e32 v7, 0x40e00000, v5
	v_mul_f32_e32 v5, 0xbfd9db23, v6
	v_mul_f32_e32 v10, 0xbfd9db23, v7
	;; [unrolled: 1-line block ×4, first 2 shown]
	v_fma_f32 v13, v5, s19, -v11
	v_rndne_f32_e32 v14, v11
	v_fma_f32 v15, v10, s19, -v12
	v_rndne_f32_e32 v16, v12
	v_fmac_f32_e32 v13, 0x32a5705f, v5
	v_sub_f32_e32 v11, v11, v14
	v_fmac_f32_e32 v15, 0x32a5705f, v10
	v_sub_f32_e32 v12, v12, v16
	v_add_f32_e32 v11, v11, v13
	v_cvt_i32_f32_e32 v14, v14
	v_add_f32_e32 v12, v12, v15
	v_exp_f32_e32 v11, v11
	v_cvt_i32_f32_e32 v16, v16
	v_exp_f32_e32 v12, v12
	s_waitcnt vmcnt(0)
	v_max_f32_e32 v13, v8, v8
	v_ldexp_f32 v8, v11, v14
	v_cmp_ngt_f32_e32 vcc, s20, v5
	v_max_f32_e32 v15, v9, v9
	v_ldexp_f32 v9, v12, v16
	v_cndmask_b32_e32 v8, 0, v8, vcc
	v_cmp_ngt_f32_e32 vcc, s20, v10
	v_med3_f32 v11, v15, s22, v4
	s_nop 0
	v_cndmask_b32_e32 v9, 0, v9, vcc
	v_cmp_nlt_f32_e32 vcc, s21, v5
	s_nop 1
	v_cndmask_b32_e32 v5, v1, v8, vcc
	v_cmp_nlt_f32_e32 vcc, s21, v10
	v_add_f32_e32 v5, 1.0, v5
	v_med3_f32 v10, v13, s22, v4
	v_cndmask_b32_e32 v8, v1, v9, vcc
	v_add_f32_e32 v9, 1.0, v8
	v_rcp_f32_e32 v8, v5
	v_rcp_f32_e32 v9, v9
	v_pk_add_f32 v[10:11], v[10:11], 1.0 op_sel_hi:[1,0]
	v_pk_mul_f32 v[6:7], v[6:7], v[8:9]
	s_nop 0
	v_pk_mul_f32 v[6:7], v[10:11], v[6:7]
	buffer_store_dwordx2 v[6:7], v0, s[8:11], 0 offen
	v_add_u32_e32 v0, s18, v0
	s_andn2_b64 exec, exec, s[16:17]
	s_cbranch_execnz .LBB68_2
.LBB68_3:
	s_endpgm
	.section	.rodata,"a",@progbits
	.p2align	6, 0x0
	.amdhsa_kernel _ZN5aiter25swiglu_act_and_mul_kernelIffLi2EEEvPT0_PKT_i
		.amdhsa_group_segment_fixed_size 0
		.amdhsa_private_segment_fixed_size 0
		.amdhsa_kernarg_size 280
		.amdhsa_user_sgpr_count 2
		.amdhsa_user_sgpr_dispatch_ptr 0
		.amdhsa_user_sgpr_queue_ptr 0
		.amdhsa_user_sgpr_kernarg_segment_ptr 1
		.amdhsa_user_sgpr_dispatch_id 0
		.amdhsa_user_sgpr_kernarg_preload_length 0
		.amdhsa_user_sgpr_kernarg_preload_offset 0
		.amdhsa_user_sgpr_private_segment_size 0
		.amdhsa_uses_dynamic_stack 0
		.amdhsa_enable_private_segment 0
		.amdhsa_system_sgpr_workgroup_id_x 1
		.amdhsa_system_sgpr_workgroup_id_y 0
		.amdhsa_system_sgpr_workgroup_id_z 0
		.amdhsa_system_sgpr_workgroup_info 0
		.amdhsa_system_vgpr_workitem_id 0
		.amdhsa_next_free_vgpr 17
		.amdhsa_next_free_sgpr 23
		.amdhsa_accum_offset 20
		.amdhsa_reserve_vcc 1
		.amdhsa_float_round_mode_32 0
		.amdhsa_float_round_mode_16_64 0
		.amdhsa_float_denorm_mode_32 3
		.amdhsa_float_denorm_mode_16_64 3
		.amdhsa_dx10_clamp 1
		.amdhsa_ieee_mode 1
		.amdhsa_fp16_overflow 0
		.amdhsa_tg_split 0
		.amdhsa_exception_fp_ieee_invalid_op 0
		.amdhsa_exception_fp_denorm_src 0
		.amdhsa_exception_fp_ieee_div_zero 0
		.amdhsa_exception_fp_ieee_overflow 0
		.amdhsa_exception_fp_ieee_underflow 0
		.amdhsa_exception_fp_ieee_inexact 0
		.amdhsa_exception_int_div_zero 0
	.end_amdhsa_kernel
	.section	.text._ZN5aiter25swiglu_act_and_mul_kernelIffLi2EEEvPT0_PKT_i,"axG",@progbits,_ZN5aiter25swiglu_act_and_mul_kernelIffLi2EEEvPT0_PKT_i,comdat
.Lfunc_end68:
	.size	_ZN5aiter25swiglu_act_and_mul_kernelIffLi2EEEvPT0_PKT_i, .Lfunc_end68-_ZN5aiter25swiglu_act_and_mul_kernelIffLi2EEEvPT0_PKT_i
                                        ; -- End function
	.section	.AMDGPU.csdata,"",@progbits
; Kernel info:
; codeLenInByte = 552
; NumSgprs: 29
; NumVgprs: 17
; NumAgprs: 0
; TotalNumVgprs: 17
; ScratchSize: 0
; MemoryBound: 0
; FloatMode: 240
; IeeeMode: 1
; LDSByteSize: 0 bytes/workgroup (compile time only)
; SGPRBlocks: 3
; VGPRBlocks: 2
; NumSGPRsForWavesPerEU: 29
; NumVGPRsForWavesPerEU: 17
; AccumOffset: 20
; Occupancy: 8
; WaveLimiterHint : 0
; COMPUTE_PGM_RSRC2:SCRATCH_EN: 0
; COMPUTE_PGM_RSRC2:USER_SGPR: 2
; COMPUTE_PGM_RSRC2:TRAP_HANDLER: 0
; COMPUTE_PGM_RSRC2:TGID_X_EN: 1
; COMPUTE_PGM_RSRC2:TGID_Y_EN: 0
; COMPUTE_PGM_RSRC2:TGID_Z_EN: 0
; COMPUTE_PGM_RSRC2:TIDIG_COMP_CNT: 0
; COMPUTE_PGM_RSRC3_GFX90A:ACCUM_OFFSET: 4
; COMPUTE_PGM_RSRC3_GFX90A:TG_SPLIT: 0
	.section	.text._ZN5aiter25swiglu_act_and_mul_kernelIffLi1EEEvPT0_PKT_i,"axG",@progbits,_ZN5aiter25swiglu_act_and_mul_kernelIffLi1EEEvPT0_PKT_i,comdat
	.protected	_ZN5aiter25swiglu_act_and_mul_kernelIffLi1EEEvPT0_PKT_i ; -- Begin function _ZN5aiter25swiglu_act_and_mul_kernelIffLi1EEEvPT0_PKT_i
	.globl	_ZN5aiter25swiglu_act_and_mul_kernelIffLi1EEEvPT0_PKT_i
	.p2align	8
	.type	_ZN5aiter25swiglu_act_and_mul_kernelIffLi1EEEvPT0_PKT_i,@function
_ZN5aiter25swiglu_act_and_mul_kernelIffLi1EEEvPT0_PKT_i: ; @_ZN5aiter25swiglu_act_and_mul_kernelIffLi1EEEvPT0_PKT_i
; %bb.0:
	s_load_dword s12, s[0:1], 0x10
	s_waitcnt lgkmcnt(0)
	v_cmp_gt_i32_e32 vcc, s12, v0
	s_and_saveexec_b64 s[4:5], vcc
	s_cbranch_execz .LBB69_3
; %bb.1:
	s_load_dwordx4 s[8:11], s[0:1], 0x0
	s_load_dword s14, s[0:1], 0x24
	s_ashr_i32 s13, s12, 31
	s_mul_hi_u32 s3, s12, s2
	s_mul_i32 s4, s13, s2
	s_add_i32 s7, s3, s4
	s_mul_i32 s6, s12, s2
	s_lshl_b64 s[2:3], s[6:7], 3
	s_waitcnt lgkmcnt(0)
	s_add_u32 s0, s10, s2
	s_addc_u32 s1, s11, s3
	s_lshl_b64 s[2:3], s[12:13], 2
	s_add_u32 s4, s0, s2
	s_addc_u32 s5, s1, s3
	s_lshl_b32 s2, s12, 2
	s_and_b32 s1, s1, 0xffff
	s_and_b32 s5, s5, 0xffff
	s_lshl_b64 s[6:7], s[6:7], 2
	s_add_u32 s8, s8, s6
	s_mov_b32 s3, 0x20000
	s_addc_u32 s6, s9, s7
	s_and_b32 s14, s14, 0xffff
	s_and_b32 s9, s6, 0xffff
	s_mov_b32 s15, 0
	v_mov_b32_e32 v1, 0
	v_lshlrev_b32_e32 v2, 2, v0
	s_lshl_b32 s18, s14, 2
	s_mov_b64 s[16:17], 0
	s_mov_b32 s6, s2
	s_mov_b32 s7, s3
	;; [unrolled: 1-line block ×5, first 2 shown]
	v_mov_b32_e32 v3, 0x7f800000
	s_mov_b32 s10, s2
	s_mov_b32 s11, s3
.LBB69_2:                               ; =>This Inner Loop Header: Depth=1
	buffer_load_dword v4, v2, s[0:3], 0 offen
	buffer_load_dword v5, v2, s[4:7], 0 offen
	v_lshl_add_u64 v[0:1], v[0:1], 0, s[14:15]
	v_cmp_le_i64_e32 vcc, s[12:13], v[0:1]
	s_or_b64 s[16:17], vcc, s[16:17]
	s_waitcnt vmcnt(1)
	v_max_f32_e32 v4, v4, v4
	v_min_f32_e32 v4, 0x40e00000, v4
	v_mul_f32_e32 v6, 0xbfd9db23, v4
	v_mul_f32_e32 v7, 0x3fb8aa3b, v6
	v_fma_f32 v8, v6, s19, -v7
	v_rndne_f32_e32 v9, v7
	v_fmac_f32_e32 v8, 0x32a5705f, v6
	v_sub_f32_e32 v7, v7, v9
	v_add_f32_e32 v7, v7, v8
	v_cvt_i32_f32_e32 v9, v9
	v_exp_f32_e32 v7, v7
	v_cmp_ngt_f32_e32 vcc, s20, v6
	s_waitcnt vmcnt(0)
	v_max_f32_e32 v5, v5, v5
	v_max_f32_e32 v5, 0xc0e00000, v5
	v_ldexp_f32 v7, v7, v9
	v_cndmask_b32_e32 v7, 0, v7, vcc
	v_cmp_nlt_f32_e32 vcc, s21, v6
	v_min_f32_e32 v5, 0x40e00000, v5
	v_add_f32_e32 v5, 1.0, v5
	v_cndmask_b32_e32 v6, v3, v7, vcc
	v_add_f32_e32 v6, 1.0, v6
	v_rcp_f32_e32 v6, v6
	s_nop 0
	v_mul_f32_e32 v4, v4, v6
	v_mul_f32_e32 v4, v5, v4
	buffer_store_dword v4, v2, s[8:11], 0 offen
	v_add_u32_e32 v2, s18, v2
	s_andn2_b64 exec, exec, s[16:17]
	s_cbranch_execnz .LBB69_2
.LBB69_3:
	s_endpgm
	.section	.rodata,"a",@progbits
	.p2align	6, 0x0
	.amdhsa_kernel _ZN5aiter25swiglu_act_and_mul_kernelIffLi1EEEvPT0_PKT_i
		.amdhsa_group_segment_fixed_size 0
		.amdhsa_private_segment_fixed_size 0
		.amdhsa_kernarg_size 280
		.amdhsa_user_sgpr_count 2
		.amdhsa_user_sgpr_dispatch_ptr 0
		.amdhsa_user_sgpr_queue_ptr 0
		.amdhsa_user_sgpr_kernarg_segment_ptr 1
		.amdhsa_user_sgpr_dispatch_id 0
		.amdhsa_user_sgpr_kernarg_preload_length 0
		.amdhsa_user_sgpr_kernarg_preload_offset 0
		.amdhsa_user_sgpr_private_segment_size 0
		.amdhsa_uses_dynamic_stack 0
		.amdhsa_enable_private_segment 0
		.amdhsa_system_sgpr_workgroup_id_x 1
		.amdhsa_system_sgpr_workgroup_id_y 0
		.amdhsa_system_sgpr_workgroup_id_z 0
		.amdhsa_system_sgpr_workgroup_info 0
		.amdhsa_system_vgpr_workitem_id 0
		.amdhsa_next_free_vgpr 10
		.amdhsa_next_free_sgpr 22
		.amdhsa_accum_offset 12
		.amdhsa_reserve_vcc 1
		.amdhsa_float_round_mode_32 0
		.amdhsa_float_round_mode_16_64 0
		.amdhsa_float_denorm_mode_32 3
		.amdhsa_float_denorm_mode_16_64 3
		.amdhsa_dx10_clamp 1
		.amdhsa_ieee_mode 1
		.amdhsa_fp16_overflow 0
		.amdhsa_tg_split 0
		.amdhsa_exception_fp_ieee_invalid_op 0
		.amdhsa_exception_fp_denorm_src 0
		.amdhsa_exception_fp_ieee_div_zero 0
		.amdhsa_exception_fp_ieee_overflow 0
		.amdhsa_exception_fp_ieee_underflow 0
		.amdhsa_exception_fp_ieee_inexact 0
		.amdhsa_exception_int_div_zero 0
	.end_amdhsa_kernel
	.section	.text._ZN5aiter25swiglu_act_and_mul_kernelIffLi1EEEvPT0_PKT_i,"axG",@progbits,_ZN5aiter25swiglu_act_and_mul_kernelIffLi1EEEvPT0_PKT_i,comdat
.Lfunc_end69:
	.size	_ZN5aiter25swiglu_act_and_mul_kernelIffLi1EEEvPT0_PKT_i, .Lfunc_end69-_ZN5aiter25swiglu_act_and_mul_kernelIffLi1EEEvPT0_PKT_i
                                        ; -- End function
	.section	.AMDGPU.csdata,"",@progbits
; Kernel info:
; codeLenInByte = 408
; NumSgprs: 28
; NumVgprs: 10
; NumAgprs: 0
; TotalNumVgprs: 10
; ScratchSize: 0
; MemoryBound: 0
; FloatMode: 240
; IeeeMode: 1
; LDSByteSize: 0 bytes/workgroup (compile time only)
; SGPRBlocks: 3
; VGPRBlocks: 1
; NumSGPRsForWavesPerEU: 28
; NumVGPRsForWavesPerEU: 10
; AccumOffset: 12
; Occupancy: 8
; WaveLimiterHint : 0
; COMPUTE_PGM_RSRC2:SCRATCH_EN: 0
; COMPUTE_PGM_RSRC2:USER_SGPR: 2
; COMPUTE_PGM_RSRC2:TRAP_HANDLER: 0
; COMPUTE_PGM_RSRC2:TGID_X_EN: 1
; COMPUTE_PGM_RSRC2:TGID_Y_EN: 0
; COMPUTE_PGM_RSRC2:TGID_Z_EN: 0
; COMPUTE_PGM_RSRC2:TIDIG_COMP_CNT: 0
; COMPUTE_PGM_RSRC3_GFX90A:ACCUM_OFFSET: 2
; COMPUTE_PGM_RSRC3_GFX90A:TG_SPLIT: 0
	.section	.text._ZN5aiter25swiglu_act_and_mul_kernelIDF16_DF16_Li32EEEvPT0_PKT_i,"axG",@progbits,_ZN5aiter25swiglu_act_and_mul_kernelIDF16_DF16_Li32EEEvPT0_PKT_i,comdat
	.protected	_ZN5aiter25swiglu_act_and_mul_kernelIDF16_DF16_Li32EEEvPT0_PKT_i ; -- Begin function _ZN5aiter25swiglu_act_and_mul_kernelIDF16_DF16_Li32EEEvPT0_PKT_i
	.globl	_ZN5aiter25swiglu_act_and_mul_kernelIDF16_DF16_Li32EEEvPT0_PKT_i
	.p2align	8
	.type	_ZN5aiter25swiglu_act_and_mul_kernelIDF16_DF16_Li32EEEvPT0_PKT_i,@function
_ZN5aiter25swiglu_act_and_mul_kernelIDF16_DF16_Li32EEEvPT0_PKT_i: ; @_ZN5aiter25swiglu_act_and_mul_kernelIDF16_DF16_Li32EEEvPT0_PKT_i
; %bb.0:
	s_load_dword s12, s[0:1], 0x10
	v_lshlrev_b32_e32 v32, 5, v0
	s_waitcnt lgkmcnt(0)
	v_cmp_gt_i32_e32 vcc, s12, v32
	s_and_saveexec_b64 s[4:5], vcc
	s_cbranch_execz .LBB70_3
; %bb.1:
	s_load_dwordx4 s[8:11], s[0:1], 0x0
	s_load_dword s14, s[0:1], 0x24
	s_ashr_i32 s13, s12, 31
	s_mul_hi_u32 s3, s12, s2
	s_mul_i32 s4, s13, s2
	s_add_i32 s3, s3, s4
	s_mul_i32 s2, s12, s2
	s_lshl_b64 s[6:7], s[2:3], 1
	s_lshl_b64 s[2:3], s[2:3], 2
	s_waitcnt lgkmcnt(0)
	s_add_u32 s0, s10, s2
	s_addc_u32 s1, s11, s3
	s_lshl_b64 s[2:3], s[12:13], 1
	s_add_u32 s4, s0, s2
	s_addc_u32 s5, s1, s3
	s_add_i32 s2, s12, 1
	s_lshr_b32 s3, s2, 31
	s_add_i32 s2, s2, s3
	s_lshl_b32 s2, s2, 1
	s_and_b32 s2, s2, -4
	s_and_b32 s1, s1, 0xffff
	s_and_b32 s5, s5, 0xffff
	s_add_u32 s8, s8, s6
	s_addc_u32 s6, s9, s7
	s_mov_b32 s3, 0x20000
	s_and_b32 s9, s6, 0xffff
	s_and_b32 s6, s14, 0xffff
	s_mov_b32 s15, 0
	v_mov_b32_e32 v33, 0
	s_lshl_b32 s14, s6, 5
	v_lshlrev_b32_e32 v34, 6, v0
	s_lshl_b32 s18, s6, 6
	s_mov_b64 s[16:17], 0
	s_mov_b32 s19, 0x3fb8aa3b
	s_mov_b32 s20, 0xc2ce8ed0
	;; [unrolled: 1-line block ×3, first 2 shown]
	v_mov_b32_e32 v35, 0x7f800000
	s_mov_b32 s22, 0xc0e00000
	v_mov_b32_e32 v36, 0x40e00000
	s_mov_b32 s6, s2
	s_mov_b32 s7, s3
	;; [unrolled: 1-line block ×4, first 2 shown]
.LBB70_2:                               ; =>This Inner Loop Header: Depth=1
	buffer_load_dwordx4 v[28:31], v34, s[0:3], 0 offen
	buffer_load_dwordx4 v[24:27], v34, s[4:7], 0 offen
	;; [unrolled: 1-line block ×8, first 2 shown]
	v_lshl_add_u64 v[32:33], s[14:15], 0, v[32:33]
	s_waitcnt vmcnt(7)
	v_cvt_f32_f16_sdwa v37, v28 dst_sel:DWORD dst_unused:UNUSED_PAD src0_sel:WORD_1
	v_cvt_f32_f16_e32 v28, v28
	s_waitcnt vmcnt(6)
	v_cvt_f32_f16_sdwa v38, v24 dst_sel:DWORD dst_unused:UNUSED_PAD src0_sel:WORD_1
	v_cvt_f32_f16_e32 v41, v29
	v_cvt_f32_f16_sdwa v42, v25 dst_sel:DWORD dst_unused:UNUSED_PAD src0_sel:WORD_1
	v_cvt_f32_f16_e32 v39, v24
	;; [unrolled: 2-line block ×3, first 2 shown]
	v_min_f32_e32 v24, 0x40e00000, v28
	v_min_f32_e32 v25, 0x40e00000, v37
	v_mul_f32_e32 v37, 0xbfd9db23, v24
	v_med3_f32 v29, v38, s22, v36
	v_min_f32_e32 v38, 0x40e00000, v41
	v_med3_f32 v41, v42, s22, v36
	v_mul_f32_e32 v42, 0x3fb8aa3b, v37
	v_med3_f32 v28, v39, s22, v36
	v_min_f32_e32 v39, 0x40e00000, v40
	v_med3_f32 v40, v43, s22, v36
	v_mul_f32_e32 v43, 0xbfd9db23, v25
	v_mul_f32_e32 v44, 0xbfd9db23, v38
	v_fma_f32 v50, v37, s19, -v42
	v_rndne_f32_e32 v51, v42
	v_mul_f32_e32 v46, 0x3fb8aa3b, v43
	v_mul_f32_e32 v47, 0x3fb8aa3b, v44
	v_fmac_f32_e32 v50, 0x32a5705f, v37
	v_sub_f32_e32 v42, v42, v51
	v_mul_f32_e32 v45, 0xbfd9db23, v39
	v_fma_f32 v52, v43, s19, -v46
	v_rndne_f32_e32 v53, v46
	v_fma_f32 v54, v44, s19, -v47
	v_add_f32_e32 v42, v42, v50
	v_rndne_f32_e32 v50, v47
	v_mul_f32_e32 v49, 0x3fb8aa3b, v45
	v_fmac_f32_e32 v52, 0x32a5705f, v43
	v_sub_f32_e32 v46, v46, v53
	v_fmac_f32_e32 v54, 0x32a5705f, v44
	v_sub_f32_e32 v47, v47, v50
	v_add_f32_e32 v46, v46, v52
	v_fma_f32 v52, v45, s19, -v49
	v_add_f32_e32 v47, v47, v54
	v_rndne_f32_e32 v54, v49
	v_fmac_f32_e32 v52, 0x32a5705f, v45
	v_sub_f32_e32 v49, v49, v54
	v_cvt_f32_f16_sdwa v48, v30 dst_sel:DWORD dst_unused:UNUSED_PAD src0_sel:WORD_1
	v_cvt_f32_f16_e32 v30, v30
	v_cvt_i32_f32_e32 v51, v51
	v_add_f32_e32 v49, v49, v52
	v_exp_f32_e32 v52, v42
	v_min_f32_e32 v42, 0x40e00000, v30
	v_exp_f32_e32 v46, v46
	v_cvt_i32_f32_e32 v50, v50
	v_ldexp_f32 v30, v52, v51
	v_cvt_i32_f32_e32 v52, v53
	v_exp_f32_e32 v47, v47
	v_cvt_i32_f32_e32 v53, v54
	v_exp_f32_e32 v49, v49
	v_cmp_ngt_f32_e32 vcc, s20, v37
	v_ldexp_f32 v46, v46, v52
	v_ldexp_f32 v47, v47, v50
	v_cndmask_b32_e32 v30, 0, v30, vcc
	v_cmp_ngt_f32_e32 vcc, s20, v43
	v_ldexp_f32 v49, v49, v53
	v_mul_f32_e32 v51, 0xbfd9db23, v42
	v_cndmask_b32_e32 v46, 0, v46, vcc
	v_cmp_ngt_f32_e32 vcc, s20, v44
	v_mul_f32_e32 v52, 0x3fb8aa3b, v51
	v_pk_add_f32 v[28:29], v[28:29], 1.0 op_sel_hi:[1,0]
	v_cndmask_b32_e32 v47, 0, v47, vcc
	v_cmp_ngt_f32_e32 vcc, s20, v45
	v_fma_f32 v50, v51, s19, -v52
	v_rndne_f32_e32 v53, v52
	v_cndmask_b32_e32 v49, 0, v49, vcc
	v_cmp_nlt_f32_e32 vcc, s21, v37
	v_fmac_f32_e32 v50, 0x32a5705f, v51
	v_pk_add_f32 v[40:41], v[40:41], 1.0 op_sel_hi:[1,0]
	v_cndmask_b32_e32 v30, v35, v30, vcc
	v_cmp_nlt_f32_e32 vcc, s21, v43
	v_add_f32_e32 v30, 1.0, v30
	s_nop 0
	v_cndmask_b32_e32 v37, v35, v46, vcc
	v_cmp_nlt_f32_e32 vcc, s21, v44
	v_add_f32_e32 v37, 1.0, v37
	s_nop 0
	v_cndmask_b32_e32 v43, v35, v47, vcc
	v_cmp_nlt_f32_e32 vcc, s21, v45
	v_rcp_f32_e32 v45, v37
	v_add_f32_e32 v43, 1.0, v43
	v_cndmask_b32_e32 v44, v35, v49, vcc
	v_add_f32_e32 v47, 1.0, v44
	v_rcp_f32_e32 v44, v30
	v_sub_f32_e32 v30, v52, v53
	v_rcp_f32_e32 v46, v43
	v_rcp_f32_e32 v47, v47
	v_pk_mul_f32 v[24:25], v[24:25], v[44:45]
	v_cvt_i32_f32_e32 v37, v53
	v_pk_mul_f32 v[28:29], v[28:29], v[24:25]
	v_pk_mul_f32 v[38:39], v[38:39], v[46:47]
	v_cvt_f16_f32_e32 v25, v28
	v_add_f32_e32 v28, v30, v50
	v_exp_f32_e32 v30, v28
	v_min_f32_e32 v43, 0x40e00000, v48
	v_pk_mul_f32 v[38:39], v[40:41], v[38:39]
	v_cvt_f16_f32_e32 v24, v29
	v_ldexp_f32 v30, v30, v37
	v_mul_f32_e32 v37, 0xbfd9db23, v43
	v_cvt_f16_f32_e32 v29, v38
	v_mul_f32_e32 v38, 0x3fb8aa3b, v37
	v_cvt_f16_f32_e32 v28, v39
	v_cmp_ngt_f32_e32 vcc, s20, v51
	v_fma_f32 v39, v37, s19, -v38
	v_rndne_f32_e32 v40, v38
	v_cndmask_b32_e32 v30, 0, v30, vcc
	v_cmp_nlt_f32_e32 vcc, s21, v51
	v_fmac_f32_e32 v39, 0x32a5705f, v37
	v_sub_f32_e32 v38, v38, v40
	v_cndmask_b32_e32 v30, v35, v30, vcc
	v_add_f32_e32 v38, v38, v39
	v_add_f32_e32 v30, 1.0, v30
	v_exp_f32_e32 v39, v38
	v_cvt_i32_f32_e32 v40, v40
	v_rcp_f32_e32 v38, v30
	v_cvt_f32_f16_sdwa v30, v26 dst_sel:DWORD dst_unused:UNUSED_PAD src0_sel:WORD_1
	v_cvt_f32_f16_e32 v26, v26
	v_ldexp_f32 v39, v39, v40
	v_cmp_ngt_f32_e32 vcc, s20, v37
	v_med3_f32 v41, v30, s22, v36
	v_med3_f32 v40, v26, s22, v36
	v_cndmask_b32_e32 v39, 0, v39, vcc
	v_cmp_nlt_f32_e32 vcc, s21, v37
	v_cvt_f32_f16_e32 v26, v31
	v_cvt_f32_f16_sdwa v31, v31 dst_sel:DWORD dst_unused:UNUSED_PAD src0_sel:WORD_1
	v_cndmask_b32_e32 v37, v35, v39, vcc
	v_add_f32_e32 v37, 1.0, v37
	v_rcp_f32_e32 v39, v37
	v_min_f32_e32 v30, 0x40e00000, v26
	v_mul_f32_e32 v37, 0xbfd9db23, v30
	v_mul_f32_e32 v26, 0x3fb8aa3b, v37
	v_pk_mul_f32 v[38:39], v[42:43], v[38:39]
	v_fma_f32 v42, v37, s19, -v26
	v_rndne_f32_e32 v43, v26
	v_fmac_f32_e32 v42, 0x32a5705f, v37
	v_sub_f32_e32 v26, v26, v43
	v_add_f32_e32 v26, v26, v42
	v_exp_f32_e32 v42, v26
	v_cvt_i32_f32_e32 v43, v43
	v_pk_add_f32 v[40:41], v[40:41], 1.0 op_sel_hi:[1,0]
	v_cmp_ngt_f32_e32 vcc, s20, v37
	v_pk_mul_f32 v[38:39], v[40:41], v[38:39]
	v_min_f32_e32 v31, 0x40e00000, v31
	v_cvt_f16_f32_e32 v26, v39
	v_ldexp_f32 v39, v42, v43
	v_cndmask_b32_e32 v39, 0, v39, vcc
	v_cmp_nlt_f32_e32 vcc, s21, v37
	v_cvt_f32_f16_e32 v43, v27
	s_nop 0
	v_cndmask_b32_e32 v37, v35, v39, vcc
	v_mul_f32_e32 v39, 0xbfd9db23, v31
	v_mul_f32_e32 v40, 0x3fb8aa3b, v39
	v_fma_f32 v41, v39, s19, -v40
	v_rndne_f32_e32 v42, v40
	v_fmac_f32_e32 v41, 0x32a5705f, v39
	v_sub_f32_e32 v40, v40, v42
	v_add_f32_e32 v40, v40, v41
	v_exp_f32_e32 v41, v40
	v_cvt_i32_f32_e32 v42, v42
	v_add_f32_e32 v37, 1.0, v37
	v_rcp_f32_e32 v40, v37
	v_cvt_f32_f16_sdwa v37, v27 dst_sel:DWORD dst_unused:UNUSED_PAD src0_sel:WORD_1
	v_ldexp_f32 v27, v41, v42
	v_cmp_ngt_f32_e32 vcc, s20, v39
	s_nop 1
	v_cndmask_b32_e32 v27, 0, v27, vcc
	v_cmp_nlt_f32_e32 vcc, s21, v39
	v_med3_f32 v39, v37, s22, v36
	s_waitcnt vmcnt(5)
	v_cvt_f32_f16_e32 v37, v20
	v_cndmask_b32_e32 v27, v35, v27, vcc
	v_add_f32_e32 v27, 1.0, v27
	v_rcp_f32_e32 v41, v27
	v_cvt_f16_f32_e32 v27, v38
	v_med3_f32 v38, v43, s22, v36
	v_pk_add_f32 v[38:39], v[38:39], 1.0 op_sel_hi:[1,0]
	v_pk_mul_f32 v[30:31], v[30:31], v[40:41]
	s_nop 0
	v_pk_mul_f32 v[30:31], v[38:39], v[30:31]
	v_min_f32_e32 v38, 0x40e00000, v37
	v_mul_f32_e32 v37, 0xbfd9db23, v38
	v_cvt_f32_f16_sdwa v39, v20 dst_sel:DWORD dst_unused:UNUSED_PAD src0_sel:WORD_1
	v_mul_f32_e32 v20, 0x3fb8aa3b, v37
	v_fma_f32 v40, v37, s19, -v20
	v_rndne_f32_e32 v41, v20
	v_fmac_f32_e32 v40, 0x32a5705f, v37
	v_sub_f32_e32 v20, v20, v41
	v_add_f32_e32 v20, v20, v40
	v_exp_f32_e32 v40, v20
	v_cvt_i32_f32_e32 v41, v41
	v_cvt_f16_f32_e32 v20, v31
	v_min_f32_e32 v39, 0x40e00000, v39
	v_cmp_ngt_f32_e32 vcc, s20, v37
	v_ldexp_f32 v31, v40, v41
	v_cvt_f16_f32_e32 v30, v30
	v_cndmask_b32_e32 v31, 0, v31, vcc
	v_cmp_nlt_f32_e32 vcc, s21, v37
	v_mul_f32_e32 v37, 0xbfd9db23, v39
	v_mul_f32_e32 v40, 0x3fb8aa3b, v37
	v_fma_f32 v41, v37, s19, -v40
	v_rndne_f32_e32 v42, v40
	v_fmac_f32_e32 v41, 0x32a5705f, v37
	v_sub_f32_e32 v40, v40, v42
	v_add_f32_e32 v40, v40, v41
	v_exp_f32_e32 v41, v40
	v_cvt_i32_f32_e32 v42, v42
	v_cndmask_b32_e32 v31, v35, v31, vcc
	v_add_f32_e32 v31, 1.0, v31
	v_rcp_f32_e32 v40, v31
	s_waitcnt vmcnt(2)
	v_cvt_f32_f16_sdwa v31, v16 dst_sel:DWORD dst_unused:UNUSED_PAD src0_sel:WORD_1
	v_cvt_f32_f16_e32 v16, v16
	v_ldexp_f32 v41, v41, v42
	v_cmp_ngt_f32_e32 vcc, s20, v37
	v_med3_f32 v43, v31, s22, v36
	v_med3_f32 v42, v16, s22, v36
	v_cndmask_b32_e32 v41, 0, v41, vcc
	v_cmp_nlt_f32_e32 vcc, s21, v37
	v_cvt_f32_f16_e32 v16, v21
	v_cvt_f32_f16_sdwa v21, v21 dst_sel:DWORD dst_unused:UNUSED_PAD src0_sel:WORD_1
	v_cndmask_b32_e32 v37, v35, v41, vcc
	v_add_f32_e32 v37, 1.0, v37
	v_rcp_f32_e32 v41, v37
	s_nop 0
	v_pk_mul_f32 v[38:39], v[38:39], v[40:41]
	v_pk_add_f32 v[40:41], v[42:43], 1.0 op_sel_hi:[1,0]
	v_min_f32_e32 v42, 0x40e00000, v16
	v_mul_f32_e32 v31, 0xbfd9db23, v42
	v_mul_f32_e32 v16, 0x3fb8aa3b, v31
	v_fma_f32 v37, v31, s19, -v16
	v_rndne_f32_e32 v43, v16
	v_fmac_f32_e32 v37, 0x32a5705f, v31
	v_sub_f32_e32 v16, v16, v43
	v_add_f32_e32 v16, v16, v37
	v_exp_f32_e32 v37, v16
	v_cvt_i32_f32_e32 v44, v43
	v_min_f32_e32 v43, 0x40e00000, v21
	v_cmp_ngt_f32_e32 vcc, s20, v31
	v_pk_mul_f32 v[38:39], v[40:41], v[38:39]
	v_ldexp_f32 v21, v37, v44
	v_cndmask_b32_e32 v21, 0, v21, vcc
	v_cmp_nlt_f32_e32 vcc, s21, v31
	v_mul_f32_e32 v31, 0xbfd9db23, v43
	v_mul_f32_e32 v37, 0x3fb8aa3b, v31
	v_cvt_f16_f32_e32 v16, v39
	v_fma_f32 v39, v31, s19, -v37
	v_rndne_f32_e32 v40, v37
	v_fmac_f32_e32 v39, 0x32a5705f, v31
	v_sub_f32_e32 v37, v37, v40
	v_add_f32_e32 v37, v37, v39
	v_exp_f32_e32 v37, v37
	v_cvt_i32_f32_e32 v39, v40
	v_cndmask_b32_e32 v21, v35, v21, vcc
	v_add_f32_e32 v21, 1.0, v21
	v_rcp_f32_e32 v40, v21
	v_cvt_f32_f16_sdwa v21, v17 dst_sel:DWORD dst_unused:UNUSED_PAD src0_sel:WORD_1
	v_cvt_f32_f16_e32 v44, v17
	v_ldexp_f32 v17, v37, v39
	v_cmp_ngt_f32_e32 vcc, s20, v31
	v_med3_f32 v39, v21, s22, v36
	v_cvt_f32_f16_e32 v21, v22
	v_cndmask_b32_e32 v17, 0, v17, vcc
	v_cmp_nlt_f32_e32 vcc, s21, v31
	v_cvt_f32_f16_sdwa v31, v22 dst_sel:DWORD dst_unused:UNUSED_PAD src0_sel:WORD_1
	s_nop 0
	v_cndmask_b32_e32 v17, v35, v17, vcc
	v_add_f32_e32 v17, 1.0, v17
	v_rcp_f32_e32 v41, v17
	v_cvt_f16_f32_e32 v17, v38
	v_med3_f32 v38, v44, s22, v36
	v_pk_add_f32 v[38:39], v[38:39], 1.0 op_sel_hi:[1,0]
	v_pk_mul_f32 v[40:41], v[42:43], v[40:41]
	s_nop 0
	v_pk_mul_f32 v[38:39], v[38:39], v[40:41]
	v_min_f32_e32 v40, 0x40e00000, v21
	v_mul_f32_e32 v37, 0xbfd9db23, v40
	v_mul_f32_e32 v21, 0x3fb8aa3b, v37
	v_fma_f32 v22, v37, s19, -v21
	v_rndne_f32_e32 v41, v21
	v_fmac_f32_e32 v22, 0x32a5705f, v37
	v_sub_f32_e32 v21, v21, v41
	v_add_f32_e32 v21, v21, v22
	v_exp_f32_e32 v42, v21
	v_cvt_i32_f32_e32 v43, v41
	v_min_f32_e32 v41, 0x40e00000, v31
	v_cmp_ngt_f32_e32 vcc, s20, v37
	v_cvt_f16_f32_e32 v22, v38
	v_ldexp_f32 v31, v42, v43
	v_cndmask_b32_e32 v31, 0, v31, vcc
	v_cmp_nlt_f32_e32 vcc, s21, v37
	v_mul_f32_e32 v37, 0xbfd9db23, v41
	v_mul_f32_e32 v38, 0x3fb8aa3b, v37
	v_cvt_f16_f32_e32 v21, v39
	v_fma_f32 v39, v37, s19, -v38
	v_rndne_f32_e32 v42, v38
	v_fmac_f32_e32 v39, 0x32a5705f, v37
	v_sub_f32_e32 v38, v38, v42
	v_add_f32_e32 v38, v38, v39
	v_exp_f32_e32 v39, v38
	v_cvt_i32_f32_e32 v42, v42
	v_cndmask_b32_e32 v31, v35, v31, vcc
	v_add_f32_e32 v31, 1.0, v31
	v_rcp_f32_e32 v38, v31
	v_cvt_f32_f16_sdwa v31, v18 dst_sel:DWORD dst_unused:UNUSED_PAD src0_sel:WORD_1
	v_cvt_f32_f16_e32 v18, v18
	v_ldexp_f32 v39, v39, v42
	v_cmp_ngt_f32_e32 vcc, s20, v37
	v_med3_f32 v43, v31, s22, v36
	v_med3_f32 v42, v18, s22, v36
	v_cndmask_b32_e32 v39, 0, v39, vcc
	v_cmp_nlt_f32_e32 vcc, s21, v37
	v_cvt_f32_f16_e32 v18, v23
	v_cvt_f32_f16_sdwa v23, v23 dst_sel:DWORD dst_unused:UNUSED_PAD src0_sel:WORD_1
	v_cndmask_b32_e32 v37, v35, v39, vcc
	v_add_f32_e32 v37, 1.0, v37
	v_rcp_f32_e32 v39, v37
	s_nop 0
	v_pk_mul_f32 v[38:39], v[40:41], v[38:39]
	v_pk_add_f32 v[40:41], v[42:43], 1.0 op_sel_hi:[1,0]
	v_min_f32_e32 v42, 0x40e00000, v18
	v_mul_f32_e32 v31, 0xbfd9db23, v42
	v_mul_f32_e32 v18, 0x3fb8aa3b, v31
	v_fma_f32 v37, v31, s19, -v18
	v_rndne_f32_e32 v43, v18
	v_fmac_f32_e32 v37, 0x32a5705f, v31
	v_sub_f32_e32 v18, v18, v43
	v_add_f32_e32 v18, v18, v37
	v_exp_f32_e32 v37, v18
	v_cvt_i32_f32_e32 v44, v43
	v_min_f32_e32 v43, 0x40e00000, v23
	v_cmp_ngt_f32_e32 vcc, s20, v31
	v_pk_mul_f32 v[38:39], v[40:41], v[38:39]
	v_ldexp_f32 v23, v37, v44
	v_cndmask_b32_e32 v23, 0, v23, vcc
	v_cmp_nlt_f32_e32 vcc, s21, v31
	v_mul_f32_e32 v31, 0xbfd9db23, v43
	v_mul_f32_e32 v37, 0x3fb8aa3b, v31
	v_cvt_f16_f32_e32 v18, v39
	v_fma_f32 v39, v31, s19, -v37
	v_rndne_f32_e32 v40, v37
	v_fmac_f32_e32 v39, 0x32a5705f, v31
	v_sub_f32_e32 v37, v37, v40
	v_add_f32_e32 v37, v37, v39
	v_exp_f32_e32 v37, v37
	v_cvt_i32_f32_e32 v39, v40
	v_cndmask_b32_e32 v23, v35, v23, vcc
	v_add_f32_e32 v23, 1.0, v23
	v_rcp_f32_e32 v40, v23
	v_cvt_f32_f16_sdwa v23, v19 dst_sel:DWORD dst_unused:UNUSED_PAD src0_sel:WORD_1
	v_cvt_f32_f16_e32 v44, v19
	v_ldexp_f32 v19, v37, v39
	v_cmp_ngt_f32_e32 vcc, s20, v31
	v_med3_f32 v39, v23, s22, v36
	v_cvt_f32_f16_e32 v23, v12
	v_cndmask_b32_e32 v19, 0, v19, vcc
	v_cmp_nlt_f32_e32 vcc, s21, v31
	v_cvt_f32_f16_sdwa v31, v12 dst_sel:DWORD dst_unused:UNUSED_PAD src0_sel:WORD_1
	s_nop 0
	v_cndmask_b32_e32 v19, v35, v19, vcc
	v_add_f32_e32 v19, 1.0, v19
	v_rcp_f32_e32 v41, v19
	v_cvt_f16_f32_e32 v19, v38
	v_med3_f32 v38, v44, s22, v36
	v_pk_add_f32 v[38:39], v[38:39], 1.0 op_sel_hi:[1,0]
	v_pk_mul_f32 v[40:41], v[42:43], v[40:41]
	s_nop 0
	v_pk_mul_f32 v[38:39], v[38:39], v[40:41]
	v_min_f32_e32 v40, 0x40e00000, v23
	v_mul_f32_e32 v37, 0xbfd9db23, v40
	v_mul_f32_e32 v12, 0x3fb8aa3b, v37
	v_fma_f32 v23, v37, s19, -v12
	v_rndne_f32_e32 v41, v12
	v_fmac_f32_e32 v23, 0x32a5705f, v37
	v_sub_f32_e32 v12, v12, v41
	v_add_f32_e32 v12, v12, v23
	v_exp_f32_e32 v42, v12
	v_cvt_i32_f32_e32 v43, v41
	v_min_f32_e32 v41, 0x40e00000, v31
	v_cmp_ngt_f32_e32 vcc, s20, v37
	v_cvt_f16_f32_e32 v23, v38
	v_ldexp_f32 v31, v42, v43
	v_cndmask_b32_e32 v31, 0, v31, vcc
	v_cmp_nlt_f32_e32 vcc, s21, v37
	v_mul_f32_e32 v37, 0xbfd9db23, v41
	v_mul_f32_e32 v38, 0x3fb8aa3b, v37
	v_cvt_f16_f32_e32 v12, v39
	v_fma_f32 v39, v37, s19, -v38
	v_rndne_f32_e32 v42, v38
	v_fmac_f32_e32 v39, 0x32a5705f, v37
	v_sub_f32_e32 v38, v38, v42
	v_add_f32_e32 v38, v38, v39
	v_exp_f32_e32 v39, v38
	v_cvt_i32_f32_e32 v42, v42
	v_cndmask_b32_e32 v31, v35, v31, vcc
	v_add_f32_e32 v31, 1.0, v31
	v_rcp_f32_e32 v38, v31
	s_waitcnt vmcnt(1)
	v_cvt_f32_f16_sdwa v31, v8 dst_sel:DWORD dst_unused:UNUSED_PAD src0_sel:WORD_1
	v_cvt_f32_f16_e32 v8, v8
	v_ldexp_f32 v39, v39, v42
	v_cmp_ngt_f32_e32 vcc, s20, v37
	v_med3_f32 v43, v31, s22, v36
	v_med3_f32 v42, v8, s22, v36
	v_cndmask_b32_e32 v39, 0, v39, vcc
	v_cmp_nlt_f32_e32 vcc, s21, v37
	v_cvt_f32_f16_e32 v8, v13
	v_cvt_f32_f16_sdwa v13, v13 dst_sel:DWORD dst_unused:UNUSED_PAD src0_sel:WORD_1
	v_cndmask_b32_e32 v37, v35, v39, vcc
	v_add_f32_e32 v37, 1.0, v37
	v_rcp_f32_e32 v39, v37
	s_nop 0
	v_pk_mul_f32 v[38:39], v[40:41], v[38:39]
	v_pk_add_f32 v[40:41], v[42:43], 1.0 op_sel_hi:[1,0]
	v_min_f32_e32 v42, 0x40e00000, v8
	v_mul_f32_e32 v31, 0xbfd9db23, v42
	v_mul_f32_e32 v8, 0x3fb8aa3b, v31
	v_fma_f32 v37, v31, s19, -v8
	v_rndne_f32_e32 v43, v8
	v_fmac_f32_e32 v37, 0x32a5705f, v31
	v_sub_f32_e32 v8, v8, v43
	v_add_f32_e32 v8, v8, v37
	v_exp_f32_e32 v37, v8
	v_cvt_i32_f32_e32 v44, v43
	v_min_f32_e32 v43, 0x40e00000, v13
	v_cmp_ngt_f32_e32 vcc, s20, v31
	v_pk_mul_f32 v[38:39], v[40:41], v[38:39]
	v_ldexp_f32 v13, v37, v44
	v_cndmask_b32_e32 v13, 0, v13, vcc
	v_cmp_nlt_f32_e32 vcc, s21, v31
	v_mul_f32_e32 v31, 0xbfd9db23, v43
	v_mul_f32_e32 v37, 0x3fb8aa3b, v31
	v_cvt_f16_f32_e32 v8, v39
	v_fma_f32 v39, v31, s19, -v37
	v_rndne_f32_e32 v40, v37
	v_fmac_f32_e32 v39, 0x32a5705f, v31
	v_sub_f32_e32 v37, v37, v40
	v_add_f32_e32 v37, v37, v39
	v_exp_f32_e32 v37, v37
	v_cvt_i32_f32_e32 v39, v40
	v_cndmask_b32_e32 v13, v35, v13, vcc
	v_add_f32_e32 v13, 1.0, v13
	v_rcp_f32_e32 v40, v13
	v_cvt_f32_f16_sdwa v13, v9 dst_sel:DWORD dst_unused:UNUSED_PAD src0_sel:WORD_1
	v_cvt_f32_f16_e32 v44, v9
	v_ldexp_f32 v9, v37, v39
	v_cmp_ngt_f32_e32 vcc, s20, v31
	v_med3_f32 v39, v13, s22, v36
	v_cvt_f32_f16_e32 v13, v14
	v_cndmask_b32_e32 v9, 0, v9, vcc
	v_cmp_nlt_f32_e32 vcc, s21, v31
	v_cvt_f32_f16_sdwa v31, v14 dst_sel:DWORD dst_unused:UNUSED_PAD src0_sel:WORD_1
	s_nop 0
	v_cndmask_b32_e32 v9, v35, v9, vcc
	v_add_f32_e32 v9, 1.0, v9
	v_rcp_f32_e32 v41, v9
	v_cvt_f16_f32_e32 v9, v38
	v_med3_f32 v38, v44, s22, v36
	v_pk_add_f32 v[38:39], v[38:39], 1.0 op_sel_hi:[1,0]
	v_pk_mul_f32 v[40:41], v[42:43], v[40:41]
	s_nop 0
	v_pk_mul_f32 v[38:39], v[38:39], v[40:41]
	v_min_f32_e32 v40, 0x40e00000, v13
	v_mul_f32_e32 v37, 0xbfd9db23, v40
	v_mul_f32_e32 v13, 0x3fb8aa3b, v37
	v_fma_f32 v14, v37, s19, -v13
	v_rndne_f32_e32 v41, v13
	v_fmac_f32_e32 v14, 0x32a5705f, v37
	v_sub_f32_e32 v13, v13, v41
	v_add_f32_e32 v13, v13, v14
	v_exp_f32_e32 v42, v13
	v_cvt_i32_f32_e32 v43, v41
	v_min_f32_e32 v41, 0x40e00000, v31
	v_cmp_ngt_f32_e32 vcc, s20, v37
	v_cvt_f16_f32_e32 v14, v38
	v_ldexp_f32 v31, v42, v43
	v_cndmask_b32_e32 v31, 0, v31, vcc
	v_cmp_nlt_f32_e32 vcc, s21, v37
	v_mul_f32_e32 v37, 0xbfd9db23, v41
	v_mul_f32_e32 v38, 0x3fb8aa3b, v37
	v_cvt_f16_f32_e32 v13, v39
	v_fma_f32 v39, v37, s19, -v38
	v_rndne_f32_e32 v42, v38
	v_fmac_f32_e32 v39, 0x32a5705f, v37
	v_sub_f32_e32 v38, v38, v42
	v_add_f32_e32 v38, v38, v39
	v_exp_f32_e32 v39, v38
	v_cvt_i32_f32_e32 v42, v42
	v_cndmask_b32_e32 v31, v35, v31, vcc
	v_add_f32_e32 v31, 1.0, v31
	v_rcp_f32_e32 v38, v31
	v_cvt_f32_f16_sdwa v31, v10 dst_sel:DWORD dst_unused:UNUSED_PAD src0_sel:WORD_1
	v_cvt_f32_f16_e32 v10, v10
	v_ldexp_f32 v39, v39, v42
	v_cmp_ngt_f32_e32 vcc, s20, v37
	v_med3_f32 v43, v31, s22, v36
	v_med3_f32 v42, v10, s22, v36
	v_cndmask_b32_e32 v39, 0, v39, vcc
	v_cmp_nlt_f32_e32 vcc, s21, v37
	v_cvt_f32_f16_e32 v10, v15
	v_cvt_f32_f16_sdwa v15, v15 dst_sel:DWORD dst_unused:UNUSED_PAD src0_sel:WORD_1
	v_cndmask_b32_e32 v37, v35, v39, vcc
	v_add_f32_e32 v37, 1.0, v37
	v_rcp_f32_e32 v39, v37
	s_nop 0
	v_pk_mul_f32 v[38:39], v[40:41], v[38:39]
	v_pk_add_f32 v[40:41], v[42:43], 1.0 op_sel_hi:[1,0]
	v_min_f32_e32 v42, 0x40e00000, v10
	v_mul_f32_e32 v31, 0xbfd9db23, v42
	v_mul_f32_e32 v10, 0x3fb8aa3b, v31
	v_fma_f32 v37, v31, s19, -v10
	v_rndne_f32_e32 v43, v10
	v_fmac_f32_e32 v37, 0x32a5705f, v31
	v_sub_f32_e32 v10, v10, v43
	v_add_f32_e32 v10, v10, v37
	v_exp_f32_e32 v37, v10
	v_cvt_i32_f32_e32 v44, v43
	v_min_f32_e32 v43, 0x40e00000, v15
	v_cmp_ngt_f32_e32 vcc, s20, v31
	v_pk_mul_f32 v[38:39], v[40:41], v[38:39]
	v_ldexp_f32 v15, v37, v44
	v_cndmask_b32_e32 v15, 0, v15, vcc
	v_cmp_nlt_f32_e32 vcc, s21, v31
	v_mul_f32_e32 v31, 0xbfd9db23, v43
	v_mul_f32_e32 v37, 0x3fb8aa3b, v31
	v_cvt_f16_f32_e32 v10, v39
	v_fma_f32 v39, v31, s19, -v37
	v_rndne_f32_e32 v40, v37
	v_fmac_f32_e32 v39, 0x32a5705f, v31
	v_sub_f32_e32 v37, v37, v40
	v_add_f32_e32 v37, v37, v39
	v_exp_f32_e32 v37, v37
	v_cvt_i32_f32_e32 v39, v40
	v_cndmask_b32_e32 v15, v35, v15, vcc
	v_add_f32_e32 v15, 1.0, v15
	v_rcp_f32_e32 v40, v15
	v_cvt_f32_f16_sdwa v15, v11 dst_sel:DWORD dst_unused:UNUSED_PAD src0_sel:WORD_1
	v_cvt_f32_f16_e32 v44, v11
	v_ldexp_f32 v11, v37, v39
	v_cmp_ngt_f32_e32 vcc, s20, v31
	v_med3_f32 v39, v15, s22, v36
	v_cvt_f32_f16_e32 v15, v4
	v_cndmask_b32_e32 v11, 0, v11, vcc
	v_cmp_nlt_f32_e32 vcc, s21, v31
	v_cvt_f32_f16_sdwa v31, v4 dst_sel:DWORD dst_unused:UNUSED_PAD src0_sel:WORD_1
	s_nop 0
	v_cndmask_b32_e32 v11, v35, v11, vcc
	v_add_f32_e32 v11, 1.0, v11
	v_rcp_f32_e32 v41, v11
	v_cvt_f16_f32_e32 v11, v38
	v_med3_f32 v38, v44, s22, v36
	v_pk_add_f32 v[38:39], v[38:39], 1.0 op_sel_hi:[1,0]
	v_pk_mul_f32 v[40:41], v[42:43], v[40:41]
	s_nop 0
	v_pk_mul_f32 v[38:39], v[38:39], v[40:41]
	v_min_f32_e32 v40, 0x40e00000, v15
	v_mul_f32_e32 v15, 0xbfd9db23, v40
	v_mul_f32_e32 v4, 0x3fb8aa3b, v15
	v_fma_f32 v37, v15, s19, -v4
	v_rndne_f32_e32 v41, v4
	v_fmac_f32_e32 v37, 0x32a5705f, v15
	v_sub_f32_e32 v4, v4, v41
	v_add_f32_e32 v4, v4, v37
	v_exp_f32_e32 v37, v4
	v_cvt_i32_f32_e32 v42, v41
	v_min_f32_e32 v41, 0x40e00000, v31
	v_cmp_ngt_f32_e32 vcc, s20, v15
	v_cvt_f16_f32_e32 v4, v39
	v_ldexp_f32 v31, v37, v42
	v_cndmask_b32_e32 v31, 0, v31, vcc
	v_cmp_nlt_f32_e32 vcc, s21, v15
	v_cvt_f16_f32_e32 v44, v38
	s_nop 0
	v_cndmask_b32_e32 v15, v35, v31, vcc
	v_mul_f32_e32 v31, 0xbfd9db23, v41
	v_mul_f32_e32 v37, 0x3fb8aa3b, v31
	v_fma_f32 v38, v31, s19, -v37
	v_rndne_f32_e32 v39, v37
	v_fmac_f32_e32 v38, 0x32a5705f, v31
	v_sub_f32_e32 v37, v37, v39
	v_add_f32_e32 v37, v37, v38
	v_exp_f32_e32 v37, v37
	v_cvt_i32_f32_e32 v39, v39
	v_add_f32_e32 v15, 1.0, v15
	v_rcp_f32_e32 v38, v15
	s_waitcnt vmcnt(0)
	v_cvt_f32_f16_sdwa v15, v0 dst_sel:DWORD dst_unused:UNUSED_PAD src0_sel:WORD_1
	v_cvt_f32_f16_e32 v0, v0
	v_ldexp_f32 v37, v37, v39
	v_cmp_ngt_f32_e32 vcc, s20, v31
	v_med3_f32 v43, v15, s22, v36
	v_med3_f32 v42, v0, s22, v36
	v_cndmask_b32_e32 v37, 0, v37, vcc
	v_cmp_nlt_f32_e32 vcc, s21, v31
	v_cvt_f32_f16_e32 v0, v5
	v_cvt_f32_f16_sdwa v5, v5 dst_sel:DWORD dst_unused:UNUSED_PAD src0_sel:WORD_1
	v_cndmask_b32_e32 v31, v35, v37, vcc
	v_add_f32_e32 v31, 1.0, v31
	v_rcp_f32_e32 v39, v31
	s_nop 0
	v_pk_mul_f32 v[38:39], v[40:41], v[38:39]
	v_pk_add_f32 v[40:41], v[42:43], 1.0 op_sel_hi:[1,0]
	v_min_f32_e32 v42, 0x40e00000, v0
	v_mul_f32_e32 v0, 0xbfd9db23, v42
	v_mul_f32_e32 v15, 0x3fb8aa3b, v0
	v_fma_f32 v31, v0, s19, -v15
	v_rndne_f32_e32 v37, v15
	v_fmac_f32_e32 v31, 0x32a5705f, v0
	v_sub_f32_e32 v15, v15, v37
	v_add_f32_e32 v15, v15, v31
	v_exp_f32_e32 v15, v15
	v_cvt_i32_f32_e32 v31, v37
	v_min_f32_e32 v43, 0x40e00000, v5
	v_cmp_ngt_f32_e32 vcc, s20, v0
	v_pk_mul_f32 v[38:39], v[40:41], v[38:39]
	v_ldexp_f32 v5, v15, v31
	v_cndmask_b32_e32 v5, 0, v5, vcc
	v_cmp_nlt_f32_e32 vcc, s21, v0
	v_cvt_f16_f32_e32 v37, v39
	v_cvt_f32_f16_e32 v40, v1
	v_cndmask_b32_e32 v0, v35, v5, vcc
	v_mul_f32_e32 v5, 0xbfd9db23, v43
	v_mul_f32_e32 v15, 0x3fb8aa3b, v5
	v_fma_f32 v31, v5, s19, -v15
	v_rndne_f32_e32 v39, v15
	v_fmac_f32_e32 v31, 0x32a5705f, v5
	v_sub_f32_e32 v15, v15, v39
	v_add_f32_e32 v15, v15, v31
	v_exp_f32_e32 v15, v15
	v_cvt_i32_f32_e32 v31, v39
	v_cvt_f32_f16_sdwa v39, v1 dst_sel:DWORD dst_unused:UNUSED_PAD src0_sel:WORD_1
	v_cmp_ngt_f32_e32 vcc, s20, v5
	v_add_f32_e32 v0, 1.0, v0
	v_ldexp_f32 v1, v15, v31
	v_cndmask_b32_e32 v1, 0, v1, vcc
	v_cmp_nlt_f32_e32 vcc, s21, v5
	v_rcp_f32_e32 v0, v0
	v_cvt_f32_f16_e32 v15, v6
	v_cndmask_b32_e32 v1, v35, v1, vcc
	v_add_f32_e32 v1, 1.0, v1
	v_rcp_f32_e32 v1, v1
	v_cvt_f16_f32_e32 v5, v38
	v_med3_f32 v38, v40, s22, v36
	v_med3_f32 v39, v39, s22, v36
	v_pk_mul_f32 v[0:1], v[42:43], v[0:1]
	v_pk_add_f32 v[38:39], v[38:39], 1.0 op_sel_hi:[1,0]
	v_cvt_f32_f16_sdwa v6, v6 dst_sel:DWORD dst_unused:UNUSED_PAD src0_sel:WORD_1
	v_pk_mul_f32 v[0:1], v[38:39], v[0:1]
	v_min_f32_e32 v38, 0x40e00000, v15
	v_mul_f32_e32 v15, 0xbfd9db23, v38
	v_mul_f32_e32 v31, 0x3fb8aa3b, v15
	v_fma_f32 v39, v15, s19, -v31
	v_rndne_f32_e32 v40, v31
	v_fmac_f32_e32 v39, 0x32a5705f, v15
	v_sub_f32_e32 v31, v31, v40
	v_add_f32_e32 v31, v31, v39
	v_exp_f32_e32 v31, v31
	v_cvt_i32_f32_e32 v40, v40
	v_min_f32_e32 v39, 0x40e00000, v6
	v_cvt_f16_f32_e32 v42, v1
	v_mul_f32_e32 v1, 0xbfd9db23, v39
	v_cvt_f16_f32_e32 v43, v0
	v_ldexp_f32 v0, v31, v40
	v_cmp_ngt_f32_e32 vcc, s20, v15
	v_mul_f32_e32 v6, 0x3fb8aa3b, v1
	v_rndne_f32_e32 v31, v6
	v_cndmask_b32_e32 v0, 0, v0, vcc
	v_cmp_nlt_f32_e32 vcc, s21, v15
	v_fma_f32 v15, v1, s19, -v6
	v_fmac_f32_e32 v15, 0x32a5705f, v1
	v_sub_f32_e32 v6, v6, v31
	v_add_f32_e32 v6, v6, v15
	v_exp_f32_e32 v6, v6
	v_cvt_i32_f32_e32 v15, v31
	v_cvt_f32_f16_sdwa v31, v2 dst_sel:DWORD dst_unused:UNUSED_PAD src0_sel:WORD_1
	v_cvt_f32_f16_e32 v2, v2
	v_cndmask_b32_e32 v0, v35, v0, vcc
	v_ldexp_f32 v6, v6, v15
	v_cmp_ngt_f32_e32 vcc, s20, v1
	v_med3_f32 v40, v2, s22, v36
	v_cvt_f32_f16_e32 v2, v7
	v_cndmask_b32_e32 v6, 0, v6, vcc
	v_cmp_nlt_f32_e32 vcc, s21, v1
	v_add_f32_e32 v0, 1.0, v0
	v_rcp_f32_e32 v0, v0
	v_cndmask_b32_e32 v1, v35, v6, vcc
	v_add_f32_e32 v1, 1.0, v1
	v_rcp_f32_e32 v1, v1
	v_min_f32_e32 v6, 0x40e00000, v2
	v_mul_f32_e32 v2, 0xbfd9db23, v6
	v_med3_f32 v41, v31, s22, v36
	v_mul_f32_e32 v15, 0x3fb8aa3b, v2
	v_pk_mul_f32 v[0:1], v[38:39], v[0:1]
	v_pk_add_f32 v[38:39], v[40:41], 1.0 op_sel_hi:[1,0]
	v_fma_f32 v31, v2, s19, -v15
	v_rndne_f32_e32 v40, v15
	v_fmac_f32_e32 v31, 0x32a5705f, v2
	v_sub_f32_e32 v15, v15, v40
	v_cvt_f32_f16_sdwa v7, v7 dst_sel:DWORD dst_unused:UNUSED_PAD src0_sel:WORD_1
	v_add_f32_e32 v15, v15, v31
	v_exp_f32_e32 v15, v15
	v_cvt_i32_f32_e32 v31, v40
	v_pk_mul_f32 v[0:1], v[38:39], v[0:1]
	v_min_f32_e32 v7, 0x40e00000, v7
	v_cvt_f16_f32_e32 v38, v1
	v_ldexp_f32 v1, v15, v31
	v_cmp_ngt_f32_e32 vcc, s20, v2
	v_mul_f32_e32 v15, 0xbfd9db23, v7
	v_cvt_f32_f16_e32 v40, v3
	v_cndmask_b32_e32 v1, 0, v1, vcc
	v_cmp_nlt_f32_e32 vcc, s21, v2
	v_mul_f32_e32 v2, 0x3fb8aa3b, v15
	v_fma_f32 v31, v15, s19, -v2
	v_rndne_f32_e32 v39, v2
	v_fmac_f32_e32 v31, 0x32a5705f, v15
	v_sub_f32_e32 v2, v2, v39
	v_add_f32_e32 v2, v2, v31
	v_exp_f32_e32 v31, v2
	v_cvt_i32_f32_e32 v39, v39
	v_cndmask_b32_e32 v1, v35, v1, vcc
	v_add_f32_e32 v1, 1.0, v1
	v_rcp_f32_e32 v2, v1
	v_cvt_f32_f16_sdwa v1, v3 dst_sel:DWORD dst_unused:UNUSED_PAD src0_sel:WORD_1
	v_ldexp_f32 v3, v31, v39
	v_cmp_ngt_f32_e32 vcc, s20, v15
	v_med3_f32 v1, v1, s22, v36
	s_nop 0
	v_cndmask_b32_e32 v3, 0, v3, vcc
	v_cmp_nlt_f32_e32 vcc, s21, v15
	v_cvt_f16_f32_e32 v15, v0
	v_med3_f32 v0, v40, s22, v36
	v_cndmask_b32_e32 v3, v35, v3, vcc
	v_add_f32_e32 v3, 1.0, v3
	v_rcp_f32_e32 v3, v3
	v_pk_add_f32 v[0:1], v[0:1], 1.0 op_sel_hi:[1,0]
	v_cmp_le_i64_e32 vcc, s[12:13], v[32:33]
	s_or_b64 s[16:17], vcc, s[16:17]
	v_pk_mul_f32 v[2:3], v[6:7], v[2:3]
	s_nop 0
	v_pk_mul_f32 v[0:1], v[0:1], v[2:3]
	v_pack_b32_f16 v3, v30, v20
	v_cvt_f16_f32_e32 v6, v1
	v_cvt_f16_f32_e32 v7, v0
	v_pack_b32_f16 v2, v27, v26
	v_pack_b32_f16 v1, v29, v28
	v_pack_b32_f16 v0, v25, v24
	buffer_store_dwordx4 v[0:3], v34, s[8:11], 0 offen
	s_nop 1
	v_pack_b32_f16 v3, v23, v12
	v_pack_b32_f16 v2, v19, v18
	v_pack_b32_f16 v1, v22, v21
	v_pack_b32_f16 v0, v17, v16
	buffer_store_dwordx4 v[0:3], v34, s[8:11], 16 offen
	s_nop 1
	v_pack_b32_f16 v3, v44, v4
	;; [unrolled: 6-line block ×3, first 2 shown]
	v_pack_b32_f16 v2, v15, v38
	v_pack_b32_f16 v1, v43, v42
	;; [unrolled: 1-line block ×3, first 2 shown]
	buffer_store_dwordx4 v[0:3], v34, s[8:11], 48 offen
	v_add_u32_e32 v34, s18, v34
	s_andn2_b64 exec, exec, s[16:17]
	s_cbranch_execnz .LBB70_2
.LBB70_3:
	s_endpgm
	.section	.rodata,"a",@progbits
	.p2align	6, 0x0
	.amdhsa_kernel _ZN5aiter25swiglu_act_and_mul_kernelIDF16_DF16_Li32EEEvPT0_PKT_i
		.amdhsa_group_segment_fixed_size 0
		.amdhsa_private_segment_fixed_size 0
		.amdhsa_kernarg_size 280
		.amdhsa_user_sgpr_count 2
		.amdhsa_user_sgpr_dispatch_ptr 0
		.amdhsa_user_sgpr_queue_ptr 0
		.amdhsa_user_sgpr_kernarg_segment_ptr 1
		.amdhsa_user_sgpr_dispatch_id 0
		.amdhsa_user_sgpr_kernarg_preload_length 0
		.amdhsa_user_sgpr_kernarg_preload_offset 0
		.amdhsa_user_sgpr_private_segment_size 0
		.amdhsa_uses_dynamic_stack 0
		.amdhsa_enable_private_segment 0
		.amdhsa_system_sgpr_workgroup_id_x 1
		.amdhsa_system_sgpr_workgroup_id_y 0
		.amdhsa_system_sgpr_workgroup_id_z 0
		.amdhsa_system_sgpr_workgroup_info 0
		.amdhsa_system_vgpr_workitem_id 0
		.amdhsa_next_free_vgpr 55
		.amdhsa_next_free_sgpr 23
		.amdhsa_accum_offset 56
		.amdhsa_reserve_vcc 1
		.amdhsa_float_round_mode_32 0
		.amdhsa_float_round_mode_16_64 0
		.amdhsa_float_denorm_mode_32 3
		.amdhsa_float_denorm_mode_16_64 3
		.amdhsa_dx10_clamp 1
		.amdhsa_ieee_mode 1
		.amdhsa_fp16_overflow 0
		.amdhsa_tg_split 0
		.amdhsa_exception_fp_ieee_invalid_op 0
		.amdhsa_exception_fp_denorm_src 0
		.amdhsa_exception_fp_ieee_div_zero 0
		.amdhsa_exception_fp_ieee_overflow 0
		.amdhsa_exception_fp_ieee_underflow 0
		.amdhsa_exception_fp_ieee_inexact 0
		.amdhsa_exception_int_div_zero 0
	.end_amdhsa_kernel
	.section	.text._ZN5aiter25swiglu_act_and_mul_kernelIDF16_DF16_Li32EEEvPT0_PKT_i,"axG",@progbits,_ZN5aiter25swiglu_act_and_mul_kernelIDF16_DF16_Li32EEEvPT0_PKT_i,comdat
.Lfunc_end70:
	.size	_ZN5aiter25swiglu_act_and_mul_kernelIDF16_DF16_Li32EEEvPT0_PKT_i, .Lfunc_end70-_ZN5aiter25swiglu_act_and_mul_kernelIDF16_DF16_Li32EEEvPT0_PKT_i
                                        ; -- End function
	.section	.AMDGPU.csdata,"",@progbits
; Kernel info:
; codeLenInByte = 4724
; NumSgprs: 29
; NumVgprs: 55
; NumAgprs: 0
; TotalNumVgprs: 55
; ScratchSize: 0
; MemoryBound: 0
; FloatMode: 240
; IeeeMode: 1
; LDSByteSize: 0 bytes/workgroup (compile time only)
; SGPRBlocks: 3
; VGPRBlocks: 6
; NumSGPRsForWavesPerEU: 29
; NumVGPRsForWavesPerEU: 55
; AccumOffset: 56
; Occupancy: 8
; WaveLimiterHint : 0
; COMPUTE_PGM_RSRC2:SCRATCH_EN: 0
; COMPUTE_PGM_RSRC2:USER_SGPR: 2
; COMPUTE_PGM_RSRC2:TRAP_HANDLER: 0
; COMPUTE_PGM_RSRC2:TGID_X_EN: 1
; COMPUTE_PGM_RSRC2:TGID_Y_EN: 0
; COMPUTE_PGM_RSRC2:TGID_Z_EN: 0
; COMPUTE_PGM_RSRC2:TIDIG_COMP_CNT: 0
; COMPUTE_PGM_RSRC3_GFX90A:ACCUM_OFFSET: 13
; COMPUTE_PGM_RSRC3_GFX90A:TG_SPLIT: 0
	.section	.text._ZN5aiter25swiglu_act_and_mul_kernelIDF16_DF16_Li16EEEvPT0_PKT_i,"axG",@progbits,_ZN5aiter25swiglu_act_and_mul_kernelIDF16_DF16_Li16EEEvPT0_PKT_i,comdat
	.protected	_ZN5aiter25swiglu_act_and_mul_kernelIDF16_DF16_Li16EEEvPT0_PKT_i ; -- Begin function _ZN5aiter25swiglu_act_and_mul_kernelIDF16_DF16_Li16EEEvPT0_PKT_i
	.globl	_ZN5aiter25swiglu_act_and_mul_kernelIDF16_DF16_Li16EEEvPT0_PKT_i
	.p2align	8
	.type	_ZN5aiter25swiglu_act_and_mul_kernelIDF16_DF16_Li16EEEvPT0_PKT_i,@function
_ZN5aiter25swiglu_act_and_mul_kernelIDF16_DF16_Li16EEEvPT0_PKT_i: ; @_ZN5aiter25swiglu_act_and_mul_kernelIDF16_DF16_Li16EEEvPT0_PKT_i
; %bb.0:
	s_load_dword s12, s[0:1], 0x10
	v_lshlrev_b32_e32 v16, 4, v0
	s_waitcnt lgkmcnt(0)
	v_cmp_gt_i32_e32 vcc, s12, v16
	s_and_saveexec_b64 s[4:5], vcc
	s_cbranch_execz .LBB71_3
; %bb.1:
	s_load_dwordx4 s[8:11], s[0:1], 0x0
	s_load_dword s14, s[0:1], 0x24
	s_ashr_i32 s13, s12, 31
	s_mul_hi_u32 s3, s12, s2
	s_mul_i32 s4, s13, s2
	s_add_i32 s3, s3, s4
	s_mul_i32 s2, s12, s2
	s_lshl_b64 s[6:7], s[2:3], 1
	s_lshl_b64 s[2:3], s[2:3], 2
	s_waitcnt lgkmcnt(0)
	s_add_u32 s0, s10, s2
	s_addc_u32 s1, s11, s3
	s_lshl_b64 s[2:3], s[12:13], 1
	s_add_u32 s4, s0, s2
	s_addc_u32 s5, s1, s3
	s_add_i32 s2, s12, 1
	s_lshr_b32 s3, s2, 31
	s_add_i32 s2, s2, s3
	s_lshl_b32 s2, s2, 1
	s_and_b32 s2, s2, -4
	s_and_b32 s1, s1, 0xffff
	s_and_b32 s5, s5, 0xffff
	s_add_u32 s8, s8, s6
	s_addc_u32 s6, s9, s7
	s_mov_b32 s3, 0x20000
	s_and_b32 s9, s6, 0xffff
	s_and_b32 s6, s14, 0xffff
	s_mov_b32 s15, 0
	v_mov_b32_e32 v17, 0
	s_lshl_b32 s14, s6, 4
	v_lshlrev_b32_e32 v18, 5, v0
	s_lshl_b32 s18, s6, 5
	s_mov_b64 s[16:17], 0
	s_mov_b32 s6, s2
	s_mov_b32 s7, s3
	;; [unrolled: 1-line block ×5, first 2 shown]
	v_mov_b32_e32 v19, 0x7f800000
	s_mov_b32 s22, 0xc0e00000
	v_mov_b32_e32 v20, 0x40e00000
	s_mov_b32 s10, s2
	s_mov_b32 s11, s3
.LBB71_2:                               ; =>This Inner Loop Header: Depth=1
	buffer_load_dwordx4 v[12:15], v18, s[0:3], 0 offen
	buffer_load_dwordx4 v[8:11], v18, s[4:7], 0 offen
	;; [unrolled: 1-line block ×4, first 2 shown]
	v_lshl_add_u64 v[16:17], s[14:15], 0, v[16:17]
	s_waitcnt vmcnt(3)
	v_cvt_f32_f16_sdwa v21, v12 dst_sel:DWORD dst_unused:UNUSED_PAD src0_sel:WORD_1
	v_cvt_f32_f16_e32 v12, v12
	s_waitcnt vmcnt(2)
	v_cvt_f32_f16_sdwa v27, v9 dst_sel:DWORD dst_unused:UNUSED_PAD src0_sel:WORD_1
	v_cvt_f32_f16_e32 v9, v9
	v_cvt_f32_f16_sdwa v23, v8 dst_sel:DWORD dst_unused:UNUSED_PAD src0_sel:WORD_1
	v_cvt_f32_f16_e32 v8, v8
	v_cvt_f32_f16_e32 v24, v13
	v_cvt_f32_f16_sdwa v32, v14 dst_sel:DWORD dst_unused:UNUSED_PAD src0_sel:WORD_1
	v_cvt_f32_f16_e32 v14, v14
	v_cvt_f32_f16_sdwa v25, v13 dst_sel:DWORD dst_unused:UNUSED_PAD src0_sel:WORD_1
	v_min_f32_e32 v12, 0x40e00000, v12
	v_min_f32_e32 v13, 0x40e00000, v21
	v_med3_f32 v26, v9, s22, v20
	v_mul_f32_e32 v9, 0xbfd9db23, v12
	v_med3_f32 v22, v8, s22, v20
	v_min_f32_e32 v24, 0x40e00000, v24
	v_min_f32_e32 v8, 0x40e00000, v14
	v_mul_f32_e32 v14, 0xbfd9db23, v13
	v_mul_f32_e32 v29, 0x3fb8aa3b, v9
	v_min_f32_e32 v25, 0x40e00000, v25
	v_mul_f32_e32 v21, 0xbfd9db23, v24
	v_mul_f32_e32 v30, 0x3fb8aa3b, v14
	v_fma_f32 v36, v9, s19, -v29
	v_rndne_f32_e32 v37, v29
	v_mul_f32_e32 v28, 0xbfd9db23, v25
	v_mul_f32_e32 v31, 0x3fb8aa3b, v21
	v_fma_f32 v38, v14, s19, -v30
	v_rndne_f32_e32 v39, v30
	v_fmac_f32_e32 v36, 0x32a5705f, v9
	v_sub_f32_e32 v29, v29, v37
	v_mul_f32_e32 v34, 0x3fb8aa3b, v28
	v_fma_f32 v40, v21, s19, -v31
	v_rndne_f32_e32 v41, v31
	v_fmac_f32_e32 v38, 0x32a5705f, v14
	v_sub_f32_e32 v30, v30, v39
	v_add_f32_e32 v29, v29, v36
	v_fma_f32 v42, v28, s19, -v34
	v_rndne_f32_e32 v43, v34
	v_cvt_i32_f32_e32 v37, v37
	v_fmac_f32_e32 v40, 0x32a5705f, v21
	v_sub_f32_e32 v31, v31, v41
	v_add_f32_e32 v30, v30, v38
	v_exp_f32_e32 v29, v29
	v_cvt_i32_f32_e32 v39, v39
	v_fmac_f32_e32 v42, 0x32a5705f, v28
	v_sub_f32_e32 v34, v34, v43
	v_add_f32_e32 v31, v31, v40
	v_exp_f32_e32 v30, v30
	v_cvt_i32_f32_e32 v41, v41
	v_add_f32_e32 v34, v34, v42
	v_exp_f32_e32 v31, v31
	v_cvt_i32_f32_e32 v43, v43
	v_exp_f32_e32 v34, v34
	v_ldexp_f32 v29, v29, v37
	v_cmp_ngt_f32_e32 vcc, s20, v9
	v_ldexp_f32 v30, v30, v39
	v_ldexp_f32 v31, v31, v41
	v_cndmask_b32_e32 v29, 0, v29, vcc
	v_cmp_ngt_f32_e32 vcc, s20, v14
	v_ldexp_f32 v34, v34, v43
	v_mul_f32_e32 v33, 0xbfd9db23, v8
	v_cndmask_b32_e32 v30, 0, v30, vcc
	v_cmp_ngt_f32_e32 vcc, s20, v21
	v_mul_f32_e32 v35, 0x3fb8aa3b, v33
	v_fma_f32 v44, v33, s19, -v35
	v_cndmask_b32_e32 v31, 0, v31, vcc
	v_cmp_ngt_f32_e32 vcc, s20, v28
	v_rndne_f32_e32 v45, v35
	v_med3_f32 v23, v23, s22, v20
	v_cndmask_b32_e32 v34, 0, v34, vcc
	v_cmp_nlt_f32_e32 vcc, s21, v9
	v_fmac_f32_e32 v44, 0x32a5705f, v33
	v_sub_f32_e32 v35, v35, v45
	v_cndmask_b32_e32 v9, v19, v29, vcc
	v_cmp_nlt_f32_e32 vcc, s21, v14
	v_add_f32_e32 v9, 1.0, v9
	v_med3_f32 v27, v27, s22, v20
	v_cndmask_b32_e32 v14, v19, v30, vcc
	v_cmp_nlt_f32_e32 vcc, s21, v21
	v_add_f32_e32 v14, 1.0, v14
	v_rcp_f32_e32 v29, v14
	v_cndmask_b32_e32 v21, v19, v31, vcc
	v_cmp_nlt_f32_e32 vcc, s21, v28
	v_add_f32_e32 v21, 1.0, v21
	v_rcp_f32_e32 v30, v21
	v_cndmask_b32_e32 v28, v19, v34, vcc
	v_add_f32_e32 v31, 1.0, v28
	v_rcp_f32_e32 v28, v9
	v_rcp_f32_e32 v31, v31
	v_pk_add_f32 v[22:23], v[22:23], 1.0 op_sel_hi:[1,0]
	v_add_f32_e32 v9, v35, v44
	v_pk_mul_f32 v[12:13], v[12:13], v[28:29]
	v_pk_add_f32 v[26:27], v[26:27], 1.0 op_sel_hi:[1,0]
	v_exp_f32_e32 v34, v9
	v_pk_mul_f32 v[24:25], v[24:25], v[30:31]
	v_pk_mul_f32 v[22:23], v[22:23], v[12:13]
	v_min_f32_e32 v9, 0x40e00000, v32
	v_pk_mul_f32 v[24:25], v[26:27], v[24:25]
	v_cvt_f16_f32_e32 v12, v23
	v_mul_f32_e32 v23, 0xbfd9db23, v9
	v_cvt_f16_f32_e32 v21, v24
	v_mul_f32_e32 v24, 0x3fb8aa3b, v23
	v_cvt_f16_f32_e32 v14, v25
	v_fma_f32 v25, v23, s19, -v24
	v_rndne_f32_e32 v26, v24
	v_cvt_i32_f32_e32 v45, v45
	v_fmac_f32_e32 v25, 0x32a5705f, v23
	v_sub_f32_e32 v24, v24, v26
	v_add_f32_e32 v24, v24, v25
	v_exp_f32_e32 v24, v24
	v_cvt_i32_f32_e32 v25, v26
	v_cvt_f16_f32_e32 v13, v22
	v_ldexp_f32 v22, v34, v45
	v_cmp_ngt_f32_e32 vcc, s20, v33
	v_cvt_f32_f16_sdwa v26, v10 dst_sel:DWORD dst_unused:UNUSED_PAD src0_sel:WORD_1
	v_cvt_f32_f16_e32 v10, v10
	v_cndmask_b32_e32 v22, 0, v22, vcc
	v_cmp_nlt_f32_e32 vcc, s21, v33
	v_ldexp_f32 v24, v24, v25
	v_med3_f32 v25, v26, s22, v20
	v_cndmask_b32_e32 v22, v19, v22, vcc
	v_cmp_ngt_f32_e32 vcc, s20, v23
	v_add_f32_e32 v22, 1.0, v22
	v_rcp_f32_e32 v22, v22
	v_cndmask_b32_e32 v24, 0, v24, vcc
	v_cmp_nlt_f32_e32 vcc, s21, v23
	v_cvt_f32_f16_e32 v28, v11
	s_nop 0
	v_cndmask_b32_e32 v23, v19, v24, vcc
	v_add_f32_e32 v23, 1.0, v23
	v_rcp_f32_e32 v23, v23
	v_med3_f32 v24, v10, s22, v20
	v_cvt_f32_f16_e32 v10, v15
	v_cvt_f32_f16_sdwa v15, v15 dst_sel:DWORD dst_unused:UNUSED_PAD src0_sel:WORD_1
	v_pk_mul_f32 v[8:9], v[8:9], v[22:23]
	v_pk_add_f32 v[22:23], v[24:25], 1.0 op_sel_hi:[1,0]
	v_min_f32_e32 v24, 0x40e00000, v10
	v_mul_f32_e32 v10, 0xbfd9db23, v24
	v_mul_f32_e32 v25, 0x3fb8aa3b, v10
	v_fma_f32 v26, v10, s19, -v25
	v_rndne_f32_e32 v27, v25
	v_fmac_f32_e32 v26, 0x32a5705f, v10
	v_sub_f32_e32 v25, v25, v27
	v_add_f32_e32 v25, v25, v26
	v_exp_f32_e32 v26, v25
	v_cvt_i32_f32_e32 v27, v27
	v_min_f32_e32 v25, 0x40e00000, v15
	v_pk_mul_f32 v[22:23], v[22:23], v[8:9]
	v_cmp_ngt_f32_e32 vcc, s20, v10
	v_ldexp_f32 v9, v26, v27
	v_mul_f32_e32 v15, 0xbfd9db23, v25
	v_cndmask_b32_e32 v9, 0, v9, vcc
	v_cmp_nlt_f32_e32 vcc, s21, v10
	v_mul_f32_e32 v10, 0x3fb8aa3b, v15
	v_cvt_f16_f32_e32 v8, v23
	v_fma_f32 v23, v15, s19, -v10
	v_rndne_f32_e32 v26, v10
	v_fmac_f32_e32 v23, 0x32a5705f, v15
	v_sub_f32_e32 v10, v10, v26
	v_add_f32_e32 v10, v10, v23
	v_exp_f32_e32 v23, v10
	v_cvt_i32_f32_e32 v26, v26
	v_cndmask_b32_e32 v9, v19, v9, vcc
	v_add_f32_e32 v9, 1.0, v9
	v_rcp_f32_e32 v10, v9
	v_ldexp_f32 v9, v23, v26
	v_cmp_ngt_f32_e32 vcc, s20, v15
	v_cvt_f32_f16_sdwa v27, v11 dst_sel:DWORD dst_unused:UNUSED_PAD src0_sel:WORD_1
	v_med3_f32 v23, v27, s22, v20
	v_cndmask_b32_e32 v9, 0, v9, vcc
	v_cmp_nlt_f32_e32 vcc, s21, v15
	s_waitcnt vmcnt(1)
	v_cvt_f32_f16_e32 v15, v4
	v_cvt_f32_f16_sdwa v4, v4 dst_sel:DWORD dst_unused:UNUSED_PAD src0_sel:WORD_1
	v_cndmask_b32_e32 v9, v19, v9, vcc
	v_add_f32_e32 v9, 1.0, v9
	v_rcp_f32_e32 v11, v9
	v_cvt_f16_f32_e32 v9, v22
	v_med3_f32 v22, v28, s22, v20
	v_pk_add_f32 v[22:23], v[22:23], 1.0 op_sel_hi:[1,0]
	v_pk_mul_f32 v[10:11], v[24:25], v[10:11]
	s_nop 0
	v_pk_mul_f32 v[10:11], v[22:23], v[10:11]
	v_min_f32_e32 v22, 0x40e00000, v15
	v_mul_f32_e32 v15, 0xbfd9db23, v22
	v_mul_f32_e32 v23, 0x3fb8aa3b, v15
	v_fma_f32 v24, v15, s19, -v23
	v_rndne_f32_e32 v25, v23
	v_fmac_f32_e32 v24, 0x32a5705f, v15
	v_sub_f32_e32 v23, v23, v25
	v_add_f32_e32 v23, v23, v24
	v_exp_f32_e32 v24, v23
	v_cvt_i32_f32_e32 v25, v25
	v_min_f32_e32 v23, 0x40e00000, v4
	v_cvt_f16_f32_e32 v26, v11
	v_mul_f32_e32 v11, 0xbfd9db23, v23
	v_cvt_f16_f32_e32 v27, v10
	v_ldexp_f32 v4, v24, v25
	v_cmp_ngt_f32_e32 vcc, s20, v15
	v_mul_f32_e32 v10, 0x3fb8aa3b, v11
	v_rndne_f32_e32 v24, v10
	v_cndmask_b32_e32 v4, 0, v4, vcc
	v_cmp_nlt_f32_e32 vcc, s21, v15
	v_fma_f32 v15, v11, s19, -v10
	v_fmac_f32_e32 v15, 0x32a5705f, v11
	v_sub_f32_e32 v10, v10, v24
	v_cndmask_b32_e32 v4, v19, v4, vcc
	v_add_f32_e32 v10, v10, v15
	v_add_f32_e32 v4, 1.0, v4
	v_exp_f32_e32 v15, v10
	v_cvt_i32_f32_e32 v24, v24
	v_rcp_f32_e32 v10, v4
	s_waitcnt vmcnt(0)
	v_cvt_f32_f16_sdwa v4, v0 dst_sel:DWORD dst_unused:UNUSED_PAD src0_sel:WORD_1
	v_cvt_f32_f16_e32 v0, v0
	v_ldexp_f32 v15, v15, v24
	v_cmp_ngt_f32_e32 vcc, s20, v11
	v_med3_f32 v25, v4, s22, v20
	v_med3_f32 v24, v0, s22, v20
	v_cndmask_b32_e32 v15, 0, v15, vcc
	v_cmp_nlt_f32_e32 vcc, s21, v11
	v_cvt_f32_f16_e32 v0, v5
	v_cvt_f32_f16_sdwa v5, v5 dst_sel:DWORD dst_unused:UNUSED_PAD src0_sel:WORD_1
	v_cndmask_b32_e32 v11, v19, v15, vcc
	v_add_f32_e32 v11, 1.0, v11
	v_rcp_f32_e32 v11, v11
	v_min_f32_e32 v4, 0x40e00000, v0
	v_mul_f32_e32 v0, 0xbfd9db23, v4
	v_mul_f32_e32 v15, 0x3fb8aa3b, v0
	v_pk_mul_f32 v[10:11], v[22:23], v[10:11]
	v_pk_add_f32 v[22:23], v[24:25], 1.0 op_sel_hi:[1,0]
	v_fma_f32 v24, v0, s19, -v15
	v_rndne_f32_e32 v25, v15
	v_fmac_f32_e32 v24, 0x32a5705f, v0
	v_sub_f32_e32 v15, v15, v25
	v_add_f32_e32 v15, v15, v24
	v_exp_f32_e32 v15, v15
	v_cvt_i32_f32_e32 v24, v25
	v_pk_mul_f32 v[10:11], v[22:23], v[10:11]
	v_cmp_ngt_f32_e32 vcc, s20, v0
	v_cvt_f16_f32_e32 v22, v11
	v_ldexp_f32 v11, v15, v24
	v_min_f32_e32 v5, 0x40e00000, v5
	v_cndmask_b32_e32 v11, 0, v11, vcc
	v_cmp_nlt_f32_e32 vcc, s21, v0
	v_cvt_f32_f16_e32 v25, v1
	s_nop 0
	v_cndmask_b32_e32 v0, v19, v11, vcc
	v_mul_f32_e32 v11, 0xbfd9db23, v5
	v_mul_f32_e32 v15, 0x3fb8aa3b, v11
	v_fma_f32 v23, v11, s19, -v15
	v_rndne_f32_e32 v24, v15
	v_fmac_f32_e32 v23, 0x32a5705f, v11
	v_sub_f32_e32 v15, v15, v24
	v_add_f32_e32 v15, v15, v23
	v_exp_f32_e32 v15, v15
	v_cvt_i32_f32_e32 v23, v24
	v_cvt_f32_f16_sdwa v24, v1 dst_sel:DWORD dst_unused:UNUSED_PAD src0_sel:WORD_1
	v_cmp_ngt_f32_e32 vcc, s20, v11
	v_add_f32_e32 v0, 1.0, v0
	v_ldexp_f32 v1, v15, v23
	v_cndmask_b32_e32 v1, 0, v1, vcc
	v_cmp_nlt_f32_e32 vcc, s21, v11
	v_rcp_f32_e32 v0, v0
	v_cvt_f32_f16_e32 v23, v6
	v_cndmask_b32_e32 v1, v19, v1, vcc
	v_add_f32_e32 v1, 1.0, v1
	v_rcp_f32_e32 v1, v1
	v_cvt_f16_f32_e32 v15, v10
	v_med3_f32 v10, v25, s22, v20
	v_med3_f32 v11, v24, s22, v20
	v_pk_mul_f32 v[0:1], v[4:5], v[0:1]
	v_pk_add_f32 v[4:5], v[10:11], 1.0 op_sel_hi:[1,0]
	s_nop 0
	v_pk_mul_f32 v[0:1], v[4:5], v[0:1]
	v_min_f32_e32 v4, 0x40e00000, v23
	v_cvt_f32_f16_sdwa v5, v6 dst_sel:DWORD dst_unused:UNUSED_PAD src0_sel:WORD_1
	v_mul_f32_e32 v6, 0xbfd9db23, v4
	v_mul_f32_e32 v10, 0x3fb8aa3b, v6
	v_fma_f32 v11, v6, s19, -v10
	v_rndne_f32_e32 v23, v10
	v_fmac_f32_e32 v11, 0x32a5705f, v6
	v_sub_f32_e32 v10, v10, v23
	v_add_f32_e32 v10, v10, v11
	v_exp_f32_e32 v10, v10
	v_cvt_i32_f32_e32 v11, v23
	v_min_f32_e32 v5, 0x40e00000, v5
	v_cvt_f16_f32_e32 v23, v1
	v_cvt_f16_f32_e32 v24, v0
	v_ldexp_f32 v0, v10, v11
	v_cmp_ngt_f32_e32 vcc, s20, v6
	v_mul_f32_e32 v1, 0xbfd9db23, v5
	s_nop 0
	v_cndmask_b32_e32 v0, 0, v0, vcc
	v_cmp_nlt_f32_e32 vcc, s21, v6
	v_mul_f32_e32 v6, 0x3fb8aa3b, v1
	v_fma_f32 v10, v1, s19, -v6
	v_rndne_f32_e32 v11, v6
	v_fmac_f32_e32 v10, 0x32a5705f, v1
	v_sub_f32_e32 v6, v6, v11
	v_add_f32_e32 v6, v6, v10
	v_exp_f32_e32 v6, v6
	v_cvt_i32_f32_e32 v10, v11
	v_cvt_f32_f16_sdwa v11, v2 dst_sel:DWORD dst_unused:UNUSED_PAD src0_sel:WORD_1
	v_cvt_f32_f16_e32 v2, v2
	v_cndmask_b32_e32 v0, v19, v0, vcc
	v_ldexp_f32 v6, v6, v10
	v_cmp_ngt_f32_e32 vcc, s20, v1
	v_med3_f32 v10, v2, s22, v20
	v_cvt_f32_f16_e32 v2, v7
	v_cndmask_b32_e32 v6, 0, v6, vcc
	v_cmp_nlt_f32_e32 vcc, s21, v1
	v_add_f32_e32 v0, 1.0, v0
	v_rcp_f32_e32 v0, v0
	v_cndmask_b32_e32 v1, v19, v6, vcc
	v_add_f32_e32 v1, 1.0, v1
	v_rcp_f32_e32 v1, v1
	v_min_f32_e32 v6, 0x40e00000, v2
	v_med3_f32 v11, v11, s22, v20
	v_mul_f32_e32 v2, 0xbfd9db23, v6
	v_pk_mul_f32 v[0:1], v[4:5], v[0:1]
	v_pk_add_f32 v[4:5], v[10:11], 1.0 op_sel_hi:[1,0]
	v_mul_f32_e32 v10, 0x3fb8aa3b, v2
	v_fma_f32 v11, v2, s19, -v10
	v_rndne_f32_e32 v25, v10
	v_fmac_f32_e32 v11, 0x32a5705f, v2
	v_sub_f32_e32 v10, v10, v25
	v_cvt_f32_f16_sdwa v7, v7 dst_sel:DWORD dst_unused:UNUSED_PAD src0_sel:WORD_1
	v_add_f32_e32 v10, v10, v11
	v_exp_f32_e32 v10, v10
	v_cvt_i32_f32_e32 v11, v25
	v_pk_mul_f32 v[0:1], v[4:5], v[0:1]
	v_min_f32_e32 v7, 0x40e00000, v7
	v_cvt_f16_f32_e32 v4, v1
	v_ldexp_f32 v1, v10, v11
	v_cmp_ngt_f32_e32 vcc, s20, v2
	v_mul_f32_e32 v5, 0xbfd9db23, v7
	v_cvt_f32_f16_e32 v25, v3
	v_cndmask_b32_e32 v1, 0, v1, vcc
	v_cmp_nlt_f32_e32 vcc, s21, v2
	v_mul_f32_e32 v2, 0x3fb8aa3b, v5
	v_fma_f32 v10, v5, s19, -v2
	v_rndne_f32_e32 v11, v2
	v_fmac_f32_e32 v10, 0x32a5705f, v5
	v_sub_f32_e32 v2, v2, v11
	v_add_f32_e32 v2, v2, v10
	v_exp_f32_e32 v10, v2
	v_cvt_i32_f32_e32 v11, v11
	v_cndmask_b32_e32 v1, v19, v1, vcc
	v_add_f32_e32 v1, 1.0, v1
	v_rcp_f32_e32 v2, v1
	v_cvt_f32_f16_sdwa v1, v3 dst_sel:DWORD dst_unused:UNUSED_PAD src0_sel:WORD_1
	v_ldexp_f32 v3, v10, v11
	v_cmp_ngt_f32_e32 vcc, s20, v5
	v_med3_f32 v1, v1, s22, v20
	s_nop 0
	v_cndmask_b32_e32 v3, 0, v3, vcc
	v_cmp_nlt_f32_e32 vcc, s21, v5
	v_cvt_f16_f32_e32 v5, v0
	v_med3_f32 v0, v25, s22, v20
	v_cndmask_b32_e32 v3, v19, v3, vcc
	v_add_f32_e32 v3, 1.0, v3
	v_rcp_f32_e32 v3, v3
	v_pk_add_f32 v[0:1], v[0:1], 1.0 op_sel_hi:[1,0]
	v_cmp_le_i64_e32 vcc, s[12:13], v[16:17]
	s_or_b64 s[16:17], vcc, s[16:17]
	v_pk_mul_f32 v[2:3], v[6:7], v[2:3]
	s_nop 0
	v_pk_mul_f32 v[0:1], v[0:1], v[2:3]
	v_pack_b32_f16 v3, v27, v26
	v_cvt_f16_f32_e32 v6, v1
	v_cvt_f16_f32_e32 v7, v0
	v_pack_b32_f16 v2, v9, v8
	v_pack_b32_f16 v1, v21, v14
	;; [unrolled: 1-line block ×3, first 2 shown]
	buffer_store_dwordx4 v[0:3], v18, s[8:11], 0 offen
	s_nop 1
	v_pack_b32_f16 v3, v7, v6
	v_pack_b32_f16 v2, v5, v4
	v_pack_b32_f16 v1, v24, v23
	v_pack_b32_f16 v0, v15, v22
	buffer_store_dwordx4 v[0:3], v18, s[8:11], 16 offen
	v_add_u32_e32 v18, s18, v18
	s_andn2_b64 exec, exec, s[16:17]
	s_cbranch_execnz .LBB71_2
.LBB71_3:
	s_endpgm
	.section	.rodata,"a",@progbits
	.p2align	6, 0x0
	.amdhsa_kernel _ZN5aiter25swiglu_act_and_mul_kernelIDF16_DF16_Li16EEEvPT0_PKT_i
		.amdhsa_group_segment_fixed_size 0
		.amdhsa_private_segment_fixed_size 0
		.amdhsa_kernarg_size 280
		.amdhsa_user_sgpr_count 2
		.amdhsa_user_sgpr_dispatch_ptr 0
		.amdhsa_user_sgpr_queue_ptr 0
		.amdhsa_user_sgpr_kernarg_segment_ptr 1
		.amdhsa_user_sgpr_dispatch_id 0
		.amdhsa_user_sgpr_kernarg_preload_length 0
		.amdhsa_user_sgpr_kernarg_preload_offset 0
		.amdhsa_user_sgpr_private_segment_size 0
		.amdhsa_uses_dynamic_stack 0
		.amdhsa_enable_private_segment 0
		.amdhsa_system_sgpr_workgroup_id_x 1
		.amdhsa_system_sgpr_workgroup_id_y 0
		.amdhsa_system_sgpr_workgroup_id_z 0
		.amdhsa_system_sgpr_workgroup_info 0
		.amdhsa_system_vgpr_workitem_id 0
		.amdhsa_next_free_vgpr 46
		.amdhsa_next_free_sgpr 23
		.amdhsa_accum_offset 48
		.amdhsa_reserve_vcc 1
		.amdhsa_float_round_mode_32 0
		.amdhsa_float_round_mode_16_64 0
		.amdhsa_float_denorm_mode_32 3
		.amdhsa_float_denorm_mode_16_64 3
		.amdhsa_dx10_clamp 1
		.amdhsa_ieee_mode 1
		.amdhsa_fp16_overflow 0
		.amdhsa_tg_split 0
		.amdhsa_exception_fp_ieee_invalid_op 0
		.amdhsa_exception_fp_denorm_src 0
		.amdhsa_exception_fp_ieee_div_zero 0
		.amdhsa_exception_fp_ieee_overflow 0
		.amdhsa_exception_fp_ieee_underflow 0
		.amdhsa_exception_fp_ieee_inexact 0
		.amdhsa_exception_int_div_zero 0
	.end_amdhsa_kernel
	.section	.text._ZN5aiter25swiglu_act_and_mul_kernelIDF16_DF16_Li16EEEvPT0_PKT_i,"axG",@progbits,_ZN5aiter25swiglu_act_and_mul_kernelIDF16_DF16_Li16EEEvPT0_PKT_i,comdat
.Lfunc_end71:
	.size	_ZN5aiter25swiglu_act_and_mul_kernelIDF16_DF16_Li16EEEvPT0_PKT_i, .Lfunc_end71-_ZN5aiter25swiglu_act_and_mul_kernelIDF16_DF16_Li16EEEvPT0_PKT_i
                                        ; -- End function
	.section	.AMDGPU.csdata,"",@progbits
; Kernel info:
; codeLenInByte = 2492
; NumSgprs: 29
; NumVgprs: 46
; NumAgprs: 0
; TotalNumVgprs: 46
; ScratchSize: 0
; MemoryBound: 0
; FloatMode: 240
; IeeeMode: 1
; LDSByteSize: 0 bytes/workgroup (compile time only)
; SGPRBlocks: 3
; VGPRBlocks: 5
; NumSGPRsForWavesPerEU: 29
; NumVGPRsForWavesPerEU: 46
; AccumOffset: 48
; Occupancy: 8
; WaveLimiterHint : 0
; COMPUTE_PGM_RSRC2:SCRATCH_EN: 0
; COMPUTE_PGM_RSRC2:USER_SGPR: 2
; COMPUTE_PGM_RSRC2:TRAP_HANDLER: 0
; COMPUTE_PGM_RSRC2:TGID_X_EN: 1
; COMPUTE_PGM_RSRC2:TGID_Y_EN: 0
; COMPUTE_PGM_RSRC2:TGID_Z_EN: 0
; COMPUTE_PGM_RSRC2:TIDIG_COMP_CNT: 0
; COMPUTE_PGM_RSRC3_GFX90A:ACCUM_OFFSET: 11
; COMPUTE_PGM_RSRC3_GFX90A:TG_SPLIT: 0
	.section	.text._ZN5aiter25swiglu_act_and_mul_kernelIDF16_DF16_Li8EEEvPT0_PKT_i,"axG",@progbits,_ZN5aiter25swiglu_act_and_mul_kernelIDF16_DF16_Li8EEEvPT0_PKT_i,comdat
	.protected	_ZN5aiter25swiglu_act_and_mul_kernelIDF16_DF16_Li8EEEvPT0_PKT_i ; -- Begin function _ZN5aiter25swiglu_act_and_mul_kernelIDF16_DF16_Li8EEEvPT0_PKT_i
	.globl	_ZN5aiter25swiglu_act_and_mul_kernelIDF16_DF16_Li8EEEvPT0_PKT_i
	.p2align	8
	.type	_ZN5aiter25swiglu_act_and_mul_kernelIDF16_DF16_Li8EEEvPT0_PKT_i,@function
_ZN5aiter25swiglu_act_and_mul_kernelIDF16_DF16_Li8EEEvPT0_PKT_i: ; @_ZN5aiter25swiglu_act_and_mul_kernelIDF16_DF16_Li8EEEvPT0_PKT_i
; %bb.0:
	s_load_dword s12, s[0:1], 0x10
	v_lshlrev_b32_e32 v8, 3, v0
	s_waitcnt lgkmcnt(0)
	v_cmp_gt_i32_e32 vcc, s12, v8
	s_and_saveexec_b64 s[4:5], vcc
	s_cbranch_execz .LBB72_3
; %bb.1:
	s_load_dwordx4 s[8:11], s[0:1], 0x0
	s_load_dword s14, s[0:1], 0x24
	s_ashr_i32 s13, s12, 31
	s_mul_hi_u32 s3, s12, s2
	s_mul_i32 s4, s13, s2
	s_add_i32 s3, s3, s4
	s_mul_i32 s2, s12, s2
	s_lshl_b64 s[6:7], s[2:3], 1
	s_lshl_b64 s[2:3], s[2:3], 2
	s_waitcnt lgkmcnt(0)
	s_add_u32 s0, s10, s2
	s_addc_u32 s1, s11, s3
	s_lshl_b64 s[2:3], s[12:13], 1
	s_add_u32 s4, s0, s2
	s_addc_u32 s5, s1, s3
	s_add_i32 s2, s12, 1
	s_lshr_b32 s3, s2, 31
	s_add_i32 s2, s2, s3
	s_lshl_b32 s2, s2, 1
	s_and_b32 s2, s2, -4
	s_and_b32 s1, s1, 0xffff
	s_and_b32 s5, s5, 0xffff
	s_add_u32 s8, s8, s6
	s_addc_u32 s6, s9, s7
	s_mov_b32 s3, 0x20000
	s_and_b32 s9, s6, 0xffff
	s_and_b32 s6, s14, 0xffff
	s_mov_b32 s15, 0
	v_mov_b32_e32 v9, 0
	s_lshl_b32 s14, s6, 3
	v_lshlrev_b32_e32 v10, 4, v0
	s_lshl_b32 s18, s6, 4
	s_mov_b64 s[16:17], 0
	s_mov_b32 s6, s2
	s_mov_b32 s7, s3
	;; [unrolled: 1-line block ×5, first 2 shown]
	v_mov_b32_e32 v11, 0x7f800000
	s_mov_b32 s22, 0xc0e00000
	v_mov_b32_e32 v12, 0x40e00000
	s_mov_b32 s10, s2
	s_mov_b32 s11, s3
.LBB72_2:                               ; =>This Inner Loop Header: Depth=1
	buffer_load_dwordx4 v[4:7], v10, s[0:3], 0 offen
	buffer_load_dwordx4 v[0:3], v10, s[4:7], 0 offen
	v_lshl_add_u64 v[8:9], s[14:15], 0, v[8:9]
	s_waitcnt vmcnt(1)
	v_cvt_f32_f16_sdwa v13, v4 dst_sel:DWORD dst_unused:UNUSED_PAD src0_sel:WORD_1
	v_cvt_f32_f16_e32 v4, v4
	s_waitcnt vmcnt(0)
	v_cvt_f32_f16_sdwa v15, v0 dst_sel:DWORD dst_unused:UNUSED_PAD src0_sel:WORD_1
	v_cvt_f32_f16_e32 v0, v0
	v_cvt_f32_f16_sdwa v20, v6 dst_sel:DWORD dst_unused:UNUSED_PAD src0_sel:WORD_1
	v_cvt_f32_f16_e32 v6, v6
	v_cvt_f32_f16_e32 v16, v5
	v_cvt_f32_f16_sdwa v17, v5 dst_sel:DWORD dst_unused:UNUSED_PAD src0_sel:WORD_1
	v_cvt_f32_f16_sdwa v19, v1 dst_sel:DWORD dst_unused:UNUSED_PAD src0_sel:WORD_1
	v_cvt_f32_f16_e32 v1, v1
	v_min_f32_e32 v4, 0x40e00000, v4
	v_min_f32_e32 v5, 0x40e00000, v13
	v_med3_f32 v14, v0, s22, v12
	v_min_f32_e32 v0, 0x40e00000, v6
	v_mul_f32_e32 v6, 0xbfd9db23, v4
	v_min_f32_e32 v16, 0x40e00000, v16
	v_mul_f32_e32 v13, 0xbfd9db23, v5
	v_mul_f32_e32 v22, 0x3fb8aa3b, v6
	v_min_f32_e32 v17, 0x40e00000, v17
	v_med3_f32 v18, v1, s22, v12
	v_min_f32_e32 v1, 0x40e00000, v20
	v_mul_f32_e32 v20, 0xbfd9db23, v16
	v_mul_f32_e32 v23, 0x3fb8aa3b, v13
	v_fma_f32 v28, v6, s19, -v22
	v_rndne_f32_e32 v29, v22
	v_mul_f32_e32 v21, 0xbfd9db23, v17
	v_mul_f32_e32 v25, 0x3fb8aa3b, v20
	v_fma_f32 v30, v13, s19, -v23
	v_rndne_f32_e32 v31, v23
	v_fmac_f32_e32 v28, 0x32a5705f, v6
	v_sub_f32_e32 v22, v22, v29
	v_mul_f32_e32 v26, 0x3fb8aa3b, v21
	v_fma_f32 v32, v20, s19, -v25
	v_rndne_f32_e32 v33, v25
	v_fmac_f32_e32 v30, 0x32a5705f, v13
	v_sub_f32_e32 v23, v23, v31
	v_add_f32_e32 v22, v22, v28
	v_fma_f32 v34, v21, s19, -v26
	v_rndne_f32_e32 v35, v26
	v_cvt_i32_f32_e32 v29, v29
	v_fmac_f32_e32 v32, 0x32a5705f, v20
	v_sub_f32_e32 v25, v25, v33
	v_add_f32_e32 v23, v23, v30
	v_exp_f32_e32 v22, v22
	v_cvt_i32_f32_e32 v31, v31
	v_fmac_f32_e32 v34, 0x32a5705f, v21
	v_sub_f32_e32 v26, v26, v35
	v_add_f32_e32 v25, v25, v32
	v_exp_f32_e32 v23, v23
	v_cvt_i32_f32_e32 v33, v33
	v_add_f32_e32 v26, v26, v34
	v_exp_f32_e32 v25, v25
	v_cvt_i32_f32_e32 v35, v35
	v_exp_f32_e32 v26, v26
	v_ldexp_f32 v22, v22, v29
	v_cmp_ngt_f32_e32 vcc, s20, v6
	v_ldexp_f32 v23, v23, v31
	v_ldexp_f32 v25, v25, v33
	v_cndmask_b32_e32 v22, 0, v22, vcc
	v_cmp_ngt_f32_e32 vcc, s20, v13
	v_ldexp_f32 v26, v26, v35
	v_mul_f32_e32 v24, 0xbfd9db23, v0
	v_cndmask_b32_e32 v23, 0, v23, vcc
	v_cmp_ngt_f32_e32 vcc, s20, v20
	v_mul_f32_e32 v27, 0x3fb8aa3b, v24
	v_fma_f32 v36, v24, s19, -v27
	v_cndmask_b32_e32 v25, 0, v25, vcc
	v_cmp_ngt_f32_e32 vcc, s20, v21
	v_rndne_f32_e32 v37, v27
	v_fmac_f32_e32 v36, 0x32a5705f, v24
	v_cndmask_b32_e32 v26, 0, v26, vcc
	v_cmp_nlt_f32_e32 vcc, s21, v6
	v_sub_f32_e32 v27, v27, v37
	v_med3_f32 v15, v15, s22, v12
	v_cndmask_b32_e32 v6, v11, v22, vcc
	v_cmp_nlt_f32_e32 vcc, s21, v13
	v_add_f32_e32 v6, 1.0, v6
	v_med3_f32 v19, v19, s22, v12
	v_cndmask_b32_e32 v13, v11, v23, vcc
	v_cmp_nlt_f32_e32 vcc, s21, v20
	v_add_f32_e32 v13, 1.0, v13
	v_add_f32_e32 v27, v27, v36
	v_cndmask_b32_e32 v20, v11, v25, vcc
	v_cmp_nlt_f32_e32 vcc, s21, v21
	v_add_f32_e32 v22, 1.0, v20
	v_rcp_f32_e32 v20, v6
	v_cndmask_b32_e32 v21, v11, v26, vcc
	v_add_f32_e32 v23, 1.0, v21
	v_rcp_f32_e32 v21, v13
	v_rcp_f32_e32 v22, v22
	;; [unrolled: 1-line block ×3, first 2 shown]
	v_pk_add_f32 v[14:15], v[14:15], 1.0 op_sel_hi:[1,0]
	v_cvt_i32_f32_e32 v37, v37
	v_exp_f32_e32 v27, v27
	v_pk_add_f32 v[18:19], v[18:19], 1.0 op_sel_hi:[1,0]
	v_pk_mul_f32 v[4:5], v[4:5], v[20:21]
	v_pk_mul_f32 v[16:17], v[16:17], v[22:23]
	;; [unrolled: 1-line block ×4, first 2 shown]
	v_ldexp_f32 v6, v27, v37
	v_cvt_f16_f32_e32 v13, v15
	v_mul_f32_e32 v15, 0xbfd9db23, v1
	v_mul_f32_e32 v16, 0x3fb8aa3b, v15
	v_cmp_ngt_f32_e32 vcc, s20, v24
	v_fma_f32 v17, v15, s19, -v16
	v_rndne_f32_e32 v18, v16
	v_cndmask_b32_e32 v6, 0, v6, vcc
	v_cmp_nlt_f32_e32 vcc, s21, v24
	v_fmac_f32_e32 v17, 0x32a5705f, v15
	v_sub_f32_e32 v16, v16, v18
	v_cndmask_b32_e32 v6, v11, v6, vcc
	v_add_f32_e32 v16, v16, v17
	v_add_f32_e32 v6, 1.0, v6
	v_exp_f32_e32 v17, v16
	v_cvt_i32_f32_e32 v18, v18
	v_rcp_f32_e32 v16, v6
	v_cvt_f32_f16_sdwa v6, v2 dst_sel:DWORD dst_unused:UNUSED_PAD src0_sel:WORD_1
	v_cvt_f32_f16_e32 v2, v2
	v_ldexp_f32 v17, v17, v18
	v_cmp_ngt_f32_e32 vcc, s20, v15
	v_med3_f32 v19, v6, s22, v12
	v_med3_f32 v18, v2, s22, v12
	v_cndmask_b32_e32 v17, 0, v17, vcc
	v_cmp_nlt_f32_e32 vcc, s21, v15
	v_cvt_f32_f16_e32 v2, v7
	v_cvt_f32_f16_sdwa v7, v7 dst_sel:DWORD dst_unused:UNUSED_PAD src0_sel:WORD_1
	v_cndmask_b32_e32 v15, v11, v17, vcc
	v_add_f32_e32 v15, 1.0, v15
	v_rcp_f32_e32 v17, v15
	v_min_f32_e32 v6, 0x40e00000, v2
	v_mul_f32_e32 v2, 0xbfd9db23, v6
	v_mul_f32_e32 v15, 0x3fb8aa3b, v2
	v_pk_mul_f32 v[0:1], v[0:1], v[16:17]
	v_fma_f32 v16, v2, s19, -v15
	v_rndne_f32_e32 v17, v15
	v_fmac_f32_e32 v16, 0x32a5705f, v2
	v_sub_f32_e32 v15, v15, v17
	v_add_f32_e32 v15, v15, v16
	v_exp_f32_e32 v15, v15
	v_cvt_i32_f32_e32 v20, v17
	v_cmp_ngt_f32_e32 vcc, s20, v2
	v_min_f32_e32 v7, 0x40e00000, v7
	v_pk_add_f32 v[16:17], v[18:19], 1.0 op_sel_hi:[1,0]
	v_ldexp_f32 v15, v15, v20
	v_cndmask_b32_e32 v15, 0, v15, vcc
	v_cmp_nlt_f32_e32 vcc, s21, v2
	v_pk_mul_f32 v[0:1], v[16:17], v[0:1]
	v_cvt_f32_f16_e32 v19, v3
	v_cndmask_b32_e32 v2, v11, v15, vcc
	v_mul_f32_e32 v15, 0xbfd9db23, v7
	v_mul_f32_e32 v16, 0x3fb8aa3b, v15
	v_fma_f32 v17, v15, s19, -v16
	v_rndne_f32_e32 v18, v16
	v_fmac_f32_e32 v17, 0x32a5705f, v15
	v_sub_f32_e32 v16, v16, v18
	v_add_f32_e32 v16, v16, v17
	v_exp_f32_e32 v16, v16
	v_cvt_i32_f32_e32 v17, v18
	v_cvt_f32_f16_sdwa v18, v3 dst_sel:DWORD dst_unused:UNUSED_PAD src0_sel:WORD_1
	v_cmp_ngt_f32_e32 vcc, s20, v15
	v_add_f32_e32 v2, 1.0, v2
	v_ldexp_f32 v3, v16, v17
	v_cndmask_b32_e32 v3, 0, v3, vcc
	v_cmp_nlt_f32_e32 vcc, s21, v15
	v_rcp_f32_e32 v2, v2
	v_med3_f32 v16, v19, s22, v12
	v_cndmask_b32_e32 v3, v11, v3, vcc
	v_add_f32_e32 v3, 1.0, v3
	v_rcp_f32_e32 v3, v3
	v_med3_f32 v17, v18, s22, v12
	v_cvt_f16_f32_e32 v5, v5
	v_cvt_f16_f32_e32 v1, v1
	v_pk_mul_f32 v[2:3], v[6:7], v[2:3]
	v_pk_add_f32 v[6:7], v[16:17], 1.0 op_sel_hi:[1,0]
	v_cvt_f16_f32_e32 v0, v0
	v_pk_mul_f32 v[2:3], v[6:7], v[2:3]
	v_cvt_f16_f32_e32 v6, v14
	v_cvt_f16_f32_e32 v3, v3
	;; [unrolled: 1-line block ×4, first 2 shown]
	v_cmp_le_i64_e32 vcc, s[12:13], v[8:9]
	s_or_b64 s[16:17], vcc, s[16:17]
	v_pack_b32_f16 v3, v2, v3
	v_pack_b32_f16 v2, v0, v1
	;; [unrolled: 1-line block ×4, first 2 shown]
	buffer_store_dwordx4 v[0:3], v10, s[8:11], 0 offen
	v_add_u32_e32 v10, s18, v10
	s_andn2_b64 exec, exec, s[16:17]
	s_cbranch_execnz .LBB72_2
.LBB72_3:
	s_endpgm
	.section	.rodata,"a",@progbits
	.p2align	6, 0x0
	.amdhsa_kernel _ZN5aiter25swiglu_act_and_mul_kernelIDF16_DF16_Li8EEEvPT0_PKT_i
		.amdhsa_group_segment_fixed_size 0
		.amdhsa_private_segment_fixed_size 0
		.amdhsa_kernarg_size 280
		.amdhsa_user_sgpr_count 2
		.amdhsa_user_sgpr_dispatch_ptr 0
		.amdhsa_user_sgpr_queue_ptr 0
		.amdhsa_user_sgpr_kernarg_segment_ptr 1
		.amdhsa_user_sgpr_dispatch_id 0
		.amdhsa_user_sgpr_kernarg_preload_length 0
		.amdhsa_user_sgpr_kernarg_preload_offset 0
		.amdhsa_user_sgpr_private_segment_size 0
		.amdhsa_uses_dynamic_stack 0
		.amdhsa_enable_private_segment 0
		.amdhsa_system_sgpr_workgroup_id_x 1
		.amdhsa_system_sgpr_workgroup_id_y 0
		.amdhsa_system_sgpr_workgroup_id_z 0
		.amdhsa_system_sgpr_workgroup_info 0
		.amdhsa_system_vgpr_workitem_id 0
		.amdhsa_next_free_vgpr 38
		.amdhsa_next_free_sgpr 23
		.amdhsa_accum_offset 40
		.amdhsa_reserve_vcc 1
		.amdhsa_float_round_mode_32 0
		.amdhsa_float_round_mode_16_64 0
		.amdhsa_float_denorm_mode_32 3
		.amdhsa_float_denorm_mode_16_64 3
		.amdhsa_dx10_clamp 1
		.amdhsa_ieee_mode 1
		.amdhsa_fp16_overflow 0
		.amdhsa_tg_split 0
		.amdhsa_exception_fp_ieee_invalid_op 0
		.amdhsa_exception_fp_denorm_src 0
		.amdhsa_exception_fp_ieee_div_zero 0
		.amdhsa_exception_fp_ieee_overflow 0
		.amdhsa_exception_fp_ieee_underflow 0
		.amdhsa_exception_fp_ieee_inexact 0
		.amdhsa_exception_int_div_zero 0
	.end_amdhsa_kernel
	.section	.text._ZN5aiter25swiglu_act_and_mul_kernelIDF16_DF16_Li8EEEvPT0_PKT_i,"axG",@progbits,_ZN5aiter25swiglu_act_and_mul_kernelIDF16_DF16_Li8EEEvPT0_PKT_i,comdat
.Lfunc_end72:
	.size	_ZN5aiter25swiglu_act_and_mul_kernelIDF16_DF16_Li8EEEvPT0_PKT_i, .Lfunc_end72-_ZN5aiter25swiglu_act_and_mul_kernelIDF16_DF16_Li8EEEvPT0_PKT_i
                                        ; -- End function
	.section	.AMDGPU.csdata,"",@progbits
; Kernel info:
; codeLenInByte = 1372
; NumSgprs: 29
; NumVgprs: 38
; NumAgprs: 0
; TotalNumVgprs: 38
; ScratchSize: 0
; MemoryBound: 0
; FloatMode: 240
; IeeeMode: 1
; LDSByteSize: 0 bytes/workgroup (compile time only)
; SGPRBlocks: 3
; VGPRBlocks: 4
; NumSGPRsForWavesPerEU: 29
; NumVGPRsForWavesPerEU: 38
; AccumOffset: 40
; Occupancy: 8
; WaveLimiterHint : 0
; COMPUTE_PGM_RSRC2:SCRATCH_EN: 0
; COMPUTE_PGM_RSRC2:USER_SGPR: 2
; COMPUTE_PGM_RSRC2:TRAP_HANDLER: 0
; COMPUTE_PGM_RSRC2:TGID_X_EN: 1
; COMPUTE_PGM_RSRC2:TGID_Y_EN: 0
; COMPUTE_PGM_RSRC2:TGID_Z_EN: 0
; COMPUTE_PGM_RSRC2:TIDIG_COMP_CNT: 0
; COMPUTE_PGM_RSRC3_GFX90A:ACCUM_OFFSET: 9
; COMPUTE_PGM_RSRC3_GFX90A:TG_SPLIT: 0
	.section	.text._ZN5aiter25swiglu_act_and_mul_kernelIDF16_DF16_Li4EEEvPT0_PKT_i,"axG",@progbits,_ZN5aiter25swiglu_act_and_mul_kernelIDF16_DF16_Li4EEEvPT0_PKT_i,comdat
	.protected	_ZN5aiter25swiglu_act_and_mul_kernelIDF16_DF16_Li4EEEvPT0_PKT_i ; -- Begin function _ZN5aiter25swiglu_act_and_mul_kernelIDF16_DF16_Li4EEEvPT0_PKT_i
	.globl	_ZN5aiter25swiglu_act_and_mul_kernelIDF16_DF16_Li4EEEvPT0_PKT_i
	.p2align	8
	.type	_ZN5aiter25swiglu_act_and_mul_kernelIDF16_DF16_Li4EEEvPT0_PKT_i,@function
_ZN5aiter25swiglu_act_and_mul_kernelIDF16_DF16_Li4EEEvPT0_PKT_i: ; @_ZN5aiter25swiglu_act_and_mul_kernelIDF16_DF16_Li4EEEvPT0_PKT_i
; %bb.0:
	s_load_dword s12, s[0:1], 0x10
	v_lshlrev_b32_e32 v2, 2, v0
	s_waitcnt lgkmcnt(0)
	v_cmp_gt_i32_e32 vcc, s12, v2
	s_and_saveexec_b64 s[4:5], vcc
	s_cbranch_execz .LBB73_3
; %bb.1:
	s_load_dwordx4 s[8:11], s[0:1], 0x0
	s_load_dword s14, s[0:1], 0x24
	s_ashr_i32 s13, s12, 31
	s_mul_hi_u32 s3, s12, s2
	s_mul_i32 s4, s13, s2
	s_add_i32 s3, s3, s4
	s_mul_i32 s2, s12, s2
	s_lshl_b64 s[6:7], s[2:3], 1
	s_lshl_b64 s[2:3], s[2:3], 2
	s_waitcnt lgkmcnt(0)
	s_add_u32 s0, s10, s2
	s_addc_u32 s1, s11, s3
	s_lshl_b64 s[2:3], s[12:13], 1
	s_add_u32 s4, s0, s2
	s_addc_u32 s5, s1, s3
	s_add_i32 s2, s12, 1
	s_lshr_b32 s3, s2, 31
	s_add_i32 s2, s2, s3
	s_lshl_b32 s2, s2, 1
	s_and_b32 s2, s2, -4
	s_and_b32 s1, s1, 0xffff
	s_and_b32 s5, s5, 0xffff
	s_add_u32 s8, s8, s6
	s_addc_u32 s6, s9, s7
	s_mov_b32 s3, 0x20000
	s_and_b32 s9, s6, 0xffff
	s_and_b32 s6, s14, 0xffff
	s_mov_b32 s15, 0
	v_mov_b32_e32 v3, 0
	s_lshl_b32 s14, s6, 2
	v_lshlrev_b32_e32 v0, 3, v0
	s_lshl_b32 s18, s6, 3
	s_mov_b64 s[16:17], 0
	s_mov_b32 s6, s2
	s_mov_b32 s7, s3
	;; [unrolled: 1-line block ×5, first 2 shown]
	v_mov_b32_e32 v1, 0x7f800000
	s_mov_b32 s22, 0xc0e00000
	v_mov_b32_e32 v4, 0x40e00000
	s_mov_b32 s10, s2
	s_mov_b32 s11, s3
.LBB73_2:                               ; =>This Inner Loop Header: Depth=1
	buffer_load_dwordx2 v[6:7], v0, s[0:3], 0 offen
	buffer_load_dwordx2 v[8:9], v0, s[4:7], 0 offen
	v_lshl_add_u64 v[2:3], s[14:15], 0, v[2:3]
	s_waitcnt vmcnt(1)
	v_cvt_f32_f16_sdwa v5, v6 dst_sel:DWORD dst_unused:UNUSED_PAD src0_sel:WORD_1
	v_cvt_f32_f16_e32 v6, v6
	s_waitcnt vmcnt(0)
	v_cvt_f32_f16_sdwa v10, v8 dst_sel:DWORD dst_unused:UNUSED_PAD src0_sel:WORD_1
	v_cvt_f32_f16_e32 v12, v7
	v_cvt_f32_f16_e32 v14, v9
	v_cvt_f32_f16_sdwa v11, v7 dst_sel:DWORD dst_unused:UNUSED_PAD src0_sel:WORD_1
	v_min_f32_e32 v6, 0x40e00000, v6
	v_min_f32_e32 v7, 0x40e00000, v5
	v_mul_f32_e32 v5, 0xbfd9db23, v6
	v_cvt_f32_f16_sdwa v13, v9 dst_sel:DWORD dst_unused:UNUSED_PAD src0_sel:WORD_1
	v_med3_f32 v9, v10, s22, v4
	v_min_f32_e32 v10, 0x40e00000, v12
	v_med3_f32 v12, v14, s22, v4
	v_mul_f32_e32 v14, 0xbfd9db23, v7
	v_mul_f32_e32 v17, 0x3fb8aa3b, v5
	v_min_f32_e32 v11, 0x40e00000, v11
	v_mul_f32_e32 v15, 0xbfd9db23, v10
	v_mul_f32_e32 v18, 0x3fb8aa3b, v14
	v_fma_f32 v21, v5, s19, -v17
	v_rndne_f32_e32 v22, v17
	v_mul_f32_e32 v16, 0xbfd9db23, v11
	v_mul_f32_e32 v19, 0x3fb8aa3b, v15
	v_fma_f32 v23, v14, s19, -v18
	v_rndne_f32_e32 v24, v18
	v_fmac_f32_e32 v21, 0x32a5705f, v5
	v_sub_f32_e32 v17, v17, v22
	v_mul_f32_e32 v20, 0x3fb8aa3b, v16
	v_fma_f32 v25, v15, s19, -v19
	v_rndne_f32_e32 v26, v19
	v_fmac_f32_e32 v23, 0x32a5705f, v14
	v_sub_f32_e32 v18, v18, v24
	v_add_f32_e32 v17, v17, v21
	v_fma_f32 v27, v16, s19, -v20
	v_rndne_f32_e32 v28, v20
	v_cvt_i32_f32_e32 v22, v22
	v_fmac_f32_e32 v25, 0x32a5705f, v15
	v_sub_f32_e32 v19, v19, v26
	v_add_f32_e32 v18, v18, v23
	v_exp_f32_e32 v17, v17
	v_cvt_i32_f32_e32 v24, v24
	v_fmac_f32_e32 v27, 0x32a5705f, v16
	v_sub_f32_e32 v20, v20, v28
	v_add_f32_e32 v19, v19, v25
	v_exp_f32_e32 v18, v18
	v_cvt_i32_f32_e32 v26, v26
	v_add_f32_e32 v20, v20, v27
	v_exp_f32_e32 v19, v19
	v_cvt_i32_f32_e32 v28, v28
	v_exp_f32_e32 v20, v20
	v_ldexp_f32 v17, v17, v22
	v_cmp_ngt_f32_e32 vcc, s20, v5
	v_ldexp_f32 v18, v18, v24
	v_ldexp_f32 v19, v19, v26
	v_cndmask_b32_e32 v17, 0, v17, vcc
	v_cmp_ngt_f32_e32 vcc, s20, v14
	v_ldexp_f32 v20, v20, v28
	v_cvt_f32_f16_e32 v8, v8
	v_cndmask_b32_e32 v18, 0, v18, vcc
	v_cmp_ngt_f32_e32 vcc, s20, v15
	v_med3_f32 v13, v13, s22, v4
	v_med3_f32 v8, v8, s22, v4
	v_cndmask_b32_e32 v19, 0, v19, vcc
	v_cmp_ngt_f32_e32 vcc, s20, v16
	v_pk_add_f32 v[8:9], v[8:9], 1.0 op_sel_hi:[1,0]
	v_pk_add_f32 v[12:13], v[12:13], 1.0 op_sel_hi:[1,0]
	v_cndmask_b32_e32 v20, 0, v20, vcc
	v_cmp_nlt_f32_e32 vcc, s21, v5
	s_nop 1
	v_cndmask_b32_e32 v5, v1, v17, vcc
	v_cmp_nlt_f32_e32 vcc, s21, v14
	v_add_f32_e32 v5, 1.0, v5
	s_nop 0
	v_cndmask_b32_e32 v14, v1, v18, vcc
	v_cmp_nlt_f32_e32 vcc, s21, v15
	v_add_f32_e32 v17, 1.0, v14
	v_rcp_f32_e32 v14, v5
	v_cndmask_b32_e32 v15, v1, v19, vcc
	v_cmp_nlt_f32_e32 vcc, s21, v16
	v_add_f32_e32 v18, 1.0, v15
	v_rcp_f32_e32 v15, v17
	v_cndmask_b32_e32 v16, v1, v20, vcc
	v_add_f32_e32 v19, 1.0, v16
	v_rcp_f32_e32 v16, v18
	v_rcp_f32_e32 v17, v19
	v_pk_mul_f32 v[6:7], v[6:7], v[14:15]
	v_cmp_le_i64_e32 vcc, s[12:13], v[2:3]
	v_pk_mul_f32 v[6:7], v[8:9], v[6:7]
	v_pk_mul_f32 v[10:11], v[10:11], v[16:17]
	v_cvt_f16_f32_e32 v5, v7
	v_pk_mul_f32 v[8:9], v[12:13], v[10:11]
	v_cvt_f16_f32_e32 v6, v6
	v_cvt_f16_f32_e32 v7, v9
	;; [unrolled: 1-line block ×3, first 2 shown]
	s_or_b64 s[16:17], vcc, s[16:17]
	v_pack_b32_f16 v6, v6, v5
	v_pack_b32_f16 v7, v8, v7
	buffer_store_dwordx2 v[6:7], v0, s[8:11], 0 offen
	v_add_u32_e32 v0, s18, v0
	s_andn2_b64 exec, exec, s[16:17]
	s_cbranch_execnz .LBB73_2
.LBB73_3:
	s_endpgm
	.section	.rodata,"a",@progbits
	.p2align	6, 0x0
	.amdhsa_kernel _ZN5aiter25swiglu_act_and_mul_kernelIDF16_DF16_Li4EEEvPT0_PKT_i
		.amdhsa_group_segment_fixed_size 0
		.amdhsa_private_segment_fixed_size 0
		.amdhsa_kernarg_size 280
		.amdhsa_user_sgpr_count 2
		.amdhsa_user_sgpr_dispatch_ptr 0
		.amdhsa_user_sgpr_queue_ptr 0
		.amdhsa_user_sgpr_kernarg_segment_ptr 1
		.amdhsa_user_sgpr_dispatch_id 0
		.amdhsa_user_sgpr_kernarg_preload_length 0
		.amdhsa_user_sgpr_kernarg_preload_offset 0
		.amdhsa_user_sgpr_private_segment_size 0
		.amdhsa_uses_dynamic_stack 0
		.amdhsa_enable_private_segment 0
		.amdhsa_system_sgpr_workgroup_id_x 1
		.amdhsa_system_sgpr_workgroup_id_y 0
		.amdhsa_system_sgpr_workgroup_id_z 0
		.amdhsa_system_sgpr_workgroup_info 0
		.amdhsa_system_vgpr_workitem_id 0
		.amdhsa_next_free_vgpr 29
		.amdhsa_next_free_sgpr 23
		.amdhsa_accum_offset 32
		.amdhsa_reserve_vcc 1
		.amdhsa_float_round_mode_32 0
		.amdhsa_float_round_mode_16_64 0
		.amdhsa_float_denorm_mode_32 3
		.amdhsa_float_denorm_mode_16_64 3
		.amdhsa_dx10_clamp 1
		.amdhsa_ieee_mode 1
		.amdhsa_fp16_overflow 0
		.amdhsa_tg_split 0
		.amdhsa_exception_fp_ieee_invalid_op 0
		.amdhsa_exception_fp_denorm_src 0
		.amdhsa_exception_fp_ieee_div_zero 0
		.amdhsa_exception_fp_ieee_overflow 0
		.amdhsa_exception_fp_ieee_underflow 0
		.amdhsa_exception_fp_ieee_inexact 0
		.amdhsa_exception_int_div_zero 0
	.end_amdhsa_kernel
	.section	.text._ZN5aiter25swiglu_act_and_mul_kernelIDF16_DF16_Li4EEEvPT0_PKT_i,"axG",@progbits,_ZN5aiter25swiglu_act_and_mul_kernelIDF16_DF16_Li4EEEvPT0_PKT_i,comdat
.Lfunc_end73:
	.size	_ZN5aiter25swiglu_act_and_mul_kernelIDF16_DF16_Li4EEEvPT0_PKT_i, .Lfunc_end73-_ZN5aiter25swiglu_act_and_mul_kernelIDF16_DF16_Li4EEEvPT0_PKT_i
                                        ; -- End function
	.section	.AMDGPU.csdata,"",@progbits
; Kernel info:
; codeLenInByte = 852
; NumSgprs: 29
; NumVgprs: 29
; NumAgprs: 0
; TotalNumVgprs: 29
; ScratchSize: 0
; MemoryBound: 0
; FloatMode: 240
; IeeeMode: 1
; LDSByteSize: 0 bytes/workgroup (compile time only)
; SGPRBlocks: 3
; VGPRBlocks: 3
; NumSGPRsForWavesPerEU: 29
; NumVGPRsForWavesPerEU: 29
; AccumOffset: 32
; Occupancy: 8
; WaveLimiterHint : 0
; COMPUTE_PGM_RSRC2:SCRATCH_EN: 0
; COMPUTE_PGM_RSRC2:USER_SGPR: 2
; COMPUTE_PGM_RSRC2:TRAP_HANDLER: 0
; COMPUTE_PGM_RSRC2:TGID_X_EN: 1
; COMPUTE_PGM_RSRC2:TGID_Y_EN: 0
; COMPUTE_PGM_RSRC2:TGID_Z_EN: 0
; COMPUTE_PGM_RSRC2:TIDIG_COMP_CNT: 0
; COMPUTE_PGM_RSRC3_GFX90A:ACCUM_OFFSET: 7
; COMPUTE_PGM_RSRC3_GFX90A:TG_SPLIT: 0
	.section	.text._ZN5aiter25swiglu_act_and_mul_kernelIDF16_DF16_Li2EEEvPT0_PKT_i,"axG",@progbits,_ZN5aiter25swiglu_act_and_mul_kernelIDF16_DF16_Li2EEEvPT0_PKT_i,comdat
	.protected	_ZN5aiter25swiglu_act_and_mul_kernelIDF16_DF16_Li2EEEvPT0_PKT_i ; -- Begin function _ZN5aiter25swiglu_act_and_mul_kernelIDF16_DF16_Li2EEEvPT0_PKT_i
	.globl	_ZN5aiter25swiglu_act_and_mul_kernelIDF16_DF16_Li2EEEvPT0_PKT_i
	.p2align	8
	.type	_ZN5aiter25swiglu_act_and_mul_kernelIDF16_DF16_Li2EEEvPT0_PKT_i,@function
_ZN5aiter25swiglu_act_and_mul_kernelIDF16_DF16_Li2EEEvPT0_PKT_i: ; @_ZN5aiter25swiglu_act_and_mul_kernelIDF16_DF16_Li2EEEvPT0_PKT_i
; %bb.0:
	s_load_dword s12, s[0:1], 0x10
	v_lshlrev_b32_e32 v2, 1, v0
	s_waitcnt lgkmcnt(0)
	v_cmp_gt_i32_e32 vcc, s12, v2
	s_and_saveexec_b64 s[4:5], vcc
	s_cbranch_execz .LBB74_3
; %bb.1:
	s_load_dwordx4 s[8:11], s[0:1], 0x0
	s_load_dword s14, s[0:1], 0x24
	s_ashr_i32 s13, s12, 31
	s_mul_hi_u32 s3, s12, s2
	s_mul_i32 s4, s13, s2
	s_add_i32 s3, s3, s4
	s_mul_i32 s2, s12, s2
	s_lshl_b64 s[6:7], s[2:3], 1
	s_lshl_b64 s[2:3], s[2:3], 2
	s_waitcnt lgkmcnt(0)
	s_add_u32 s0, s10, s2
	s_addc_u32 s1, s11, s3
	s_lshl_b64 s[2:3], s[12:13], 1
	s_add_u32 s4, s0, s2
	s_addc_u32 s5, s1, s3
	s_add_i32 s2, s12, 1
	s_lshr_b32 s3, s2, 31
	s_add_i32 s2, s2, s3
	s_lshl_b32 s2, s2, 1
	s_and_b32 s2, s2, -4
	s_and_b32 s1, s1, 0xffff
	s_and_b32 s5, s5, 0xffff
	s_add_u32 s8, s8, s6
	s_addc_u32 s6, s9, s7
	s_mov_b32 s3, 0x20000
	s_and_b32 s9, s6, 0xffff
	s_and_b32 s6, s14, 0xffff
	s_mov_b32 s15, 0
	v_mov_b32_e32 v3, 0
	s_lshl_b32 s14, s6, 1
	v_lshlrev_b32_e32 v0, 2, v0
	s_lshl_b32 s18, s6, 2
	s_mov_b64 s[16:17], 0
	s_mov_b32 s6, s2
	s_mov_b32 s7, s3
	;; [unrolled: 1-line block ×5, first 2 shown]
	v_mov_b32_e32 v1, 0x7f800000
	s_mov_b32 s22, 0xc0e00000
	v_mov_b32_e32 v4, 0x40e00000
	s_mov_b32 s10, s2
	s_mov_b32 s11, s3
.LBB74_2:                               ; =>This Inner Loop Header: Depth=1
	buffer_load_dword v5, v0, s[0:3], 0 offen
	buffer_load_dword v8, v0, s[4:7], 0 offen
	v_lshl_add_u64 v[2:3], s[14:15], 0, v[2:3]
	s_waitcnt vmcnt(1)
	v_cvt_f32_f16_e32 v6, v5
	v_cvt_f32_f16_sdwa v5, v5 dst_sel:DWORD dst_unused:UNUSED_PAD src0_sel:WORD_1
	v_min_f32_e32 v6, 0x40e00000, v6
	v_min_f32_e32 v7, 0x40e00000, v5
	v_mul_f32_e32 v5, 0xbfd9db23, v6
	v_mul_f32_e32 v9, 0xbfd9db23, v7
	;; [unrolled: 1-line block ×4, first 2 shown]
	v_fma_f32 v12, v5, s19, -v10
	v_rndne_f32_e32 v13, v10
	v_fma_f32 v14, v9, s19, -v11
	v_rndne_f32_e32 v15, v11
	v_fmac_f32_e32 v12, 0x32a5705f, v5
	v_sub_f32_e32 v10, v10, v13
	v_fmac_f32_e32 v14, 0x32a5705f, v9
	v_sub_f32_e32 v11, v11, v15
	v_add_f32_e32 v10, v10, v12
	v_cvt_i32_f32_e32 v13, v13
	v_add_f32_e32 v11, v11, v14
	v_exp_f32_e32 v10, v10
	v_cvt_i32_f32_e32 v15, v15
	v_exp_f32_e32 v11, v11
	s_waitcnt vmcnt(0)
	v_cvt_f32_f16_sdwa v12, v8 dst_sel:DWORD dst_unused:UNUSED_PAD src0_sel:WORD_1
	v_cvt_f32_f16_e32 v14, v8
	v_ldexp_f32 v8, v10, v13
	v_cmp_ngt_f32_e32 vcc, s20, v5
	v_ldexp_f32 v10, v11, v15
	v_med3_f32 v11, v12, s22, v4
	v_cndmask_b32_e32 v8, 0, v8, vcc
	v_cmp_ngt_f32_e32 vcc, s20, v9
	s_nop 1
	v_cndmask_b32_e32 v10, 0, v10, vcc
	v_cmp_nlt_f32_e32 vcc, s21, v5
	s_nop 1
	v_cndmask_b32_e32 v5, v1, v8, vcc
	v_cmp_nlt_f32_e32 vcc, s21, v9
	v_add_f32_e32 v5, 1.0, v5
	s_nop 0
	v_cndmask_b32_e32 v8, v1, v10, vcc
	v_add_f32_e32 v9, 1.0, v8
	v_rcp_f32_e32 v8, v5
	v_rcp_f32_e32 v9, v9
	v_med3_f32 v10, v14, s22, v4
	v_pk_add_f32 v[10:11], v[10:11], 1.0 op_sel_hi:[1,0]
	v_cmp_le_i64_e32 vcc, s[12:13], v[2:3]
	v_pk_mul_f32 v[6:7], v[6:7], v[8:9]
	s_or_b64 s[16:17], vcc, s[16:17]
	v_pk_mul_f32 v[6:7], v[10:11], v[6:7]
	s_nop 0
	v_cvt_f16_f32_e32 v5, v7
	v_cvt_f16_f32_e32 v6, v6
	v_pack_b32_f16 v5, v6, v5
	buffer_store_dword v5, v0, s[8:11], 0 offen
	v_add_u32_e32 v0, s18, v0
	s_andn2_b64 exec, exec, s[16:17]
	s_cbranch_execnz .LBB74_2
.LBB74_3:
	s_endpgm
	.section	.rodata,"a",@progbits
	.p2align	6, 0x0
	.amdhsa_kernel _ZN5aiter25swiglu_act_and_mul_kernelIDF16_DF16_Li2EEEvPT0_PKT_i
		.amdhsa_group_segment_fixed_size 0
		.amdhsa_private_segment_fixed_size 0
		.amdhsa_kernarg_size 280
		.amdhsa_user_sgpr_count 2
		.amdhsa_user_sgpr_dispatch_ptr 0
		.amdhsa_user_sgpr_queue_ptr 0
		.amdhsa_user_sgpr_kernarg_segment_ptr 1
		.amdhsa_user_sgpr_dispatch_id 0
		.amdhsa_user_sgpr_kernarg_preload_length 0
		.amdhsa_user_sgpr_kernarg_preload_offset 0
		.amdhsa_user_sgpr_private_segment_size 0
		.amdhsa_uses_dynamic_stack 0
		.amdhsa_enable_private_segment 0
		.amdhsa_system_sgpr_workgroup_id_x 1
		.amdhsa_system_sgpr_workgroup_id_y 0
		.amdhsa_system_sgpr_workgroup_id_z 0
		.amdhsa_system_sgpr_workgroup_info 0
		.amdhsa_system_vgpr_workitem_id 0
		.amdhsa_next_free_vgpr 16
		.amdhsa_next_free_sgpr 23
		.amdhsa_accum_offset 16
		.amdhsa_reserve_vcc 1
		.amdhsa_float_round_mode_32 0
		.amdhsa_float_round_mode_16_64 0
		.amdhsa_float_denorm_mode_32 3
		.amdhsa_float_denorm_mode_16_64 3
		.amdhsa_dx10_clamp 1
		.amdhsa_ieee_mode 1
		.amdhsa_fp16_overflow 0
		.amdhsa_tg_split 0
		.amdhsa_exception_fp_ieee_invalid_op 0
		.amdhsa_exception_fp_denorm_src 0
		.amdhsa_exception_fp_ieee_div_zero 0
		.amdhsa_exception_fp_ieee_overflow 0
		.amdhsa_exception_fp_ieee_underflow 0
		.amdhsa_exception_fp_ieee_inexact 0
		.amdhsa_exception_int_div_zero 0
	.end_amdhsa_kernel
	.section	.text._ZN5aiter25swiglu_act_and_mul_kernelIDF16_DF16_Li2EEEvPT0_PKT_i,"axG",@progbits,_ZN5aiter25swiglu_act_and_mul_kernelIDF16_DF16_Li2EEEvPT0_PKT_i,comdat
.Lfunc_end74:
	.size	_ZN5aiter25swiglu_act_and_mul_kernelIDF16_DF16_Li2EEEvPT0_PKT_i, .Lfunc_end74-_ZN5aiter25swiglu_act_and_mul_kernelIDF16_DF16_Li2EEEvPT0_PKT_i
                                        ; -- End function
	.section	.AMDGPU.csdata,"",@progbits
; Kernel info:
; codeLenInByte = 596
; NumSgprs: 29
; NumVgprs: 16
; NumAgprs: 0
; TotalNumVgprs: 16
; ScratchSize: 0
; MemoryBound: 0
; FloatMode: 240
; IeeeMode: 1
; LDSByteSize: 0 bytes/workgroup (compile time only)
; SGPRBlocks: 3
; VGPRBlocks: 1
; NumSGPRsForWavesPerEU: 29
; NumVGPRsForWavesPerEU: 16
; AccumOffset: 16
; Occupancy: 8
; WaveLimiterHint : 0
; COMPUTE_PGM_RSRC2:SCRATCH_EN: 0
; COMPUTE_PGM_RSRC2:USER_SGPR: 2
; COMPUTE_PGM_RSRC2:TRAP_HANDLER: 0
; COMPUTE_PGM_RSRC2:TGID_X_EN: 1
; COMPUTE_PGM_RSRC2:TGID_Y_EN: 0
; COMPUTE_PGM_RSRC2:TGID_Z_EN: 0
; COMPUTE_PGM_RSRC2:TIDIG_COMP_CNT: 0
; COMPUTE_PGM_RSRC3_GFX90A:ACCUM_OFFSET: 3
; COMPUTE_PGM_RSRC3_GFX90A:TG_SPLIT: 0
	.section	.text._ZN5aiter25swiglu_act_and_mul_kernelIDF16_DF16_Li1EEEvPT0_PKT_i,"axG",@progbits,_ZN5aiter25swiglu_act_and_mul_kernelIDF16_DF16_Li1EEEvPT0_PKT_i,comdat
	.protected	_ZN5aiter25swiglu_act_and_mul_kernelIDF16_DF16_Li1EEEvPT0_PKT_i ; -- Begin function _ZN5aiter25swiglu_act_and_mul_kernelIDF16_DF16_Li1EEEvPT0_PKT_i
	.globl	_ZN5aiter25swiglu_act_and_mul_kernelIDF16_DF16_Li1EEEvPT0_PKT_i
	.p2align	8
	.type	_ZN5aiter25swiglu_act_and_mul_kernelIDF16_DF16_Li1EEEvPT0_PKT_i,@function
_ZN5aiter25swiglu_act_and_mul_kernelIDF16_DF16_Li1EEEvPT0_PKT_i: ; @_ZN5aiter25swiglu_act_and_mul_kernelIDF16_DF16_Li1EEEvPT0_PKT_i
; %bb.0:
	s_load_dword s12, s[0:1], 0x10
	s_waitcnt lgkmcnt(0)
	v_cmp_gt_i32_e32 vcc, s12, v0
	s_and_saveexec_b64 s[4:5], vcc
	s_cbranch_execz .LBB75_3
; %bb.1:
	s_load_dwordx4 s[8:11], s[0:1], 0x0
	s_load_dword s14, s[0:1], 0x24
	s_ashr_i32 s13, s12, 31
	s_mul_hi_u32 s3, s12, s2
	s_mul_i32 s4, s13, s2
	s_add_i32 s3, s3, s4
	s_mul_i32 s2, s12, s2
	s_lshl_b64 s[6:7], s[2:3], 1
	s_lshl_b64 s[2:3], s[2:3], 2
	s_waitcnt lgkmcnt(0)
	s_add_u32 s0, s10, s2
	s_addc_u32 s1, s11, s3
	s_lshl_b64 s[2:3], s[12:13], 1
	s_add_u32 s4, s0, s2
	s_addc_u32 s5, s1, s3
	s_add_i32 s2, s12, 1
	s_lshr_b32 s3, s2, 31
	s_add_i32 s2, s2, s3
	s_lshl_b32 s2, s2, 1
	s_and_b32 s2, s2, -4
	s_and_b32 s1, s1, 0xffff
	s_and_b32 s5, s5, 0xffff
	s_add_u32 s8, s8, s6
	s_mov_b32 s3, 0x20000
	s_addc_u32 s6, s9, s7
	s_and_b32 s14, s14, 0xffff
	s_and_b32 s9, s6, 0xffff
	s_mov_b32 s15, 0
	v_mov_b32_e32 v1, 0
	v_lshlrev_b32_e32 v2, 1, v0
	s_lshl_b32 s18, s14, 1
	s_mov_b64 s[16:17], 0
	s_mov_b32 s6, s2
	s_mov_b32 s7, s3
	;; [unrolled: 1-line block ×5, first 2 shown]
	v_mov_b32_e32 v3, 0x7f800000
	s_mov_b32 s10, s2
	s_mov_b32 s11, s3
.LBB75_2:                               ; =>This Inner Loop Header: Depth=1
	buffer_load_ushort v4, v2, s[0:3], 0 offen
	buffer_load_ushort v5, v2, s[4:7], 0 offen
	v_lshl_add_u64 v[0:1], v[0:1], 0, s[14:15]
	v_cmp_le_i64_e32 vcc, s[12:13], v[0:1]
	s_or_b64 s[16:17], vcc, s[16:17]
	s_waitcnt vmcnt(1)
	v_cvt_f32_f16_e32 v4, v4
	s_waitcnt vmcnt(0)
	v_cvt_f32_f16_e32 v5, v5
	v_min_f32_e32 v4, 0x40e00000, v4
	v_mul_f32_e32 v6, 0xbfd9db23, v4
	v_mul_f32_e32 v7, 0x3fb8aa3b, v6
	v_fma_f32 v8, v6, s19, -v7
	v_rndne_f32_e32 v9, v7
	v_fmac_f32_e32 v8, 0x32a5705f, v6
	v_sub_f32_e32 v7, v7, v9
	v_add_f32_e32 v7, v7, v8
	v_cvt_i32_f32_e32 v9, v9
	v_exp_f32_e32 v7, v7
	v_cmp_ngt_f32_e32 vcc, s20, v6
	v_max_f32_e32 v5, 0xc0e00000, v5
	v_min_f32_e32 v5, 0x40e00000, v5
	v_ldexp_f32 v7, v7, v9
	v_cndmask_b32_e32 v7, 0, v7, vcc
	v_cmp_nlt_f32_e32 vcc, s21, v6
	v_add_f32_e32 v5, 1.0, v5
	s_nop 0
	v_cndmask_b32_e32 v6, v3, v7, vcc
	v_add_f32_e32 v6, 1.0, v6
	v_rcp_f32_e32 v6, v6
	s_nop 0
	v_mul_f32_e32 v4, v4, v6
	v_fma_mixlo_f16 v4, v5, v4, 0
	buffer_store_short v4, v2, s[8:11], 0 offen
	v_add_u32_e32 v2, s18, v2
	s_andn2_b64 exec, exec, s[16:17]
	s_cbranch_execnz .LBB75_2
.LBB75_3:
	s_endpgm
	.section	.rodata,"a",@progbits
	.p2align	6, 0x0
	.amdhsa_kernel _ZN5aiter25swiglu_act_and_mul_kernelIDF16_DF16_Li1EEEvPT0_PKT_i
		.amdhsa_group_segment_fixed_size 0
		.amdhsa_private_segment_fixed_size 0
		.amdhsa_kernarg_size 280
		.amdhsa_user_sgpr_count 2
		.amdhsa_user_sgpr_dispatch_ptr 0
		.amdhsa_user_sgpr_queue_ptr 0
		.amdhsa_user_sgpr_kernarg_segment_ptr 1
		.amdhsa_user_sgpr_dispatch_id 0
		.amdhsa_user_sgpr_kernarg_preload_length 0
		.amdhsa_user_sgpr_kernarg_preload_offset 0
		.amdhsa_user_sgpr_private_segment_size 0
		.amdhsa_uses_dynamic_stack 0
		.amdhsa_enable_private_segment 0
		.amdhsa_system_sgpr_workgroup_id_x 1
		.amdhsa_system_sgpr_workgroup_id_y 0
		.amdhsa_system_sgpr_workgroup_id_z 0
		.amdhsa_system_sgpr_workgroup_info 0
		.amdhsa_system_vgpr_workitem_id 0
		.amdhsa_next_free_vgpr 10
		.amdhsa_next_free_sgpr 22
		.amdhsa_accum_offset 12
		.amdhsa_reserve_vcc 1
		.amdhsa_float_round_mode_32 0
		.amdhsa_float_round_mode_16_64 0
		.amdhsa_float_denorm_mode_32 3
		.amdhsa_float_denorm_mode_16_64 3
		.amdhsa_dx10_clamp 1
		.amdhsa_ieee_mode 1
		.amdhsa_fp16_overflow 0
		.amdhsa_tg_split 0
		.amdhsa_exception_fp_ieee_invalid_op 0
		.amdhsa_exception_fp_denorm_src 0
		.amdhsa_exception_fp_ieee_div_zero 0
		.amdhsa_exception_fp_ieee_overflow 0
		.amdhsa_exception_fp_ieee_underflow 0
		.amdhsa_exception_fp_ieee_inexact 0
		.amdhsa_exception_int_div_zero 0
	.end_amdhsa_kernel
	.section	.text._ZN5aiter25swiglu_act_and_mul_kernelIDF16_DF16_Li1EEEvPT0_PKT_i,"axG",@progbits,_ZN5aiter25swiglu_act_and_mul_kernelIDF16_DF16_Li1EEEvPT0_PKT_i,comdat
.Lfunc_end75:
	.size	_ZN5aiter25swiglu_act_and_mul_kernelIDF16_DF16_Li1EEEvPT0_PKT_i, .Lfunc_end75-_ZN5aiter25swiglu_act_and_mul_kernelIDF16_DF16_Li1EEEvPT0_PKT_i
                                        ; -- End function
	.section	.AMDGPU.csdata,"",@progbits
; Kernel info:
; codeLenInByte = 432
; NumSgprs: 28
; NumVgprs: 10
; NumAgprs: 0
; TotalNumVgprs: 10
; ScratchSize: 0
; MemoryBound: 0
; FloatMode: 240
; IeeeMode: 1
; LDSByteSize: 0 bytes/workgroup (compile time only)
; SGPRBlocks: 3
; VGPRBlocks: 1
; NumSGPRsForWavesPerEU: 28
; NumVGPRsForWavesPerEU: 10
; AccumOffset: 12
; Occupancy: 8
; WaveLimiterHint : 0
; COMPUTE_PGM_RSRC2:SCRATCH_EN: 0
; COMPUTE_PGM_RSRC2:USER_SGPR: 2
; COMPUTE_PGM_RSRC2:TRAP_HANDLER: 0
; COMPUTE_PGM_RSRC2:TGID_X_EN: 1
; COMPUTE_PGM_RSRC2:TGID_Y_EN: 0
; COMPUTE_PGM_RSRC2:TGID_Z_EN: 0
; COMPUTE_PGM_RSRC2:TIDIG_COMP_CNT: 0
; COMPUTE_PGM_RSRC3_GFX90A:ACCUM_OFFSET: 2
; COMPUTE_PGM_RSRC3_GFX90A:TG_SPLIT: 0
	.section	.text._ZN5aiter25swiglu_act_and_mul_kernelIttLi32EEEvPT0_PKT_i,"axG",@progbits,_ZN5aiter25swiglu_act_and_mul_kernelIttLi32EEEvPT0_PKT_i,comdat
	.protected	_ZN5aiter25swiglu_act_and_mul_kernelIttLi32EEEvPT0_PKT_i ; -- Begin function _ZN5aiter25swiglu_act_and_mul_kernelIttLi32EEEvPT0_PKT_i
	.globl	_ZN5aiter25swiglu_act_and_mul_kernelIttLi32EEEvPT0_PKT_i
	.p2align	8
	.type	_ZN5aiter25swiglu_act_and_mul_kernelIttLi32EEEvPT0_PKT_i,@function
_ZN5aiter25swiglu_act_and_mul_kernelIttLi32EEEvPT0_PKT_i: ; @_ZN5aiter25swiglu_act_and_mul_kernelIttLi32EEEvPT0_PKT_i
; %bb.0:
	s_load_dword s12, s[0:1], 0x10
	v_lshlrev_b32_e32 v24, 5, v0
	s_waitcnt lgkmcnt(0)
	v_cmp_gt_i32_e32 vcc, s12, v24
	s_and_saveexec_b64 s[4:5], vcc
	s_cbranch_execz .LBB76_3
; %bb.1:
	s_load_dwordx4 s[8:11], s[0:1], 0x0
	s_load_dword s14, s[0:1], 0x24
	s_ashr_i32 s13, s12, 31
	s_mul_hi_u32 s3, s12, s2
	s_mul_i32 s4, s13, s2
	s_add_i32 s3, s3, s4
	s_mul_i32 s2, s12, s2
	s_lshl_b64 s[6:7], s[2:3], 1
	s_lshl_b64 s[2:3], s[2:3], 2
	s_waitcnt lgkmcnt(0)
	s_add_u32 s0, s10, s2
	s_addc_u32 s1, s11, s3
	s_lshl_b64 s[2:3], s[12:13], 1
	s_add_u32 s4, s0, s2
	s_addc_u32 s5, s1, s3
	s_add_i32 s2, s12, 1
	s_lshr_b32 s3, s2, 31
	s_add_i32 s2, s2, s3
	s_lshl_b32 s2, s2, 1
	s_and_b32 s2, s2, -4
	s_and_b32 s1, s1, 0xffff
	s_and_b32 s5, s5, 0xffff
	s_add_u32 s8, s8, s6
	s_addc_u32 s6, s9, s7
	s_mov_b32 s3, 0x20000
	s_and_b32 s9, s6, 0xffff
	s_and_b32 s6, s14, 0xffff
	s_mov_b32 s15, 0
	v_mov_b32_e32 v25, 0
	s_lshl_b32 s14, s6, 5
	v_lshlrev_b32_e32 v50, 6, v0
	s_lshl_b32 s18, s6, 6
	s_mov_b64 s[16:17], 0
	s_mov_b32 s19, 0x3fb8aa3b
	s_mov_b32 s20, 0xc2ce8ed0
	;; [unrolled: 1-line block ×3, first 2 shown]
	v_mov_b32_e32 v51, 0x7f800000
	s_mov_b32 s22, 0xc0e00000
	v_mov_b32_e32 v52, 0x40e00000
	s_mov_b32 s23, 0x7060302
	s_mov_b32 s6, s2
	;; [unrolled: 1-line block ×5, first 2 shown]
.LBB76_2:                               ; =>This Inner Loop Header: Depth=1
	buffer_load_dwordx4 v[20:23], v50, s[0:3], 0 offen
	buffer_load_dwordx4 v[16:19], v50, s[0:3], 16 offen
	;; [unrolled: 1-line block ×6, first 2 shown]
	v_lshl_add_u64 v[24:25], s[14:15], 0, v[24:25]
	s_waitcnt vmcnt(5)
	v_lshlrev_b32_e32 v26, 16, v20
	v_and_b32_e32 v20, 0xffff0000, v20
	v_max_f32_e32 v26, v26, v26
	v_lshlrev_b32_e32 v27, 16, v21
	v_and_b32_e32 v21, 0xffff0000, v21
	v_max_f32_e32 v20, v20, v20
	v_min_f32_e32 v30, 0x40e00000, v26
	v_lshlrev_b32_e32 v28, 16, v22
	v_and_b32_e32 v22, 0xffff0000, v22
	v_max_f32_e32 v21, v21, v21
	v_max_f32_e32 v27, v27, v27
	v_min_f32_e32 v31, 0x40e00000, v20
	v_mul_f32_e32 v20, 0xbfd9db23, v30
	v_max_f32_e32 v22, v22, v22
	v_max_f32_e32 v32, v28, v28
	v_min_f32_e32 v29, 0x40e00000, v21
	v_min_f32_e32 v28, 0x40e00000, v27
	v_mul_f32_e32 v21, 0xbfd9db23, v31
	v_mul_f32_e32 v34, 0x3fb8aa3b, v20
	v_min_f32_e32 v27, 0x40e00000, v22
	v_mul_f32_e32 v22, 0xbfd9db23, v28
	v_mul_f32_e32 v35, 0x3fb8aa3b, v21
	v_fma_f32 v39, v20, s19, -v34
	v_rndne_f32_e32 v40, v34
	v_min_f32_e32 v26, 0x40e00000, v32
	v_mul_f32_e32 v32, 0xbfd9db23, v29
	v_mul_f32_e32 v36, 0x3fb8aa3b, v22
	v_fma_f32 v41, v21, s19, -v35
	v_rndne_f32_e32 v42, v35
	v_fmac_f32_e32 v39, 0x32a5705f, v20
	v_sub_f32_e32 v34, v34, v40
	v_mul_f32_e32 v37, 0x3fb8aa3b, v32
	v_fma_f32 v43, v22, s19, -v36
	v_rndne_f32_e32 v44, v36
	v_fmac_f32_e32 v41, 0x32a5705f, v21
	v_sub_f32_e32 v35, v35, v42
	v_add_f32_e32 v34, v34, v39
	v_fma_f32 v45, v32, s19, -v37
	v_rndne_f32_e32 v46, v37
	v_cvt_i32_f32_e32 v40, v40
	v_fmac_f32_e32 v43, 0x32a5705f, v22
	v_sub_f32_e32 v36, v36, v44
	v_add_f32_e32 v35, v35, v41
	v_exp_f32_e32 v34, v34
	v_cvt_i32_f32_e32 v42, v42
	v_fmac_f32_e32 v45, 0x32a5705f, v32
	v_sub_f32_e32 v37, v37, v46
	v_add_f32_e32 v36, v36, v43
	v_exp_f32_e32 v35, v35
	v_cvt_i32_f32_e32 v44, v44
	v_add_f32_e32 v37, v37, v45
	v_exp_f32_e32 v36, v36
	v_cvt_i32_f32_e32 v46, v46
	v_exp_f32_e32 v37, v37
	v_ldexp_f32 v34, v34, v40
	v_cmp_ngt_f32_e32 vcc, s20, v20
	v_ldexp_f32 v35, v35, v42
	v_ldexp_f32 v36, v36, v44
	v_cndmask_b32_e32 v34, 0, v34, vcc
	v_cmp_ngt_f32_e32 vcc, s20, v21
	v_ldexp_f32 v37, v37, v46
	v_mul_f32_e32 v33, 0xbfd9db23, v26
	v_cndmask_b32_e32 v35, 0, v35, vcc
	v_cmp_ngt_f32_e32 vcc, s20, v22
	v_mul_f32_e32 v38, 0x3fb8aa3b, v33
	v_fma_f32 v47, v33, s19, -v38
	v_cndmask_b32_e32 v36, 0, v36, vcc
	v_cmp_ngt_f32_e32 vcc, s20, v32
	v_rndne_f32_e32 v48, v38
	v_fmac_f32_e32 v47, 0x32a5705f, v33
	v_cndmask_b32_e32 v37, 0, v37, vcc
	v_cmp_nlt_f32_e32 vcc, s21, v20
	v_sub_f32_e32 v38, v38, v48
	v_add_f32_e32 v38, v38, v47
	v_cndmask_b32_e32 v20, v51, v34, vcc
	v_cmp_nlt_f32_e32 vcc, s21, v21
	v_cvt_i32_f32_e32 v48, v48
	v_exp_f32_e32 v41, v38
	v_cndmask_b32_e32 v21, v51, v35, vcc
	v_cmp_nlt_f32_e32 vcc, s21, v22
	v_add_f32_e32 v21, 1.0, v21
	v_rcp_f32_e32 v39, v21
	v_cndmask_b32_e32 v22, v51, v36, vcc
	v_cmp_nlt_f32_e32 vcc, s21, v32
	v_add_f32_e32 v22, 1.0, v22
	v_mul_f32_e32 v21, 0xbfd9db23, v27
	v_cndmask_b32_e32 v32, v51, v37, vcc
	v_add_f32_e32 v32, 1.0, v32
	v_rcp_f32_e32 v36, v22
	v_mul_f32_e32 v22, 0x3fb8aa3b, v21
	v_rcp_f32_e32 v37, v32
	v_fma_f32 v32, v21, s19, -v22
	v_rndne_f32_e32 v34, v22
	v_fmac_f32_e32 v32, 0x32a5705f, v21
	v_sub_f32_e32 v22, v22, v34
	v_add_f32_e32 v20, 1.0, v20
	v_add_f32_e32 v22, v22, v32
	v_rcp_f32_e32 v38, v20
	v_ldexp_f32 v20, v41, v48
	v_cmp_ngt_f32_e32 vcc, s20, v33
	v_exp_f32_e32 v22, v22
	v_cvt_i32_f32_e32 v34, v34
	v_cndmask_b32_e32 v20, 0, v20, vcc
	v_cmp_nlt_f32_e32 vcc, s21, v33
	s_waitcnt vmcnt(1)
	v_and_b32_e32 v49, 0xffff0000, v4
	v_lshlrev_b32_e32 v70, 16, v4
	v_cndmask_b32_e32 v20, v51, v20, vcc
	v_add_f32_e32 v20, 1.0, v20
	v_rcp_f32_e32 v32, v20
	v_ldexp_f32 v20, v22, v34
	v_cmp_ngt_f32_e32 vcc, s20, v21
	v_and_b32_e32 v68, 0xffff0000, v5
	v_lshlrev_b32_e32 v69, 16, v5
	v_cndmask_b32_e32 v20, 0, v20, vcc
	v_cmp_nlt_f32_e32 vcc, s21, v21
	v_and_b32_e32 v66, 0xffff0000, v6
	v_lshlrev_b32_e32 v67, 16, v6
	v_cndmask_b32_e32 v20, v51, v20, vcc
	v_add_f32_e32 v20, 1.0, v20
	v_rcp_f32_e32 v33, v20
	v_lshlrev_b32_e32 v20, 16, v23
	v_max_f32_e32 v20, v20, v20
	v_min_f32_e32 v22, 0x40e00000, v20
	v_mul_f32_e32 v20, 0xbfd9db23, v22
	v_mul_f32_e32 v21, 0x3fb8aa3b, v20
	v_fma_f32 v34, v20, s19, -v21
	v_rndne_f32_e32 v35, v21
	v_fmac_f32_e32 v34, 0x32a5705f, v20
	v_sub_f32_e32 v21, v21, v35
	v_add_f32_e32 v21, v21, v34
	v_exp_f32_e32 v21, v21
	v_cvt_i32_f32_e32 v34, v35
	v_and_b32_e32 v23, 0xffff0000, v23
	v_max_f32_e32 v23, v23, v23
	v_min_f32_e32 v23, 0x40e00000, v23
	v_mul_f32_e32 v35, 0xbfd9db23, v23
	v_ldexp_f32 v21, v21, v34
	v_mul_f32_e32 v34, 0x3fb8aa3b, v35
	v_fma_f32 v40, v35, s19, -v34
	v_rndne_f32_e32 v41, v34
	v_fmac_f32_e32 v40, 0x32a5705f, v35
	v_sub_f32_e32 v34, v34, v41
	v_add_f32_e32 v34, v34, v40
	v_cmp_ngt_f32_e32 vcc, s20, v20
	v_exp_f32_e32 v40, v34
	v_cvt_i32_f32_e32 v41, v41
	v_cndmask_b32_e32 v21, 0, v21, vcc
	v_cmp_nlt_f32_e32 vcc, s21, v20
	v_and_b32_e32 v64, 0xffff0000, v7
	v_lshlrev_b32_e32 v65, 16, v7
	v_cndmask_b32_e32 v20, v51, v21, vcc
	v_add_f32_e32 v20, 1.0, v20
	v_rcp_f32_e32 v34, v20
	v_ldexp_f32 v20, v40, v41
	v_cmp_ngt_f32_e32 vcc, s20, v35
	v_lshlrev_b32_e32 v55, 16, v8
	v_and_b32_e32 v59, 0xffff0000, v8
	v_cndmask_b32_e32 v20, 0, v20, vcc
	v_cmp_nlt_f32_e32 vcc, s21, v35
	v_lshlrev_b32_e32 v56, 16, v9
	v_and_b32_e32 v60, 0xffff0000, v9
	v_cndmask_b32_e32 v20, v51, v20, vcc
	v_add_f32_e32 v20, 1.0, v20
	v_rcp_f32_e32 v35, v20
	v_lshlrev_b32_e32 v20, 16, v16
	v_and_b32_e32 v16, 0xffff0000, v16
	v_max_f32_e32 v16, v16, v16
	v_min_f32_e32 v21, 0x40e00000, v16
	v_max_f32_e32 v16, v20, v20
	v_min_f32_e32 v20, 0x40e00000, v16
	v_mul_f32_e32 v4, 0xbfd9db23, v20
	v_mul_f32_e32 v5, 0x3fb8aa3b, v4
	v_fma_f32 v6, v4, s19, -v5
	v_rndne_f32_e32 v7, v5
	v_fmac_f32_e32 v6, 0x32a5705f, v4
	v_sub_f32_e32 v5, v5, v7
	v_add_f32_e32 v5, v5, v6
	v_exp_f32_e32 v5, v5
	v_cvt_i32_f32_e32 v6, v7
	v_cmp_ngt_f32_e32 vcc, s20, v4
	v_and_b32_e32 v47, 0xffff0000, v17
	v_lshlrev_b32_e32 v44, 16, v17
	v_ldexp_f32 v5, v5, v6
	v_mul_f32_e32 v6, 0xbfd9db23, v21
	v_mul_f32_e32 v7, 0x3fb8aa3b, v6
	v_fma_f32 v8, v6, s19, -v7
	v_rndne_f32_e32 v9, v7
	v_fmac_f32_e32 v8, 0x32a5705f, v6
	v_sub_f32_e32 v7, v7, v9
	v_add_f32_e32 v7, v7, v8
	v_exp_f32_e32 v7, v7
	v_cvt_i32_f32_e32 v8, v9
	v_cndmask_b32_e32 v5, 0, v5, vcc
	v_cmp_nlt_f32_e32 vcc, s21, v4
	v_lshlrev_b32_e32 v62, 16, v10
	v_ldexp_f32 v7, v7, v8
	v_cndmask_b32_e32 v4, v51, v5, vcc
	v_cmp_ngt_f32_e32 vcc, s20, v6
	v_add_f32_e32 v4, 1.0, v4
	v_and_b32_e32 v63, 0xffff0000, v10
	v_cndmask_b32_e32 v5, 0, v7, vcc
	v_cmp_nlt_f32_e32 vcc, s21, v6
	v_rcp_f32_e32 v6, v4
	v_lshlrev_b32_e32 v58, 16, v11
	v_cndmask_b32_e32 v4, v51, v5, vcc
	v_add_f32_e32 v4, 1.0, v4
	v_rcp_f32_e32 v7, v4
	v_max_f32_e32 v4, v47, v47
	v_min_f32_e32 v5, 0x40e00000, v4
	v_max_f32_e32 v4, v44, v44
	v_min_f32_e32 v4, 0x40e00000, v4
	v_mul_f32_e32 v8, 0xbfd9db23, v4
	v_mul_f32_e32 v9, 0x3fb8aa3b, v8
	v_and_b32_e32 v61, 0xffff0000, v11
	v_fma_f32 v10, v8, s19, -v9
	v_rndne_f32_e32 v11, v9
	v_fmac_f32_e32 v10, 0x32a5705f, v8
	v_sub_f32_e32 v9, v9, v11
	v_add_f32_e32 v9, v9, v10
	v_exp_f32_e32 v9, v9
	v_cvt_i32_f32_e32 v10, v11
	v_lshlrev_b32_e32 v42, 16, v12
	v_and_b32_e32 v43, 0xffff0000, v12
	v_lshlrev_b32_e32 v45, 16, v13
	v_ldexp_f32 v9, v9, v10
	v_mul_f32_e32 v10, 0xbfd9db23, v5
	v_mul_f32_e32 v11, 0x3fb8aa3b, v10
	v_and_b32_e32 v48, 0xffff0000, v13
	v_fma_f32 v12, v10, s19, -v11
	v_rndne_f32_e32 v13, v11
	v_fmac_f32_e32 v12, 0x32a5705f, v10
	v_sub_f32_e32 v11, v11, v13
	v_add_f32_e32 v11, v11, v12
	v_exp_f32_e32 v11, v11
	v_cvt_i32_f32_e32 v12, v13
	v_cmp_ngt_f32_e32 vcc, s20, v8
	v_and_b32_e32 v17, 0xffff0000, v18
	v_lshlrev_b32_e32 v16, 16, v18
	v_cndmask_b32_e32 v9, 0, v9, vcc
	v_cmp_nlt_f32_e32 vcc, s21, v8
	v_ldexp_f32 v11, v11, v12
	v_lshlrev_b32_e32 v46, 16, v14
	v_cndmask_b32_e32 v8, v51, v9, vcc
	v_cmp_ngt_f32_e32 vcc, s20, v10
	v_add_f32_e32 v8, 1.0, v8
	v_and_b32_e32 v54, 0xffff0000, v14
	v_cndmask_b32_e32 v9, 0, v11, vcc
	v_cmp_nlt_f32_e32 vcc, s21, v10
	v_rcp_f32_e32 v10, v8
	v_lshlrev_b32_e32 v53, 16, v15
	v_cndmask_b32_e32 v8, v51, v9, vcc
	v_add_f32_e32 v8, 1.0, v8
	v_rcp_f32_e32 v11, v8
	v_max_f32_e32 v8, v17, v17
	v_min_f32_e32 v13, 0x40e00000, v8
	v_max_f32_e32 v8, v16, v16
	v_min_f32_e32 v12, 0x40e00000, v8
	v_mul_f32_e32 v8, 0xbfd9db23, v12
	v_mul_f32_e32 v9, 0x3fb8aa3b, v8
	v_and_b32_e32 v57, 0xffff0000, v15
	v_fma_f32 v14, v8, s19, -v9
	v_rndne_f32_e32 v15, v9
	v_fmac_f32_e32 v14, 0x32a5705f, v8
	v_sub_f32_e32 v9, v9, v15
	v_add_f32_e32 v9, v9, v14
	v_exp_f32_e32 v9, v9
	v_cvt_i32_f32_e32 v14, v15
	v_cmp_ngt_f32_e32 vcc, s20, v8
	v_and_b32_e32 v41, 0xffff0000, v19
	v_lshlrev_b32_e32 v40, 16, v19
	v_ldexp_f32 v9, v9, v14
	v_mul_f32_e32 v14, 0xbfd9db23, v13
	v_mul_f32_e32 v15, 0x3fb8aa3b, v14
	v_fma_f32 v16, v14, s19, -v15
	v_rndne_f32_e32 v17, v15
	v_fmac_f32_e32 v16, 0x32a5705f, v14
	v_sub_f32_e32 v15, v15, v17
	v_add_f32_e32 v15, v15, v16
	v_exp_f32_e32 v15, v15
	v_cvt_i32_f32_e32 v16, v17
	v_cndmask_b32_e32 v9, 0, v9, vcc
	v_cmp_nlt_f32_e32 vcc, s21, v8
	v_pk_mul_f32 v[36:37], v[28:29], v[36:37]
	v_ldexp_f32 v15, v15, v16
	v_cndmask_b32_e32 v8, v51, v9, vcc
	v_cmp_ngt_f32_e32 vcc, s20, v14
	v_add_f32_e32 v8, 1.0, v8
	v_rcp_f32_e32 v18, v8
	v_cndmask_b32_e32 v9, 0, v15, vcc
	v_cmp_nlt_f32_e32 vcc, s21, v14
	v_pk_mul_f32 v[32:33], v[26:27], v[32:33]
	v_pk_mul_f32 v[30:31], v[30:31], v[38:39]
	v_cndmask_b32_e32 v8, v51, v9, vcc
	v_add_f32_e32 v8, 1.0, v8
	v_rcp_f32_e32 v19, v8
	v_max_f32_e32 v8, v41, v41
	v_min_f32_e32 v29, 0x40e00000, v8
	v_max_f32_e32 v8, v40, v40
	v_min_f32_e32 v28, 0x40e00000, v8
	v_mul_f32_e32 v8, 0xbfd9db23, v28
	v_mul_f32_e32 v9, 0x3fb8aa3b, v8
	v_fma_f32 v14, v8, s19, -v9
	v_rndne_f32_e32 v15, v9
	v_fmac_f32_e32 v14, 0x32a5705f, v8
	v_sub_f32_e32 v9, v9, v15
	v_add_f32_e32 v9, v9, v14
	v_exp_f32_e32 v9, v9
	v_cvt_i32_f32_e32 v14, v15
	v_cmp_ngt_f32_e32 vcc, s20, v8
	v_pk_mul_f32 v[38:39], v[22:23], v[34:35]
	v_pk_mul_f32 v[20:21], v[20:21], v[6:7]
	v_ldexp_f32 v9, v9, v14
	v_mul_f32_e32 v14, 0xbfd9db23, v29
	v_mul_f32_e32 v15, 0x3fb8aa3b, v14
	v_fma_f32 v16, v14, s19, -v15
	v_rndne_f32_e32 v17, v15
	v_fmac_f32_e32 v16, 0x32a5705f, v14
	v_sub_f32_e32 v15, v15, v17
	v_add_f32_e32 v15, v15, v16
	v_exp_f32_e32 v15, v15
	v_cvt_i32_f32_e32 v16, v17
	v_cndmask_b32_e32 v9, 0, v9, vcc
	v_cmp_nlt_f32_e32 vcc, s21, v8
	v_pk_mul_f32 v[18:19], v[12:13], v[18:19]
	v_ldexp_f32 v15, v15, v16
	v_cndmask_b32_e32 v8, v51, v9, vcc
	v_cmp_ngt_f32_e32 vcc, s20, v14
	v_add_f32_e32 v8, 1.0, v8
	v_rcp_f32_e32 v26, v8
	v_cndmask_b32_e32 v9, 0, v15, vcc
	v_cmp_nlt_f32_e32 vcc, s21, v14
	s_nop 1
	v_cndmask_b32_e32 v8, v51, v9, vcc
	v_add_f32_e32 v8, 1.0, v8
	v_rcp_f32_e32 v27, v8
	v_max_f32_e32 v8, v43, v43
	v_min_f32_e32 v9, 0x40e00000, v8
	v_max_f32_e32 v8, v42, v42
	v_min_f32_e32 v8, 0x40e00000, v8
	v_mul_f32_e32 v14, 0xbfd9db23, v8
	v_mul_f32_e32 v15, 0x3fb8aa3b, v14
	v_fma_f32 v16, v14, s19, -v15
	v_rndne_f32_e32 v17, v15
	v_fmac_f32_e32 v16, 0x32a5705f, v14
	v_sub_f32_e32 v15, v15, v17
	v_add_f32_e32 v15, v15, v16
	v_exp_f32_e32 v15, v15
	v_cvt_i32_f32_e32 v16, v17
	v_cmp_ngt_f32_e32 vcc, s20, v14
	v_pk_mul_f32 v[26:27], v[28:29], v[26:27]
	v_ldexp_f32 v15, v15, v16
	v_mul_f32_e32 v16, 0xbfd9db23, v9
	v_mul_f32_e32 v17, 0x3fb8aa3b, v16
	v_fma_f32 v22, v16, s19, -v17
	v_rndne_f32_e32 v23, v17
	v_fmac_f32_e32 v22, 0x32a5705f, v16
	v_sub_f32_e32 v17, v17, v23
	v_add_f32_e32 v17, v17, v22
	v_exp_f32_e32 v17, v17
	v_cvt_i32_f32_e32 v22, v23
	v_cndmask_b32_e32 v15, 0, v15, vcc
	v_cmp_nlt_f32_e32 vcc, s21, v14
	v_max_f32_e32 v23, v49, v49
	v_ldexp_f32 v17, v17, v22
	v_cndmask_b32_e32 v14, v51, v15, vcc
	v_cmp_ngt_f32_e32 vcc, s20, v16
	v_max_f32_e32 v22, v70, v70
	v_med3_f32 v23, v23, s22, v52
	v_cndmask_b32_e32 v15, 0, v17, vcc
	v_cmp_nlt_f32_e32 vcc, s21, v16
	v_max_f32_e32 v16, v48, v48
	v_min_f32_e32 v17, 0x40e00000, v16
	v_max_f32_e32 v16, v45, v45
	v_min_f32_e32 v16, 0x40e00000, v16
	v_med3_f32 v22, v22, s22, v52
	v_mul_f32_e32 v34, 0xbfd9db23, v16
	v_pk_add_f32 v[22:23], v[22:23], 1.0 op_sel_hi:[1,0]
	v_cndmask_b32_e32 v15, v51, v15, vcc
	v_pk_mul_f32 v[48:49], v[22:23], v[30:31]
	v_mul_f32_e32 v22, 0x3fb8aa3b, v34
	v_fma_f32 v23, v34, s19, -v22
	v_rndne_f32_e32 v30, v22
	v_fmac_f32_e32 v23, 0x32a5705f, v34
	v_sub_f32_e32 v22, v22, v30
	v_add_f32_e32 v22, v22, v23
	v_exp_f32_e32 v22, v22
	v_cvt_i32_f32_e32 v23, v30
	v_cmp_ngt_f32_e32 vcc, s20, v34
	v_add_f32_e32 v14, 1.0, v14
	v_add_f32_e32 v15, 1.0, v15
	v_ldexp_f32 v22, v22, v23
	v_mul_f32_e32 v23, 0xbfd9db23, v17
	v_mul_f32_e32 v30, 0x3fb8aa3b, v23
	v_fma_f32 v31, v23, s19, -v30
	v_rndne_f32_e32 v35, v30
	v_fmac_f32_e32 v31, 0x32a5705f, v23
	v_sub_f32_e32 v30, v30, v35
	v_add_f32_e32 v30, v30, v31
	v_exp_f32_e32 v30, v30
	v_cvt_i32_f32_e32 v31, v35
	v_cndmask_b32_e32 v22, 0, v22, vcc
	v_cmp_nlt_f32_e32 vcc, s21, v34
	v_max_f32_e32 v34, v69, v69
	v_ldexp_f32 v30, v30, v31
	v_cndmask_b32_e32 v22, v51, v22, vcc
	v_cmp_ngt_f32_e32 vcc, s20, v23
	v_max_f32_e32 v35, v68, v68
	v_med3_f32 v35, v35, s22, v52
	v_cndmask_b32_e32 v30, 0, v30, vcc
	v_cmp_nlt_f32_e32 vcc, s21, v23
	v_med3_f32 v34, v34, s22, v52
	v_pk_add_f32 v[34:35], v[34:35], 1.0 op_sel_hi:[1,0]
	v_cndmask_b32_e32 v23, v51, v30, vcc
	v_max_f32_e32 v30, v54, v54
	v_min_f32_e32 v31, 0x40e00000, v30
	v_max_f32_e32 v30, v46, v46
	v_min_f32_e32 v30, 0x40e00000, v30
	v_mul_f32_e32 v40, 0xbfd9db23, v30
	v_pk_mul_f32 v[44:45], v[34:35], v[36:37]
	v_mul_f32_e32 v34, 0x3fb8aa3b, v40
	v_fma_f32 v35, v40, s19, -v34
	v_rndne_f32_e32 v36, v34
	v_fmac_f32_e32 v35, 0x32a5705f, v40
	v_sub_f32_e32 v34, v34, v36
	v_add_f32_e32 v34, v34, v35
	v_exp_f32_e32 v34, v34
	v_cvt_i32_f32_e32 v35, v36
	v_cmp_ngt_f32_e32 vcc, s20, v40
	v_add_f32_e32 v22, 1.0, v22
	v_add_f32_e32 v23, 1.0, v23
	v_ldexp_f32 v34, v34, v35
	v_mul_f32_e32 v35, 0xbfd9db23, v31
	v_mul_f32_e32 v36, 0x3fb8aa3b, v35
	v_fma_f32 v37, v35, s19, -v36
	v_rndne_f32_e32 v41, v36
	v_fmac_f32_e32 v37, 0x32a5705f, v35
	v_sub_f32_e32 v36, v36, v41
	v_add_f32_e32 v36, v36, v37
	v_exp_f32_e32 v36, v36
	v_cvt_i32_f32_e32 v37, v41
	v_cndmask_b32_e32 v34, 0, v34, vcc
	v_cmp_nlt_f32_e32 vcc, s21, v40
	v_max_f32_e32 v40, v67, v67
	v_ldexp_f32 v36, v36, v37
	v_cndmask_b32_e32 v34, v51, v34, vcc
	v_cmp_ngt_f32_e32 vcc, s20, v35
	v_max_f32_e32 v41, v66, v66
	v_med3_f32 v41, v41, s22, v52
	v_cndmask_b32_e32 v36, 0, v36, vcc
	v_cmp_nlt_f32_e32 vcc, s21, v35
	v_med3_f32 v40, v40, s22, v52
	v_pk_add_f32 v[40:41], v[40:41], 1.0 op_sel_hi:[1,0]
	v_cndmask_b32_e32 v35, v51, v36, vcc
	v_max_f32_e32 v36, v57, v57
	v_min_f32_e32 v37, 0x40e00000, v36
	v_max_f32_e32 v36, v53, v53
	v_min_f32_e32 v36, 0x40e00000, v36
	v_mul_f32_e32 v42, 0xbfd9db23, v36
	v_pk_mul_f32 v[40:41], v[40:41], v[32:33]
	v_mul_f32_e32 v32, 0x3fb8aa3b, v42
	v_fma_f32 v33, v42, s19, -v32
	v_rndne_f32_e32 v43, v32
	v_fmac_f32_e32 v33, 0x32a5705f, v42
	v_sub_f32_e32 v32, v32, v43
	v_add_f32_e32 v32, v32, v33
	v_exp_f32_e32 v32, v32
	v_cvt_i32_f32_e32 v33, v43
	v_cmp_ngt_f32_e32 vcc, s20, v42
	v_perm_b32 v66, v41, v40, s23
	s_waitcnt vmcnt(0)
	v_and_b32_e32 v57, 0xffff0000, v2
	v_ldexp_f32 v32, v32, v33
	v_mul_f32_e32 v33, 0xbfd9db23, v37
	v_mul_f32_e32 v43, 0x3fb8aa3b, v33
	v_fma_f32 v46, v33, s19, -v43
	v_rndne_f32_e32 v47, v43
	v_fmac_f32_e32 v46, 0x32a5705f, v33
	v_sub_f32_e32 v43, v43, v47
	v_add_f32_e32 v43, v43, v46
	v_exp_f32_e32 v43, v43
	v_cvt_i32_f32_e32 v46, v47
	v_cndmask_b32_e32 v32, 0, v32, vcc
	v_cmp_nlt_f32_e32 vcc, s21, v42
	v_max_f32_e32 v47, v64, v64
	v_ldexp_f32 v43, v43, v46
	v_cndmask_b32_e32 v32, v51, v32, vcc
	v_cmp_ngt_f32_e32 vcc, s20, v33
	v_add_f32_e32 v32, 1.0, v32
	v_rcp_f32_e32 v42, v32
	v_cndmask_b32_e32 v43, 0, v43, vcc
	v_cmp_nlt_f32_e32 vcc, s21, v33
	v_max_f32_e32 v46, v65, v65
	v_med3_f32 v47, v47, s22, v52
	v_cndmask_b32_e32 v32, v51, v43, vcc
	v_add_f32_e32 v32, 1.0, v32
	v_rcp_f32_e32 v43, v32
	v_max_f32_e32 v32, v59, v59
	v_min_f32_e32 v33, 0x40e00000, v32
	v_max_f32_e32 v32, v55, v55
	v_med3_f32 v46, v46, s22, v52
	v_min_f32_e32 v32, 0x40e00000, v32
	v_pk_add_f32 v[46:47], v[46:47], 1.0 op_sel_hi:[1,0]
	v_mul_f32_e32 v53, 0xbfd9db23, v32
	v_pk_mul_f32 v[38:39], v[46:47], v[38:39]
	v_cmp_ngt_f32_e32 vcc, s20, v53
	v_perm_b32 v67, v39, v38, s23
	v_mul_f32_e32 v38, 0x3fb8aa3b, v53
	v_fma_f32 v39, v53, s19, -v38
	v_rndne_f32_e32 v40, v38
	v_fmac_f32_e32 v39, 0x32a5705f, v53
	v_sub_f32_e32 v38, v38, v40
	v_add_f32_e32 v38, v38, v39
	v_exp_f32_e32 v38, v38
	v_cvt_i32_f32_e32 v39, v40
	v_perm_b32 v65, v45, v44, s23
	v_perm_b32 v64, v49, v48, s23
	v_and_b32_e32 v48, 0xffff0000, v0
	v_ldexp_f32 v38, v38, v39
	v_mul_f32_e32 v39, 0xbfd9db23, v33
	v_mul_f32_e32 v40, 0x3fb8aa3b, v39
	v_fma_f32 v41, v39, s19, -v40
	v_rndne_f32_e32 v46, v40
	v_fmac_f32_e32 v41, 0x32a5705f, v39
	v_sub_f32_e32 v40, v40, v46
	v_add_f32_e32 v40, v40, v41
	v_exp_f32_e32 v40, v40
	v_cvt_i32_f32_e32 v41, v46
	v_cndmask_b32_e32 v38, 0, v38, vcc
	v_cmp_nlt_f32_e32 vcc, s21, v53
	v_lshlrev_b32_e32 v49, 16, v0
	v_ldexp_f32 v40, v40, v41
	v_cndmask_b32_e32 v38, v51, v38, vcc
	v_cmp_ngt_f32_e32 vcc, s20, v39
	v_lshlrev_b32_e32 v59, 16, v2
	v_max_f32_e32 v59, v59, v59
	v_cndmask_b32_e32 v40, 0, v40, vcc
	v_cmp_nlt_f32_e32 vcc, s21, v39
	v_max_f32_e32 v57, v57, v57
	v_med3_f32 v57, v57, s22, v52
	v_cndmask_b32_e32 v39, v51, v40, vcc
	v_max_f32_e32 v40, v60, v60
	v_min_f32_e32 v41, 0x40e00000, v40
	v_max_f32_e32 v40, v56, v56
	v_min_f32_e32 v40, 0x40e00000, v40
	v_mul_f32_e32 v46, 0xbfd9db23, v40
	v_mul_f32_e32 v44, 0x3fb8aa3b, v46
	v_fma_f32 v45, v46, s19, -v44
	v_rndne_f32_e32 v47, v44
	v_fmac_f32_e32 v45, 0x32a5705f, v46
	v_sub_f32_e32 v44, v44, v47
	v_add_f32_e32 v44, v44, v45
	v_exp_f32_e32 v44, v44
	v_cvt_i32_f32_e32 v45, v47
	v_cmp_ngt_f32_e32 vcc, s20, v46
	v_lshlrev_b32_e32 v56, 16, v1
	v_and_b32_e32 v60, 0xffff0000, v3
	v_ldexp_f32 v44, v44, v45
	v_mul_f32_e32 v45, 0xbfd9db23, v41
	v_mul_f32_e32 v47, 0x3fb8aa3b, v45
	v_fma_f32 v53, v45, s19, -v47
	v_rndne_f32_e32 v54, v47
	v_fmac_f32_e32 v53, 0x32a5705f, v45
	v_sub_f32_e32 v47, v47, v54
	v_add_f32_e32 v47, v47, v53
	v_exp_f32_e32 v47, v47
	v_cvt_i32_f32_e32 v53, v54
	v_cndmask_b32_e32 v44, 0, v44, vcc
	v_cmp_nlt_f32_e32 vcc, s21, v46
	v_max_f32_e32 v60, v60, v60
	v_ldexp_f32 v47, v47, v53
	v_cndmask_b32_e32 v44, v51, v44, vcc
	v_cmp_ngt_f32_e32 vcc, s20, v45
	v_and_b32_e32 v53, 0xffff0000, v1
	v_add_f32_e32 v34, 1.0, v34
	v_cndmask_b32_e32 v46, 0, v47, vcc
	v_cmp_nlt_f32_e32 vcc, s21, v45
	v_add_f32_e32 v35, 1.0, v35
	v_rcp_f32_e32 v14, v14
	v_cndmask_b32_e32 v45, v51, v46, vcc
	v_max_f32_e32 v46, v63, v63
	v_min_f32_e32 v47, 0x40e00000, v46
	v_max_f32_e32 v46, v62, v62
	v_min_f32_e32 v46, 0x40e00000, v46
	v_mul_f32_e32 v0, 0xbfd9db23, v46
	v_mul_f32_e32 v1, 0x3fb8aa3b, v0
	v_lshlrev_b32_e32 v62, 16, v3
	v_fma_f32 v2, v0, s19, -v1
	v_rndne_f32_e32 v3, v1
	v_fmac_f32_e32 v2, 0x32a5705f, v0
	v_sub_f32_e32 v1, v1, v3
	v_add_f32_e32 v1, v1, v2
	v_exp_f32_e32 v1, v1
	v_cvt_i32_f32_e32 v2, v3
	v_cmp_ngt_f32_e32 vcc, s20, v0
	v_rcp_f32_e32 v15, v15
	v_rcp_f32_e32 v22, v22
	v_ldexp_f32 v1, v1, v2
	v_mul_f32_e32 v2, 0xbfd9db23, v47
	v_mul_f32_e32 v3, 0x3fb8aa3b, v2
	v_fma_f32 v54, v2, s19, -v3
	v_rndne_f32_e32 v55, v3
	v_fmac_f32_e32 v54, 0x32a5705f, v2
	v_sub_f32_e32 v3, v3, v55
	v_add_f32_e32 v3, v3, v54
	v_exp_f32_e32 v3, v3
	v_cvt_i32_f32_e32 v54, v55
	v_cndmask_b32_e32 v1, 0, v1, vcc
	v_cmp_nlt_f32_e32 vcc, s21, v0
	v_rcp_f32_e32 v23, v23
	v_ldexp_f32 v3, v3, v54
	v_cndmask_b32_e32 v0, v51, v1, vcc
	v_cmp_ngt_f32_e32 vcc, s20, v2
	v_rcp_f32_e32 v34, v34
	v_rcp_f32_e32 v35, v35
	v_cndmask_b32_e32 v1, 0, v3, vcc
	v_cmp_nlt_f32_e32 vcc, s21, v2
	v_max_f32_e32 v2, v61, v61
	v_min_f32_e32 v3, 0x40e00000, v2
	v_max_f32_e32 v2, v58, v58
	v_min_f32_e32 v2, 0x40e00000, v2
	v_mul_f32_e32 v54, 0xbfd9db23, v2
	v_mul_f32_e32 v55, 0x3fb8aa3b, v54
	v_fma_f32 v58, v54, s19, -v55
	v_rndne_f32_e32 v61, v55
	v_fmac_f32_e32 v58, 0x32a5705f, v54
	v_sub_f32_e32 v55, v55, v61
	v_add_f32_e32 v55, v55, v58
	v_exp_f32_e32 v55, v55
	v_cvt_i32_f32_e32 v58, v61
	v_mul_f32_e32 v61, 0xbfd9db23, v3
	v_cndmask_b32_e32 v1, v51, v1, vcc
	v_cmp_ngt_f32_e32 vcc, s20, v54
	v_ldexp_f32 v55, v55, v58
	v_mul_f32_e32 v6, 0x3fb8aa3b, v61
	v_cndmask_b32_e32 v58, 0, v55, vcc
	v_cmp_nlt_f32_e32 vcc, s21, v54
	v_fma_f32 v7, v61, s19, -v6
	v_rndne_f32_e32 v54, v6
	v_fmac_f32_e32 v7, 0x32a5705f, v61
	v_sub_f32_e32 v6, v6, v54
	v_add_f32_e32 v6, v6, v7
	v_exp_f32_e32 v6, v6
	v_cvt_i32_f32_e32 v7, v54
	v_pk_mul_f32 v[54:55], v[4:5], v[10:11]
	v_pk_mul_f32 v[8:9], v[8:9], v[14:15]
	;; [unrolled: 1-line block ×3, first 2 shown]
	v_ldexp_f32 v63, v6, v7
	v_max_f32_e32 v6, v49, v49
	v_max_f32_e32 v7, v48, v48
	v_med3_f32 v49, v7, s22, v52
	v_med3_f32 v48, v6, s22, v52
	buffer_load_dwordx4 v[4:7], v50, s[4:7], 32 offen
	v_pk_add_f32 v[10:11], v[48:49], 1.0 op_sel_hi:[1,0]
	v_pk_mul_f32 v[16:17], v[30:31], v[34:35]
	v_pk_mul_f32 v[28:29], v[10:11], v[20:21]
	buffer_load_dwordx4 v[10:13], v50, s[4:7], 48 offen
	v_cndmask_b32_e32 v20, v51, v58, vcc
	v_cmp_ngt_f32_e32 vcc, s20, v61
	v_add_f32_e32 v20, 1.0, v20
	v_rcp_f32_e32 v48, v20
	v_cndmask_b32_e32 v21, 0, v63, vcc
	v_cmp_nlt_f32_e32 vcc, s21, v61
	v_max_f32_e32 v58, v62, v62
	v_med3_f32 v58, v58, s22, v52
	v_cndmask_b32_e32 v20, v51, v21, vcc
	v_add_f32_e32 v20, 1.0, v20
	v_rcp_f32_e32 v49, v20
	v_max_f32_e32 v20, v56, v56
	v_max_f32_e32 v21, v53, v53
	v_med3_f32 v21, v21, s22, v52
	v_med3_f32 v20, v20, s22, v52
	;; [unrolled: 1-line block ×4, first 2 shown]
	v_pk_add_f32 v[58:59], v[58:59], 1.0 op_sel_hi:[1,0]
	v_pk_add_f32 v[56:57], v[56:57], 1.0 op_sel_hi:[1,0]
	;; [unrolled: 1-line block ×3, first 2 shown]
	v_pk_mul_f32 v[18:19], v[56:57], v[18:19]
	v_pk_mul_f32 v[54:55], v[20:21], v[54:55]
	;; [unrolled: 1-line block ×4, first 2 shown]
	v_perm_b32 v21, v21, v20, s23
	v_perm_b32 v20, v19, v18, s23
	;; [unrolled: 1-line block ×4, first 2 shown]
	buffer_store_dwordx4 v[18:21], v50, s[8:11], 16 offen
	v_add_f32_e32 v38, 1.0, v38
	v_add_f32_e32 v39, 1.0, v39
	;; [unrolled: 1-line block ×6, first 2 shown]
	v_rcp_f32_e32 v38, v38
	v_rcp_f32_e32 v39, v39
	;; [unrolled: 1-line block ×6, first 2 shown]
	v_pk_mul_f32 v[2:3], v[2:3], v[48:49]
	v_cmp_le_i64_e32 vcc, s[12:13], v[24:25]
	buffer_store_dwordx4 v[64:67], v50, s[8:11], 0 offen
	v_pk_mul_f32 v[0:1], v[46:47], v[0:1]
	s_or_b64 s[16:17], vcc, s[16:17]
	s_waitcnt vmcnt(3)
	v_and_b32_e32 v18, 0xffff0000, v4
	v_lshlrev_b32_e32 v4, 16, v4
	v_and_b32_e32 v19, 0xffff0000, v5
	v_lshlrev_b32_e32 v5, 16, v5
	;; [unrolled: 2-line block ×4, first 2 shown]
	v_max_f32_e32 v26, v7, v7
	v_max_f32_e32 v21, v21, v21
	v_max_f32_e32 v27, v6, v6
	v_max_f32_e32 v20, v20, v20
	v_max_f32_e32 v6, v5, v5
	v_max_f32_e32 v7, v19, v19
	v_max_f32_e32 v4, v4, v4
	v_max_f32_e32 v5, v18, v18
	v_med3_f32 v5, v5, s22, v52
	v_med3_f32 v4, v4, s22, v52
	;; [unrolled: 1-line block ×8, first 2 shown]
	v_pk_add_f32 v[20:21], v[20:21], 1.0 op_sel_hi:[1,0]
	v_pk_add_f32 v[18:19], v[18:19], 1.0 op_sel_hi:[1,0]
	;; [unrolled: 1-line block ×4, first 2 shown]
	s_nop 0
	v_pk_mul_f32 v[8:9], v[4:5], v[8:9]
	v_pk_mul_f32 v[4:5], v[6:7], v[14:15]
	;; [unrolled: 1-line block ×4, first 2 shown]
	v_perm_b32 v5, v5, v4, s23
	v_perm_b32 v7, v7, v6, s23
	;; [unrolled: 1-line block ×4, first 2 shown]
	buffer_store_dwordx4 v[4:7], v50, s[8:11], 32 offen
	s_waitcnt vmcnt(3)
	v_and_b32_e32 v8, 0xffff0000, v12
	v_lshlrev_b32_e32 v9, 16, v12
	v_and_b32_e32 v4, 0xffff0000, v10
	v_lshlrev_b32_e32 v5, 16, v10
	;; [unrolled: 2-line block ×4, first 2 shown]
	v_max_f32_e32 v12, v11, v11
	v_max_f32_e32 v10, v10, v10
	;; [unrolled: 1-line block ×8, first 2 shown]
	v_med3_f32 v5, v4, s22, v52
	v_med3_f32 v4, v7, s22, v52
	;; [unrolled: 1-line block ×8, first 2 shown]
	v_pk_add_f32 v[10:11], v[10:11], 1.0 op_sel_hi:[1,0]
	v_pk_add_f32 v[8:9], v[8:9], 1.0 op_sel_hi:[1,0]
	;; [unrolled: 1-line block ×4, first 2 shown]
	v_pk_mul_f32 v[12:13], v[32:33], v[38:39]
	v_pk_mul_f32 v[14:15], v[40:41], v[44:45]
	;; [unrolled: 1-line block ×6, first 2 shown]
	s_nop 0
	v_perm_b32 v3, v3, v2, s23
	v_perm_b32 v2, v1, v0, s23
	;; [unrolled: 1-line block ×4, first 2 shown]
	buffer_store_dwordx4 v[0:3], v50, s[8:11], 48 offen
	v_add_u32_e32 v50, s18, v50
	s_andn2_b64 exec, exec, s[16:17]
	s_cbranch_execnz .LBB76_2
.LBB76_3:
	s_endpgm
	.section	.rodata,"a",@progbits
	.p2align	6, 0x0
	.amdhsa_kernel _ZN5aiter25swiglu_act_and_mul_kernelIttLi32EEEvPT0_PKT_i
		.amdhsa_group_segment_fixed_size 0
		.amdhsa_private_segment_fixed_size 0
		.amdhsa_kernarg_size 280
		.amdhsa_user_sgpr_count 2
		.amdhsa_user_sgpr_dispatch_ptr 0
		.amdhsa_user_sgpr_queue_ptr 0
		.amdhsa_user_sgpr_kernarg_segment_ptr 1
		.amdhsa_user_sgpr_dispatch_id 0
		.amdhsa_user_sgpr_kernarg_preload_length 0
		.amdhsa_user_sgpr_kernarg_preload_offset 0
		.amdhsa_user_sgpr_private_segment_size 0
		.amdhsa_uses_dynamic_stack 0
		.amdhsa_enable_private_segment 0
		.amdhsa_system_sgpr_workgroup_id_x 1
		.amdhsa_system_sgpr_workgroup_id_y 0
		.amdhsa_system_sgpr_workgroup_id_z 0
		.amdhsa_system_sgpr_workgroup_info 0
		.amdhsa_system_vgpr_workitem_id 0
		.amdhsa_next_free_vgpr 71
		.amdhsa_next_free_sgpr 24
		.amdhsa_accum_offset 72
		.amdhsa_reserve_vcc 1
		.amdhsa_float_round_mode_32 0
		.amdhsa_float_round_mode_16_64 0
		.amdhsa_float_denorm_mode_32 3
		.amdhsa_float_denorm_mode_16_64 3
		.amdhsa_dx10_clamp 1
		.amdhsa_ieee_mode 1
		.amdhsa_fp16_overflow 0
		.amdhsa_tg_split 0
		.amdhsa_exception_fp_ieee_invalid_op 0
		.amdhsa_exception_fp_denorm_src 0
		.amdhsa_exception_fp_ieee_div_zero 0
		.amdhsa_exception_fp_ieee_overflow 0
		.amdhsa_exception_fp_ieee_underflow 0
		.amdhsa_exception_fp_ieee_inexact 0
		.amdhsa_exception_int_div_zero 0
	.end_amdhsa_kernel
	.section	.text._ZN5aiter25swiglu_act_and_mul_kernelIttLi32EEEvPT0_PKT_i,"axG",@progbits,_ZN5aiter25swiglu_act_and_mul_kernelIttLi32EEEvPT0_PKT_i,comdat
.Lfunc_end76:
	.size	_ZN5aiter25swiglu_act_and_mul_kernelIttLi32EEEvPT0_PKT_i, .Lfunc_end76-_ZN5aiter25swiglu_act_and_mul_kernelIttLi32EEEvPT0_PKT_i
                                        ; -- End function
	.section	.AMDGPU.csdata,"",@progbits
; Kernel info:
; codeLenInByte = 4772
; NumSgprs: 30
; NumVgprs: 71
; NumAgprs: 0
; TotalNumVgprs: 71
; ScratchSize: 0
; MemoryBound: 0
; FloatMode: 240
; IeeeMode: 1
; LDSByteSize: 0 bytes/workgroup (compile time only)
; SGPRBlocks: 3
; VGPRBlocks: 8
; NumSGPRsForWavesPerEU: 30
; NumVGPRsForWavesPerEU: 71
; AccumOffset: 72
; Occupancy: 7
; WaveLimiterHint : 0
; COMPUTE_PGM_RSRC2:SCRATCH_EN: 0
; COMPUTE_PGM_RSRC2:USER_SGPR: 2
; COMPUTE_PGM_RSRC2:TRAP_HANDLER: 0
; COMPUTE_PGM_RSRC2:TGID_X_EN: 1
; COMPUTE_PGM_RSRC2:TGID_Y_EN: 0
; COMPUTE_PGM_RSRC2:TGID_Z_EN: 0
; COMPUTE_PGM_RSRC2:TIDIG_COMP_CNT: 0
; COMPUTE_PGM_RSRC3_GFX90A:ACCUM_OFFSET: 17
; COMPUTE_PGM_RSRC3_GFX90A:TG_SPLIT: 0
	.section	.text._ZN5aiter25swiglu_act_and_mul_kernelIttLi16EEEvPT0_PKT_i,"axG",@progbits,_ZN5aiter25swiglu_act_and_mul_kernelIttLi16EEEvPT0_PKT_i,comdat
	.protected	_ZN5aiter25swiglu_act_and_mul_kernelIttLi16EEEvPT0_PKT_i ; -- Begin function _ZN5aiter25swiglu_act_and_mul_kernelIttLi16EEEvPT0_PKT_i
	.globl	_ZN5aiter25swiglu_act_and_mul_kernelIttLi16EEEvPT0_PKT_i
	.p2align	8
	.type	_ZN5aiter25swiglu_act_and_mul_kernelIttLi16EEEvPT0_PKT_i,@function
_ZN5aiter25swiglu_act_and_mul_kernelIttLi16EEEvPT0_PKT_i: ; @_ZN5aiter25swiglu_act_and_mul_kernelIttLi16EEEvPT0_PKT_i
; %bb.0:
	s_load_dword s12, s[0:1], 0x10
	v_lshlrev_b32_e32 v16, 4, v0
	s_waitcnt lgkmcnt(0)
	v_cmp_gt_i32_e32 vcc, s12, v16
	s_and_saveexec_b64 s[4:5], vcc
	s_cbranch_execz .LBB77_3
; %bb.1:
	s_load_dwordx4 s[8:11], s[0:1], 0x0
	s_load_dword s14, s[0:1], 0x24
	s_ashr_i32 s13, s12, 31
	s_mul_hi_u32 s3, s12, s2
	s_mul_i32 s4, s13, s2
	s_add_i32 s3, s3, s4
	s_mul_i32 s2, s12, s2
	s_lshl_b64 s[6:7], s[2:3], 1
	s_lshl_b64 s[2:3], s[2:3], 2
	s_waitcnt lgkmcnt(0)
	s_add_u32 s0, s10, s2
	s_addc_u32 s1, s11, s3
	s_lshl_b64 s[2:3], s[12:13], 1
	s_add_u32 s4, s0, s2
	s_addc_u32 s5, s1, s3
	s_add_i32 s2, s12, 1
	s_lshr_b32 s3, s2, 31
	s_add_i32 s2, s2, s3
	s_lshl_b32 s2, s2, 1
	s_and_b32 s2, s2, -4
	s_and_b32 s1, s1, 0xffff
	s_and_b32 s5, s5, 0xffff
	s_add_u32 s8, s8, s6
	s_addc_u32 s6, s9, s7
	s_mov_b32 s3, 0x20000
	s_and_b32 s9, s6, 0xffff
	s_and_b32 s6, s14, 0xffff
	s_mov_b32 s15, 0
	v_mov_b32_e32 v17, 0
	s_lshl_b32 s14, s6, 4
	v_lshlrev_b32_e32 v40, 5, v0
	s_lshl_b32 s18, s6, 5
	s_mov_b64 s[16:17], 0
	s_mov_b32 s6, s2
	s_mov_b32 s7, s3
	s_mov_b32 s19, 0x3fb8aa3b
	s_mov_b32 s20, 0xc2ce8ed0
	s_mov_b32 s21, 0x42b17218
	v_mov_b32_e32 v41, 0x7f800000
	s_mov_b32 s22, 0xc0e00000
	v_mov_b32_e32 v42, 0x40e00000
	s_mov_b32 s23, 0x7060302
	s_mov_b32 s10, s2
	;; [unrolled: 1-line block ×3, first 2 shown]
.LBB77_2:                               ; =>This Inner Loop Header: Depth=1
	buffer_load_dwordx4 v[12:15], v40, s[0:3], 0 offen
	buffer_load_dwordx4 v[8:11], v40, s[0:3], 16 offen
	;; [unrolled: 1-line block ×4, first 2 shown]
	v_lshl_add_u64 v[16:17], s[14:15], 0, v[16:17]
	s_waitcnt vmcnt(3)
	v_lshlrev_b32_e32 v18, 16, v12
	v_and_b32_e32 v12, 0xffff0000, v12
	v_lshlrev_b32_e32 v19, 16, v13
	v_and_b32_e32 v13, 0xffff0000, v13
	;; [unrolled: 2-line block ×3, first 2 shown]
	v_max_f32_e32 v12, v12, v12
	v_max_f32_e32 v18, v18, v18
	;; [unrolled: 1-line block ×4, first 2 shown]
	v_min_f32_e32 v13, 0x40e00000, v12
	v_min_f32_e32 v12, 0x40e00000, v18
	v_max_f32_e32 v22, v19, v19
	v_min_f32_e32 v19, 0x40e00000, v21
	v_min_f32_e32 v21, 0x40e00000, v14
	v_mul_f32_e32 v14, 0xbfd9db23, v12
	v_min_f32_e32 v18, 0x40e00000, v22
	v_mul_f32_e32 v22, 0xbfd9db23, v13
	v_mul_f32_e32 v25, 0x3fb8aa3b, v14
	;; [unrolled: 1-line block ×4, first 2 shown]
	v_fma_f32 v31, v14, s19, -v25
	v_rndne_f32_e32 v32, v25
	v_mul_f32_e32 v24, 0xbfd9db23, v19
	v_mul_f32_e32 v28, 0x3fb8aa3b, v23
	v_fma_f32 v33, v22, s19, -v27
	v_rndne_f32_e32 v34, v27
	v_fmac_f32_e32 v31, 0x32a5705f, v14
	v_sub_f32_e32 v25, v25, v32
	v_mul_f32_e32 v29, 0x3fb8aa3b, v24
	v_fma_f32 v35, v23, s19, -v28
	v_rndne_f32_e32 v36, v28
	v_fmac_f32_e32 v33, 0x32a5705f, v22
	v_sub_f32_e32 v27, v27, v34
	v_add_f32_e32 v25, v25, v31
	v_fma_f32 v37, v24, s19, -v29
	v_rndne_f32_e32 v38, v29
	v_cvt_i32_f32_e32 v32, v32
	v_fmac_f32_e32 v35, 0x32a5705f, v23
	v_sub_f32_e32 v28, v28, v36
	v_add_f32_e32 v27, v27, v33
	v_exp_f32_e32 v25, v25
	v_cvt_i32_f32_e32 v34, v34
	v_fmac_f32_e32 v37, 0x32a5705f, v24
	v_sub_f32_e32 v29, v29, v38
	v_add_f32_e32 v28, v28, v35
	v_exp_f32_e32 v27, v27
	v_cvt_i32_f32_e32 v36, v36
	v_add_f32_e32 v29, v29, v37
	v_exp_f32_e32 v28, v28
	v_max_f32_e32 v20, v20, v20
	v_cvt_i32_f32_e32 v38, v38
	v_exp_f32_e32 v29, v29
	v_min_f32_e32 v20, 0x40e00000, v20
	v_ldexp_f32 v25, v25, v32
	v_cmp_ngt_f32_e32 vcc, s20, v14
	v_mul_f32_e32 v26, 0xbfd9db23, v20
	v_ldexp_f32 v27, v27, v34
	v_cndmask_b32_e32 v25, 0, v25, vcc
	v_cmp_ngt_f32_e32 vcc, s20, v22
	v_mul_f32_e32 v30, 0x3fb8aa3b, v26
	v_ldexp_f32 v28, v28, v36
	v_cndmask_b32_e32 v27, 0, v27, vcc
	v_cmp_ngt_f32_e32 vcc, s20, v23
	v_fma_f32 v39, v26, s19, -v30
	v_rndne_f32_e32 v43, v30
	v_ldexp_f32 v29, v29, v38
	v_cndmask_b32_e32 v28, 0, v28, vcc
	v_cmp_ngt_f32_e32 vcc, s20, v24
	v_fmac_f32_e32 v39, 0x32a5705f, v26
	v_sub_f32_e32 v30, v30, v43
	v_cndmask_b32_e32 v29, 0, v29, vcc
	v_cmp_nlt_f32_e32 vcc, s21, v14
	v_add_f32_e32 v30, v30, v39
	v_cvt_i32_f32_e32 v43, v43
	v_cndmask_b32_e32 v14, v41, v25, vcc
	v_cmp_nlt_f32_e32 vcc, s21, v22
	v_exp_f32_e32 v30, v30
	v_add_f32_e32 v14, 1.0, v14
	v_cndmask_b32_e32 v22, v41, v27, vcc
	v_cmp_nlt_f32_e32 vcc, s21, v23
	v_add_f32_e32 v25, 1.0, v22
	v_ldexp_f32 v30, v30, v43
	v_cndmask_b32_e32 v23, v41, v28, vcc
	v_cmp_nlt_f32_e32 vcc, s21, v24
	v_add_f32_e32 v27, 1.0, v23
	v_rcp_f32_e32 v23, v25
	v_cndmask_b32_e32 v24, v41, v29, vcc
	v_add_f32_e32 v28, 1.0, v24
	v_rcp_f32_e32 v24, v27
	v_mul_f32_e32 v27, 0xbfd9db23, v21
	v_rcp_f32_e32 v25, v28
	v_cmp_ngt_f32_e32 vcc, s20, v26
	v_mul_f32_e32 v28, 0x3fb8aa3b, v27
	v_rcp_f32_e32 v22, v14
	v_cndmask_b32_e32 v14, 0, v30, vcc
	v_fma_f32 v29, v27, s19, -v28
	v_rndne_f32_e32 v30, v28
	v_fmac_f32_e32 v29, 0x32a5705f, v27
	v_sub_f32_e32 v28, v28, v30
	v_add_f32_e32 v28, v28, v29
	v_exp_f32_e32 v28, v28
	v_cvt_i32_f32_e32 v29, v30
	v_cmp_nlt_f32_e32 vcc, s21, v26
	v_pk_mul_f32 v[12:13], v[12:13], v[22:23]
	v_pk_mul_f32 v[18:19], v[18:19], v[24:25]
	v_cndmask_b32_e32 v14, v41, v14, vcc
	v_add_f32_e32 v14, 1.0, v14
	v_rcp_f32_e32 v26, v14
	v_ldexp_f32 v14, v28, v29
	v_cmp_ngt_f32_e32 vcc, s20, v27
	s_nop 1
	v_cndmask_b32_e32 v14, 0, v14, vcc
	v_cmp_nlt_f32_e32 vcc, s21, v27
	s_nop 1
	v_cndmask_b32_e32 v14, v41, v14, vcc
	v_add_f32_e32 v14, 1.0, v14
	v_rcp_f32_e32 v27, v14
	v_lshlrev_b32_e32 v14, 16, v15
	v_max_f32_e32 v14, v14, v14
	v_min_f32_e32 v14, 0x40e00000, v14
	v_mul_f32_e32 v28, 0xbfd9db23, v14
	v_mul_f32_e32 v29, 0x3fb8aa3b, v28
	v_fma_f32 v30, v28, s19, -v29
	v_rndne_f32_e32 v31, v29
	v_fmac_f32_e32 v30, 0x32a5705f, v28
	v_sub_f32_e32 v29, v29, v31
	v_add_f32_e32 v29, v29, v30
	v_exp_f32_e32 v29, v29
	v_cvt_i32_f32_e32 v30, v31
	v_and_b32_e32 v15, 0xffff0000, v15
	v_max_f32_e32 v15, v15, v15
	v_min_f32_e32 v15, 0x40e00000, v15
	v_mul_f32_e32 v31, 0xbfd9db23, v15
	v_ldexp_f32 v29, v29, v30
	v_mul_f32_e32 v30, 0x3fb8aa3b, v31
	v_fma_f32 v32, v31, s19, -v30
	v_rndne_f32_e32 v33, v30
	v_fmac_f32_e32 v32, 0x32a5705f, v31
	v_sub_f32_e32 v30, v30, v33
	v_add_f32_e32 v30, v30, v32
	v_cmp_ngt_f32_e32 vcc, s20, v28
	v_exp_f32_e32 v32, v30
	v_cvt_i32_f32_e32 v33, v33
	v_cndmask_b32_e32 v29, 0, v29, vcc
	v_cmp_nlt_f32_e32 vcc, s21, v28
	v_pk_mul_f32 v[20:21], v[20:21], v[26:27]
	s_nop 0
	v_cndmask_b32_e32 v28, v41, v29, vcc
	v_add_f32_e32 v28, 1.0, v28
	v_rcp_f32_e32 v30, v28
	v_ldexp_f32 v28, v32, v33
	v_cmp_ngt_f32_e32 vcc, s20, v31
	s_nop 1
	v_cndmask_b32_e32 v28, 0, v28, vcc
	v_cmp_nlt_f32_e32 vcc, s21, v31
	s_nop 1
	v_cndmask_b32_e32 v28, v41, v28, vcc
	v_add_f32_e32 v28, 1.0, v28
	v_rcp_f32_e32 v31, v28
	s_waitcnt vmcnt(2)
	v_lshlrev_b32_e32 v28, 16, v8
	v_max_f32_e32 v28, v28, v28
	v_min_f32_e32 v28, 0x40e00000, v28
	v_mul_f32_e32 v32, 0xbfd9db23, v28
	v_mul_f32_e32 v29, 0x3fb8aa3b, v32
	v_fma_f32 v33, v32, s19, -v29
	v_rndne_f32_e32 v34, v29
	v_fmac_f32_e32 v33, 0x32a5705f, v32
	v_sub_f32_e32 v29, v29, v34
	v_add_f32_e32 v29, v29, v33
	v_exp_f32_e32 v33, v29
	v_cvt_i32_f32_e32 v34, v34
	v_and_b32_e32 v8, 0xffff0000, v8
	v_max_f32_e32 v8, v8, v8
	v_min_f32_e32 v29, 0x40e00000, v8
	v_ldexp_f32 v8, v33, v34
	v_mul_f32_e32 v33, 0xbfd9db23, v29
	v_mul_f32_e32 v34, 0x3fb8aa3b, v33
	v_fma_f32 v35, v33, s19, -v34
	v_rndne_f32_e32 v36, v34
	v_fmac_f32_e32 v35, 0x32a5705f, v33
	v_sub_f32_e32 v34, v34, v36
	v_add_f32_e32 v34, v34, v35
	v_cmp_ngt_f32_e32 vcc, s20, v32
	v_exp_f32_e32 v34, v34
	v_cvt_i32_f32_e32 v35, v36
	v_cndmask_b32_e32 v8, 0, v8, vcc
	v_cmp_nlt_f32_e32 vcc, s21, v32
	v_pk_mul_f32 v[14:15], v[14:15], v[30:31]
	s_nop 0
	v_cndmask_b32_e32 v8, v41, v8, vcc
	v_add_f32_e32 v8, 1.0, v8
	v_rcp_f32_e32 v32, v8
	v_ldexp_f32 v8, v34, v35
	v_cmp_ngt_f32_e32 vcc, s20, v33
	s_nop 1
	v_cndmask_b32_e32 v8, 0, v8, vcc
	v_cmp_nlt_f32_e32 vcc, s21, v33
	s_nop 1
	v_cndmask_b32_e32 v8, v41, v8, vcc
	v_add_f32_e32 v8, 1.0, v8
	v_rcp_f32_e32 v33, v8
	v_lshlrev_b32_e32 v8, 16, v9
	v_max_f32_e32 v8, v8, v8
	v_min_f32_e32 v8, 0x40e00000, v8
	v_mul_f32_e32 v34, 0xbfd9db23, v8
	v_mul_f32_e32 v35, 0x3fb8aa3b, v34
	v_fma_f32 v36, v34, s19, -v35
	v_rndne_f32_e32 v37, v35
	v_fmac_f32_e32 v36, 0x32a5705f, v34
	v_sub_f32_e32 v35, v35, v37
	v_add_f32_e32 v35, v35, v36
	v_exp_f32_e32 v35, v35
	v_cvt_i32_f32_e32 v36, v37
	v_and_b32_e32 v9, 0xffff0000, v9
	v_max_f32_e32 v9, v9, v9
	v_min_f32_e32 v9, 0x40e00000, v9
	v_ldexp_f32 v35, v35, v36
	v_mul_f32_e32 v36, 0xbfd9db23, v9
	v_mul_f32_e32 v37, 0x3fb8aa3b, v36
	v_fma_f32 v38, v36, s19, -v37
	v_rndne_f32_e32 v39, v37
	v_fmac_f32_e32 v38, 0x32a5705f, v36
	v_sub_f32_e32 v37, v37, v39
	v_add_f32_e32 v37, v37, v38
	v_exp_f32_e32 v37, v37
	v_cvt_i32_f32_e32 v38, v39
	v_cmp_ngt_f32_e32 vcc, s20, v34
	s_nop 1
	v_cndmask_b32_e32 v35, 0, v35, vcc
	v_cmp_nlt_f32_e32 vcc, s21, v34
	s_nop 1
	v_cndmask_b32_e32 v34, v41, v35, vcc
	v_ldexp_f32 v35, v37, v38
	v_cmp_ngt_f32_e32 vcc, s20, v36
	v_add_f32_e32 v34, 1.0, v34
	v_rcp_f32_e32 v34, v34
	v_cndmask_b32_e32 v35, 0, v35, vcc
	v_cmp_nlt_f32_e32 vcc, s21, v36
	v_lshlrev_b32_e32 v36, 16, v10
	v_max_f32_e32 v36, v36, v36
	v_min_f32_e32 v36, 0x40e00000, v36
	v_mul_f32_e32 v38, 0xbfd9db23, v36
	v_mul_f32_e32 v37, 0x3fb8aa3b, v38
	v_fma_f32 v39, v38, s19, -v37
	v_rndne_f32_e32 v43, v37
	v_fmac_f32_e32 v39, 0x32a5705f, v38
	v_sub_f32_e32 v37, v37, v43
	v_add_f32_e32 v37, v37, v39
	v_exp_f32_e32 v39, v37
	v_cvt_i32_f32_e32 v43, v43
	v_and_b32_e32 v10, 0xffff0000, v10
	v_max_f32_e32 v10, v10, v10
	v_min_f32_e32 v37, 0x40e00000, v10
	v_ldexp_f32 v10, v39, v43
	v_mul_f32_e32 v39, 0xbfd9db23, v37
	v_mul_f32_e32 v43, 0x3fb8aa3b, v39
	v_fma_f32 v44, v39, s19, -v43
	v_rndne_f32_e32 v45, v43
	v_fmac_f32_e32 v44, 0x32a5705f, v39
	v_sub_f32_e32 v43, v43, v45
	v_add_f32_e32 v43, v43, v44
	v_cndmask_b32_e32 v35, v41, v35, vcc
	v_cmp_ngt_f32_e32 vcc, s20, v38
	v_exp_f32_e32 v43, v43
	v_cvt_i32_f32_e32 v44, v45
	v_cndmask_b32_e32 v10, 0, v10, vcc
	v_cmp_nlt_f32_e32 vcc, s21, v38
	v_add_f32_e32 v35, 1.0, v35
	v_rcp_f32_e32 v35, v35
	v_cndmask_b32_e32 v10, v41, v10, vcc
	v_add_f32_e32 v10, 1.0, v10
	v_rcp_f32_e32 v38, v10
	v_ldexp_f32 v10, v43, v44
	v_cmp_ngt_f32_e32 vcc, s20, v39
	v_pk_mul_f32 v[8:9], v[8:9], v[34:35]
	s_nop 0
	v_cndmask_b32_e32 v10, 0, v10, vcc
	v_cmp_nlt_f32_e32 vcc, s21, v39
	s_nop 1
	v_cndmask_b32_e32 v10, v41, v10, vcc
	v_add_f32_e32 v10, 1.0, v10
	v_rcp_f32_e32 v39, v10
	v_lshlrev_b32_e32 v10, 16, v11
	v_max_f32_e32 v10, v10, v10
	v_min_f32_e32 v10, 0x40e00000, v10
	v_mul_f32_e32 v43, 0xbfd9db23, v10
	v_mul_f32_e32 v44, 0x3fb8aa3b, v43
	v_fma_f32 v45, v43, s19, -v44
	v_rndne_f32_e32 v46, v44
	v_fmac_f32_e32 v45, 0x32a5705f, v43
	v_sub_f32_e32 v44, v44, v46
	v_add_f32_e32 v44, v44, v45
	v_exp_f32_e32 v44, v44
	v_cvt_i32_f32_e32 v45, v46
	v_and_b32_e32 v11, 0xffff0000, v11
	v_max_f32_e32 v11, v11, v11
	v_min_f32_e32 v11, 0x40e00000, v11
	v_ldexp_f32 v44, v44, v45
	v_mul_f32_e32 v45, 0xbfd9db23, v11
	v_mul_f32_e32 v46, 0x3fb8aa3b, v45
	v_fma_f32 v47, v45, s19, -v46
	v_rndne_f32_e32 v48, v46
	v_fmac_f32_e32 v47, 0x32a5705f, v45
	v_sub_f32_e32 v46, v46, v48
	v_add_f32_e32 v46, v46, v47
	v_cmp_ngt_f32_e32 vcc, s20, v43
	v_exp_f32_e32 v46, v46
	v_cvt_i32_f32_e32 v47, v48
	v_cndmask_b32_e32 v44, 0, v44, vcc
	v_cmp_nlt_f32_e32 vcc, s21, v43
	s_waitcnt vmcnt(1)
	v_and_b32_e32 v48, 0xffff0000, v7
	v_lshlrev_b32_e32 v7, 16, v7
	v_cndmask_b32_e32 v43, v41, v44, vcc
	v_add_f32_e32 v43, 1.0, v43
	v_rcp_f32_e32 v44, v43
	v_ldexp_f32 v43, v46, v47
	v_cmp_ngt_f32_e32 vcc, s20, v45
	v_and_b32_e32 v46, 0xffff0000, v5
	v_lshlrev_b32_e32 v5, 16, v5
	v_cndmask_b32_e32 v43, 0, v43, vcc
	v_cmp_nlt_f32_e32 vcc, s21, v45
	v_and_b32_e32 v47, 0xffff0000, v6
	v_lshlrev_b32_e32 v6, 16, v6
	v_cndmask_b32_e32 v43, v41, v43, vcc
	v_add_f32_e32 v43, 1.0, v43
	v_rcp_f32_e32 v45, v43
	v_and_b32_e32 v43, 0xffff0000, v4
	v_lshlrev_b32_e32 v4, 16, v4
	v_max_f32_e32 v50, v7, v7
	v_max_f32_e32 v48, v48, v48
	;; [unrolled: 1-line block ×8, first 2 shown]
	v_med3_f32 v5, v5, s22, v42
	v_med3_f32 v4, v4, s22, v42
	;; [unrolled: 1-line block ×8, first 2 shown]
	v_pk_add_f32 v[48:49], v[48:49], 1.0 op_sel_hi:[1,0]
	v_pk_add_f32 v[46:47], v[46:47], 1.0 op_sel_hi:[1,0]
	;; [unrolled: 1-line block ×4, first 2 shown]
	v_pk_mul_f32 v[10:11], v[10:11], v[44:45]
	v_pk_mul_f32 v[12:13], v[4:5], v[12:13]
	;; [unrolled: 1-line block ×5, first 2 shown]
	v_perm_b32 v5, v5, v4, s23
	v_perm_b32 v7, v7, v6, s23
	;; [unrolled: 1-line block ×4, first 2 shown]
	buffer_store_dwordx4 v[4:7], v40, s[8:11], 0 offen
	v_pk_mul_f32 v[14:15], v[36:37], v[38:39]
	v_cmp_le_i64_e32 vcc, s[12:13], v[16:17]
	s_waitcnt vmcnt(1)
	v_and_b32_e32 v4, 0xffff0000, v0
	v_lshlrev_b32_e32 v0, 16, v0
	v_and_b32_e32 v5, 0xffff0000, v1
	v_lshlrev_b32_e32 v1, 16, v1
	;; [unrolled: 2-line block ×4, first 2 shown]
	v_max_f32_e32 v12, v3, v3
	v_max_f32_e32 v7, v7, v7
	v_max_f32_e32 v13, v2, v2
	v_max_f32_e32 v6, v6, v6
	v_max_f32_e32 v2, v1, v1
	v_max_f32_e32 v3, v5, v5
	v_max_f32_e32 v0, v0, v0
	v_max_f32_e32 v1, v4, v4
	v_med3_f32 v1, v1, s22, v42
	v_med3_f32 v0, v0, s22, v42
	v_med3_f32 v3, v3, s22, v42
	v_med3_f32 v2, v2, s22, v42
	v_med3_f32 v5, v6, s22, v42
	v_med3_f32 v4, v13, s22, v42
	v_med3_f32 v7, v7, s22, v42
	v_med3_f32 v6, v12, s22, v42
	v_pk_add_f32 v[6:7], v[6:7], 1.0 op_sel_hi:[1,0]
	v_pk_add_f32 v[4:5], v[4:5], 1.0 op_sel_hi:[1,0]
	;; [unrolled: 1-line block ×4, first 2 shown]
	v_pk_mul_f32 v[12:13], v[28:29], v[32:33]
	v_pk_mul_f32 v[4:5], v[4:5], v[14:15]
	;; [unrolled: 1-line block ×5, first 2 shown]
	v_perm_b32 v1, v1, v0, s23
	v_perm_b32 v3, v3, v2, s23
	;; [unrolled: 1-line block ×4, first 2 shown]
	buffer_store_dwordx4 v[0:3], v40, s[8:11], 16 offen
	s_or_b64 s[16:17], vcc, s[16:17]
	v_add_u32_e32 v40, s18, v40
	s_andn2_b64 exec, exec, s[16:17]
	s_cbranch_execnz .LBB77_2
.LBB77_3:
	s_endpgm
	.section	.rodata,"a",@progbits
	.p2align	6, 0x0
	.amdhsa_kernel _ZN5aiter25swiglu_act_and_mul_kernelIttLi16EEEvPT0_PKT_i
		.amdhsa_group_segment_fixed_size 0
		.amdhsa_private_segment_fixed_size 0
		.amdhsa_kernarg_size 280
		.amdhsa_user_sgpr_count 2
		.amdhsa_user_sgpr_dispatch_ptr 0
		.amdhsa_user_sgpr_queue_ptr 0
		.amdhsa_user_sgpr_kernarg_segment_ptr 1
		.amdhsa_user_sgpr_dispatch_id 0
		.amdhsa_user_sgpr_kernarg_preload_length 0
		.amdhsa_user_sgpr_kernarg_preload_offset 0
		.amdhsa_user_sgpr_private_segment_size 0
		.amdhsa_uses_dynamic_stack 0
		.amdhsa_enable_private_segment 0
		.amdhsa_system_sgpr_workgroup_id_x 1
		.amdhsa_system_sgpr_workgroup_id_y 0
		.amdhsa_system_sgpr_workgroup_id_z 0
		.amdhsa_system_sgpr_workgroup_info 0
		.amdhsa_system_vgpr_workitem_id 0
		.amdhsa_next_free_vgpr 51
		.amdhsa_next_free_sgpr 24
		.amdhsa_accum_offset 52
		.amdhsa_reserve_vcc 1
		.amdhsa_float_round_mode_32 0
		.amdhsa_float_round_mode_16_64 0
		.amdhsa_float_denorm_mode_32 3
		.amdhsa_float_denorm_mode_16_64 3
		.amdhsa_dx10_clamp 1
		.amdhsa_ieee_mode 1
		.amdhsa_fp16_overflow 0
		.amdhsa_tg_split 0
		.amdhsa_exception_fp_ieee_invalid_op 0
		.amdhsa_exception_fp_denorm_src 0
		.amdhsa_exception_fp_ieee_div_zero 0
		.amdhsa_exception_fp_ieee_overflow 0
		.amdhsa_exception_fp_ieee_underflow 0
		.amdhsa_exception_fp_ieee_inexact 0
		.amdhsa_exception_int_div_zero 0
	.end_amdhsa_kernel
	.section	.text._ZN5aiter25swiglu_act_and_mul_kernelIttLi16EEEvPT0_PKT_i,"axG",@progbits,_ZN5aiter25swiglu_act_and_mul_kernelIttLi16EEEvPT0_PKT_i,comdat
.Lfunc_end77:
	.size	_ZN5aiter25swiglu_act_and_mul_kernelIttLi16EEEvPT0_PKT_i, .Lfunc_end77-_ZN5aiter25swiglu_act_and_mul_kernelIttLi16EEEvPT0_PKT_i
                                        ; -- End function
	.section	.AMDGPU.csdata,"",@progbits
; Kernel info:
; codeLenInByte = 2580
; NumSgprs: 30
; NumVgprs: 51
; NumAgprs: 0
; TotalNumVgprs: 51
; ScratchSize: 0
; MemoryBound: 0
; FloatMode: 240
; IeeeMode: 1
; LDSByteSize: 0 bytes/workgroup (compile time only)
; SGPRBlocks: 3
; VGPRBlocks: 6
; NumSGPRsForWavesPerEU: 30
; NumVGPRsForWavesPerEU: 51
; AccumOffset: 52
; Occupancy: 8
; WaveLimiterHint : 0
; COMPUTE_PGM_RSRC2:SCRATCH_EN: 0
; COMPUTE_PGM_RSRC2:USER_SGPR: 2
; COMPUTE_PGM_RSRC2:TRAP_HANDLER: 0
; COMPUTE_PGM_RSRC2:TGID_X_EN: 1
; COMPUTE_PGM_RSRC2:TGID_Y_EN: 0
; COMPUTE_PGM_RSRC2:TGID_Z_EN: 0
; COMPUTE_PGM_RSRC2:TIDIG_COMP_CNT: 0
; COMPUTE_PGM_RSRC3_GFX90A:ACCUM_OFFSET: 12
; COMPUTE_PGM_RSRC3_GFX90A:TG_SPLIT: 0
	.section	.text._ZN5aiter25swiglu_act_and_mul_kernelIttLi8EEEvPT0_PKT_i,"axG",@progbits,_ZN5aiter25swiglu_act_and_mul_kernelIttLi8EEEvPT0_PKT_i,comdat
	.protected	_ZN5aiter25swiglu_act_and_mul_kernelIttLi8EEEvPT0_PKT_i ; -- Begin function _ZN5aiter25swiglu_act_and_mul_kernelIttLi8EEEvPT0_PKT_i
	.globl	_ZN5aiter25swiglu_act_and_mul_kernelIttLi8EEEvPT0_PKT_i
	.p2align	8
	.type	_ZN5aiter25swiglu_act_and_mul_kernelIttLi8EEEvPT0_PKT_i,@function
_ZN5aiter25swiglu_act_and_mul_kernelIttLi8EEEvPT0_PKT_i: ; @_ZN5aiter25swiglu_act_and_mul_kernelIttLi8EEEvPT0_PKT_i
; %bb.0:
	s_load_dword s12, s[0:1], 0x10
	v_lshlrev_b32_e32 v8, 3, v0
	s_waitcnt lgkmcnt(0)
	v_cmp_gt_i32_e32 vcc, s12, v8
	s_and_saveexec_b64 s[4:5], vcc
	s_cbranch_execz .LBB78_3
; %bb.1:
	s_load_dwordx4 s[8:11], s[0:1], 0x0
	s_load_dword s14, s[0:1], 0x24
	s_ashr_i32 s13, s12, 31
	s_mul_hi_u32 s3, s12, s2
	s_mul_i32 s4, s13, s2
	s_add_i32 s3, s3, s4
	s_mul_i32 s2, s12, s2
	s_lshl_b64 s[6:7], s[2:3], 1
	s_lshl_b64 s[2:3], s[2:3], 2
	s_waitcnt lgkmcnt(0)
	s_add_u32 s0, s10, s2
	s_addc_u32 s1, s11, s3
	s_lshl_b64 s[2:3], s[12:13], 1
	s_add_u32 s4, s0, s2
	s_addc_u32 s5, s1, s3
	s_add_i32 s2, s12, 1
	s_lshr_b32 s3, s2, 31
	s_add_i32 s2, s2, s3
	s_lshl_b32 s2, s2, 1
	s_and_b32 s2, s2, -4
	s_and_b32 s1, s1, 0xffff
	s_and_b32 s5, s5, 0xffff
	s_add_u32 s8, s8, s6
	s_addc_u32 s6, s9, s7
	s_mov_b32 s3, 0x20000
	s_and_b32 s9, s6, 0xffff
	s_and_b32 s6, s14, 0xffff
	s_mov_b32 s15, 0
	v_mov_b32_e32 v9, 0
	s_lshl_b32 s14, s6, 3
	v_lshlrev_b32_e32 v14, 4, v0
	s_lshl_b32 s18, s6, 4
	s_mov_b64 s[16:17], 0
	s_mov_b32 s6, s2
	s_mov_b32 s7, s3
	;; [unrolled: 1-line block ×5, first 2 shown]
	v_mov_b32_e32 v15, 0x7f800000
	s_mov_b32 s22, 0xc0e00000
	v_mov_b32_e32 v16, 0x40e00000
	s_mov_b32 s23, 0x7060302
	s_mov_b32 s10, s2
	;; [unrolled: 1-line block ×3, first 2 shown]
.LBB78_2:                               ; =>This Inner Loop Header: Depth=1
	buffer_load_dwordx4 v[4:7], v14, s[0:3], 0 offen
	buffer_load_dwordx4 v[0:3], v14, s[4:7], 0 offen
	v_lshl_add_u64 v[8:9], s[14:15], 0, v[8:9]
	s_waitcnt vmcnt(1)
	v_lshlrev_b32_e32 v10, 16, v4
	v_and_b32_e32 v4, 0xffff0000, v4
	v_lshlrev_b32_e32 v11, 16, v5
	v_and_b32_e32 v5, 0xffff0000, v5
	;; [unrolled: 2-line block ×3, first 2 shown]
	v_max_f32_e32 v4, v4, v4
	v_max_f32_e32 v10, v10, v10
	;; [unrolled: 1-line block ×4, first 2 shown]
	v_min_f32_e32 v5, 0x40e00000, v4
	v_min_f32_e32 v4, 0x40e00000, v10
	v_max_f32_e32 v17, v11, v11
	v_min_f32_e32 v11, 0x40e00000, v13
	v_min_f32_e32 v13, 0x40e00000, v6
	v_mul_f32_e32 v6, 0xbfd9db23, v4
	v_min_f32_e32 v10, 0x40e00000, v17
	v_mul_f32_e32 v17, 0xbfd9db23, v5
	v_mul_f32_e32 v20, 0x3fb8aa3b, v6
	v_max_f32_e32 v12, v12, v12
	v_mul_f32_e32 v18, 0xbfd9db23, v10
	v_mul_f32_e32 v21, 0x3fb8aa3b, v17
	v_fma_f32 v27, v6, s19, -v20
	v_rndne_f32_e32 v28, v20
	v_min_f32_e32 v12, 0x40e00000, v12
	v_mul_f32_e32 v19, 0xbfd9db23, v11
	v_mul_f32_e32 v24, 0x3fb8aa3b, v18
	v_fma_f32 v29, v17, s19, -v21
	v_rndne_f32_e32 v30, v21
	v_fmac_f32_e32 v27, 0x32a5705f, v6
	v_sub_f32_e32 v20, v20, v28
	v_mul_f32_e32 v22, 0xbfd9db23, v12
	v_mul_f32_e32 v25, 0x3fb8aa3b, v19
	v_fma_f32 v31, v18, s19, -v24
	v_rndne_f32_e32 v32, v24
	v_fmac_f32_e32 v29, 0x32a5705f, v17
	v_sub_f32_e32 v21, v21, v30
	v_add_f32_e32 v20, v20, v27
	v_mul_f32_e32 v26, 0x3fb8aa3b, v22
	v_fma_f32 v33, v19, s19, -v25
	v_rndne_f32_e32 v34, v25
	v_cvt_i32_f32_e32 v28, v28
	v_fmac_f32_e32 v31, 0x32a5705f, v18
	v_sub_f32_e32 v24, v24, v32
	v_add_f32_e32 v21, v21, v29
	v_exp_f32_e32 v20, v20
	v_fma_f32 v35, v22, s19, -v26
	v_rndne_f32_e32 v36, v26
	v_cvt_i32_f32_e32 v30, v30
	v_fmac_f32_e32 v33, 0x32a5705f, v19
	v_sub_f32_e32 v25, v25, v34
	v_add_f32_e32 v24, v24, v31
	v_exp_f32_e32 v21, v21
	v_cvt_i32_f32_e32 v32, v32
	v_fmac_f32_e32 v35, 0x32a5705f, v22
	v_sub_f32_e32 v26, v26, v36
	v_add_f32_e32 v25, v25, v33
	v_exp_f32_e32 v24, v24
	v_cvt_i32_f32_e32 v34, v34
	v_add_f32_e32 v26, v26, v35
	v_exp_f32_e32 v25, v25
	v_cvt_i32_f32_e32 v36, v36
	v_exp_f32_e32 v26, v26
	v_ldexp_f32 v20, v20, v28
	v_cmp_ngt_f32_e32 vcc, s20, v6
	v_ldexp_f32 v21, v21, v30
	v_ldexp_f32 v24, v24, v32
	v_cndmask_b32_e32 v20, 0, v20, vcc
	v_cmp_ngt_f32_e32 vcc, s20, v17
	v_ldexp_f32 v25, v25, v34
	v_ldexp_f32 v26, v26, v36
	v_cndmask_b32_e32 v21, 0, v21, vcc
	v_cmp_ngt_f32_e32 vcc, s20, v18
	v_mul_f32_e32 v23, 0xbfd9db23, v13
	s_nop 0
	v_cndmask_b32_e32 v24, 0, v24, vcc
	v_cmp_ngt_f32_e32 vcc, s20, v19
	s_nop 1
	v_cndmask_b32_e32 v25, 0, v25, vcc
	v_cmp_ngt_f32_e32 vcc, s20, v22
	s_nop 1
	v_cndmask_b32_e32 v26, 0, v26, vcc
	v_cmp_nlt_f32_e32 vcc, s21, v6
	s_nop 1
	v_cndmask_b32_e32 v6, v15, v20, vcc
	v_cmp_nlt_f32_e32 vcc, s21, v17
	v_add_f32_e32 v6, 1.0, v6
	s_nop 0
	v_cndmask_b32_e32 v17, v15, v21, vcc
	v_cmp_nlt_f32_e32 vcc, s21, v18
	v_add_f32_e32 v17, 1.0, v17
	;; [unrolled: 4-line block ×3, first 2 shown]
	v_rcp_f32_e32 v18, v6
	v_cndmask_b32_e32 v19, v15, v25, vcc
	v_mul_f32_e32 v6, 0x3fb8aa3b, v23
	v_add_f32_e32 v21, 1.0, v19
	v_rcp_f32_e32 v19, v17
	v_fma_f32 v17, v23, s19, -v6
	v_rndne_f32_e32 v24, v6
	v_fmac_f32_e32 v17, 0x32a5705f, v23
	v_sub_f32_e32 v6, v6, v24
	v_add_f32_e32 v6, v6, v17
	v_exp_f32_e32 v6, v6
	v_cvt_i32_f32_e32 v17, v24
	v_cmp_nlt_f32_e32 vcc, s21, v22
	v_rcp_f32_e32 v20, v20
	v_rcp_f32_e32 v21, v21
	v_cndmask_b32_e32 v22, v15, v26, vcc
	v_ldexp_f32 v6, v6, v17
	v_cmp_ngt_f32_e32 vcc, s20, v23
	v_add_f32_e32 v22, 1.0, v22
	v_rcp_f32_e32 v22, v22
	v_cndmask_b32_e32 v6, 0, v6, vcc
	v_cmp_nlt_f32_e32 vcc, s21, v23
	v_pk_mul_f32 v[4:5], v[4:5], v[18:19]
	v_pk_mul_f32 v[10:11], v[10:11], v[20:21]
	v_cndmask_b32_e32 v6, v15, v6, vcc
	v_add_f32_e32 v6, 1.0, v6
	v_rcp_f32_e32 v23, v6
	v_lshlrev_b32_e32 v6, 16, v7
	v_max_f32_e32 v6, v6, v6
	v_min_f32_e32 v6, 0x40e00000, v6
	v_mul_f32_e32 v17, 0xbfd9db23, v6
	v_mul_f32_e32 v24, 0x3fb8aa3b, v17
	v_fma_f32 v25, v17, s19, -v24
	v_rndne_f32_e32 v26, v24
	v_fmac_f32_e32 v25, 0x32a5705f, v17
	v_sub_f32_e32 v24, v24, v26
	v_add_f32_e32 v24, v24, v25
	v_exp_f32_e32 v24, v24
	v_cvt_i32_f32_e32 v25, v26
	v_and_b32_e32 v7, 0xffff0000, v7
	v_max_f32_e32 v7, v7, v7
	v_min_f32_e32 v7, 0x40e00000, v7
	v_ldexp_f32 v24, v24, v25
	v_mul_f32_e32 v25, 0xbfd9db23, v7
	v_mul_f32_e32 v26, 0x3fb8aa3b, v25
	v_fma_f32 v27, v25, s19, -v26
	v_rndne_f32_e32 v28, v26
	v_fmac_f32_e32 v27, 0x32a5705f, v25
	v_sub_f32_e32 v26, v26, v28
	v_add_f32_e32 v26, v26, v27
	v_cmp_ngt_f32_e32 vcc, s20, v17
	v_exp_f32_e32 v26, v26
	v_cvt_i32_f32_e32 v27, v28
	v_cndmask_b32_e32 v24, 0, v24, vcc
	v_cmp_nlt_f32_e32 vcc, s21, v17
	s_waitcnt vmcnt(0)
	v_and_b32_e32 v28, 0xffff0000, v3
	v_lshlrev_b32_e32 v3, 16, v3
	v_cndmask_b32_e32 v17, v15, v24, vcc
	v_add_f32_e32 v17, 1.0, v17
	v_rcp_f32_e32 v24, v17
	v_ldexp_f32 v17, v26, v27
	v_cmp_ngt_f32_e32 vcc, s20, v25
	v_and_b32_e32 v26, 0xffff0000, v1
	v_lshlrev_b32_e32 v1, 16, v1
	v_cndmask_b32_e32 v17, 0, v17, vcc
	v_cmp_nlt_f32_e32 vcc, s21, v25
	v_and_b32_e32 v27, 0xffff0000, v2
	v_lshlrev_b32_e32 v2, 16, v2
	v_cndmask_b32_e32 v17, v15, v17, vcc
	v_add_f32_e32 v17, 1.0, v17
	v_rcp_f32_e32 v25, v17
	v_and_b32_e32 v17, 0xffff0000, v0
	v_lshlrev_b32_e32 v0, 16, v0
	v_max_f32_e32 v30, v3, v3
	v_max_f32_e32 v28, v28, v28
	;; [unrolled: 1-line block ×8, first 2 shown]
	v_med3_f32 v1, v1, s22, v16
	v_med3_f32 v0, v0, s22, v16
	;; [unrolled: 1-line block ×8, first 2 shown]
	v_pk_add_f32 v[28:29], v[28:29], 1.0 op_sel_hi:[1,0]
	v_pk_add_f32 v[26:27], v[26:27], 1.0 op_sel_hi:[1,0]
	;; [unrolled: 1-line block ×4, first 2 shown]
	v_pk_mul_f32 v[12:13], v[12:13], v[22:23]
	v_pk_mul_f32 v[6:7], v[6:7], v[24:25]
	;; [unrolled: 1-line block ×6, first 2 shown]
	v_perm_b32 v1, v1, v0, s23
	v_perm_b32 v3, v3, v2, s23
	;; [unrolled: 1-line block ×4, first 2 shown]
	v_cmp_le_i64_e32 vcc, s[12:13], v[8:9]
	buffer_store_dwordx4 v[0:3], v14, s[8:11], 0 offen
	s_or_b64 s[16:17], vcc, s[16:17]
	v_add_u32_e32 v14, s18, v14
	s_andn2_b64 exec, exec, s[16:17]
	s_cbranch_execnz .LBB78_2
.LBB78_3:
	s_endpgm
	.section	.rodata,"a",@progbits
	.p2align	6, 0x0
	.amdhsa_kernel _ZN5aiter25swiglu_act_and_mul_kernelIttLi8EEEvPT0_PKT_i
		.amdhsa_group_segment_fixed_size 0
		.amdhsa_private_segment_fixed_size 0
		.amdhsa_kernarg_size 280
		.amdhsa_user_sgpr_count 2
		.amdhsa_user_sgpr_dispatch_ptr 0
		.amdhsa_user_sgpr_queue_ptr 0
		.amdhsa_user_sgpr_kernarg_segment_ptr 1
		.amdhsa_user_sgpr_dispatch_id 0
		.amdhsa_user_sgpr_kernarg_preload_length 0
		.amdhsa_user_sgpr_kernarg_preload_offset 0
		.amdhsa_user_sgpr_private_segment_size 0
		.amdhsa_uses_dynamic_stack 0
		.amdhsa_enable_private_segment 0
		.amdhsa_system_sgpr_workgroup_id_x 1
		.amdhsa_system_sgpr_workgroup_id_y 0
		.amdhsa_system_sgpr_workgroup_id_z 0
		.amdhsa_system_sgpr_workgroup_info 0
		.amdhsa_system_vgpr_workitem_id 0
		.amdhsa_next_free_vgpr 37
		.amdhsa_next_free_sgpr 24
		.amdhsa_accum_offset 40
		.amdhsa_reserve_vcc 1
		.amdhsa_float_round_mode_32 0
		.amdhsa_float_round_mode_16_64 0
		.amdhsa_float_denorm_mode_32 3
		.amdhsa_float_denorm_mode_16_64 3
		.amdhsa_dx10_clamp 1
		.amdhsa_ieee_mode 1
		.amdhsa_fp16_overflow 0
		.amdhsa_tg_split 0
		.amdhsa_exception_fp_ieee_invalid_op 0
		.amdhsa_exception_fp_denorm_src 0
		.amdhsa_exception_fp_ieee_div_zero 0
		.amdhsa_exception_fp_ieee_overflow 0
		.amdhsa_exception_fp_ieee_underflow 0
		.amdhsa_exception_fp_ieee_inexact 0
		.amdhsa_exception_int_div_zero 0
	.end_amdhsa_kernel
	.section	.text._ZN5aiter25swiglu_act_and_mul_kernelIttLi8EEEvPT0_PKT_i,"axG",@progbits,_ZN5aiter25swiglu_act_and_mul_kernelIttLi8EEEvPT0_PKT_i,comdat
.Lfunc_end78:
	.size	_ZN5aiter25swiglu_act_and_mul_kernelIttLi8EEEvPT0_PKT_i, .Lfunc_end78-_ZN5aiter25swiglu_act_and_mul_kernelIttLi8EEEvPT0_PKT_i
                                        ; -- End function
	.section	.AMDGPU.csdata,"",@progbits
; Kernel info:
; codeLenInByte = 1436
; NumSgprs: 30
; NumVgprs: 37
; NumAgprs: 0
; TotalNumVgprs: 37
; ScratchSize: 0
; MemoryBound: 0
; FloatMode: 240
; IeeeMode: 1
; LDSByteSize: 0 bytes/workgroup (compile time only)
; SGPRBlocks: 3
; VGPRBlocks: 4
; NumSGPRsForWavesPerEU: 30
; NumVGPRsForWavesPerEU: 37
; AccumOffset: 40
; Occupancy: 8
; WaveLimiterHint : 0
; COMPUTE_PGM_RSRC2:SCRATCH_EN: 0
; COMPUTE_PGM_RSRC2:USER_SGPR: 2
; COMPUTE_PGM_RSRC2:TRAP_HANDLER: 0
; COMPUTE_PGM_RSRC2:TGID_X_EN: 1
; COMPUTE_PGM_RSRC2:TGID_Y_EN: 0
; COMPUTE_PGM_RSRC2:TGID_Z_EN: 0
; COMPUTE_PGM_RSRC2:TIDIG_COMP_CNT: 0
; COMPUTE_PGM_RSRC3_GFX90A:ACCUM_OFFSET: 9
; COMPUTE_PGM_RSRC3_GFX90A:TG_SPLIT: 0
	.section	.text._ZN5aiter25swiglu_act_and_mul_kernelIttLi4EEEvPT0_PKT_i,"axG",@progbits,_ZN5aiter25swiglu_act_and_mul_kernelIttLi4EEEvPT0_PKT_i,comdat
	.protected	_ZN5aiter25swiglu_act_and_mul_kernelIttLi4EEEvPT0_PKT_i ; -- Begin function _ZN5aiter25swiglu_act_and_mul_kernelIttLi4EEEvPT0_PKT_i
	.globl	_ZN5aiter25swiglu_act_and_mul_kernelIttLi4EEEvPT0_PKT_i
	.p2align	8
	.type	_ZN5aiter25swiglu_act_and_mul_kernelIttLi4EEEvPT0_PKT_i,@function
_ZN5aiter25swiglu_act_and_mul_kernelIttLi4EEEvPT0_PKT_i: ; @_ZN5aiter25swiglu_act_and_mul_kernelIttLi4EEEvPT0_PKT_i
; %bb.0:
	s_load_dword s12, s[0:1], 0x10
	v_lshlrev_b32_e32 v2, 2, v0
	s_waitcnt lgkmcnt(0)
	v_cmp_gt_i32_e32 vcc, s12, v2
	s_and_saveexec_b64 s[4:5], vcc
	s_cbranch_execz .LBB79_3
; %bb.1:
	s_load_dwordx4 s[8:11], s[0:1], 0x0
	s_load_dword s14, s[0:1], 0x24
	s_ashr_i32 s13, s12, 31
	s_mul_hi_u32 s3, s12, s2
	s_mul_i32 s4, s13, s2
	s_add_i32 s3, s3, s4
	s_mul_i32 s2, s12, s2
	s_lshl_b64 s[6:7], s[2:3], 1
	s_lshl_b64 s[2:3], s[2:3], 2
	s_waitcnt lgkmcnt(0)
	s_add_u32 s0, s10, s2
	s_addc_u32 s1, s11, s3
	s_lshl_b64 s[2:3], s[12:13], 1
	s_add_u32 s4, s0, s2
	s_addc_u32 s5, s1, s3
	s_add_i32 s2, s12, 1
	s_lshr_b32 s3, s2, 31
	s_add_i32 s2, s2, s3
	s_lshl_b32 s2, s2, 1
	s_and_b32 s2, s2, -4
	s_and_b32 s1, s1, 0xffff
	s_and_b32 s5, s5, 0xffff
	s_add_u32 s8, s8, s6
	s_addc_u32 s6, s9, s7
	s_mov_b32 s3, 0x20000
	s_and_b32 s9, s6, 0xffff
	s_and_b32 s6, s14, 0xffff
	s_mov_b32 s15, 0
	v_mov_b32_e32 v3, 0
	s_lshl_b32 s14, s6, 2
	v_lshlrev_b32_e32 v0, 3, v0
	s_lshl_b32 s18, s6, 3
	s_mov_b64 s[16:17], 0
	s_mov_b32 s6, s2
	s_mov_b32 s7, s3
	;; [unrolled: 1-line block ×5, first 2 shown]
	v_mov_b32_e32 v1, 0x7f800000
	s_mov_b32 s22, 0xc0e00000
	v_mov_b32_e32 v4, 0x40e00000
	s_mov_b32 s23, 0x7060302
	s_mov_b32 s10, s2
	;; [unrolled: 1-line block ×3, first 2 shown]
.LBB79_2:                               ; =>This Inner Loop Header: Depth=1
	buffer_load_dwordx2 v[6:7], v0, s[0:3], 0 offen
	buffer_load_dwordx2 v[8:9], v0, s[4:7], 0 offen
	v_lshl_add_u64 v[2:3], s[14:15], 0, v[2:3]
	v_cmp_le_i64_e32 vcc, s[12:13], v[2:3]
	s_or_b64 s[16:17], vcc, s[16:17]
	s_waitcnt vmcnt(1)
	v_lshlrev_b32_e32 v5, 16, v6
	v_and_b32_e32 v6, 0xffff0000, v6
	v_lshlrev_b32_e32 v10, 16, v7
	v_and_b32_e32 v7, 0xffff0000, v7
	v_max_f32_e32 v6, v6, v6
	v_max_f32_e32 v5, v5, v5
	s_waitcnt vmcnt(0)
	v_and_b32_e32 v12, 0xffff0000, v9
	v_lshlrev_b32_e32 v9, 16, v9
	v_max_f32_e32 v13, v7, v7
	v_min_f32_e32 v7, 0x40e00000, v6
	v_min_f32_e32 v6, 0x40e00000, v5
	v_and_b32_e32 v11, 0xffff0000, v8
	v_lshlrev_b32_e32 v8, 16, v8
	v_max_f32_e32 v10, v10, v10
	v_max_f32_e32 v14, v9, v9
	;; [unrolled: 1-line block ×3, first 2 shown]
	v_mul_f32_e32 v5, 0xbfd9db23, v6
	v_max_f32_e32 v15, v8, v8
	v_min_f32_e32 v9, 0x40e00000, v13
	v_min_f32_e32 v8, 0x40e00000, v10
	v_med3_f32 v13, v12, s22, v4
	v_med3_f32 v12, v14, s22, v4
	v_mul_f32_e32 v14, 0xbfd9db23, v7
	v_mul_f32_e32 v17, 0x3fb8aa3b, v5
	v_med3_f32 v10, v15, s22, v4
	v_mul_f32_e32 v15, 0xbfd9db23, v8
	v_mul_f32_e32 v18, 0x3fb8aa3b, v14
	v_fma_f32 v21, v5, s19, -v17
	v_rndne_f32_e32 v22, v17
	v_mul_f32_e32 v16, 0xbfd9db23, v9
	v_mul_f32_e32 v19, 0x3fb8aa3b, v15
	v_fma_f32 v23, v14, s19, -v18
	v_rndne_f32_e32 v24, v18
	v_fmac_f32_e32 v21, 0x32a5705f, v5
	v_sub_f32_e32 v17, v17, v22
	v_mul_f32_e32 v20, 0x3fb8aa3b, v16
	v_fma_f32 v25, v15, s19, -v19
	v_rndne_f32_e32 v26, v19
	v_fmac_f32_e32 v23, 0x32a5705f, v14
	v_sub_f32_e32 v18, v18, v24
	v_add_f32_e32 v17, v17, v21
	v_fma_f32 v27, v16, s19, -v20
	v_rndne_f32_e32 v28, v20
	v_cvt_i32_f32_e32 v22, v22
	v_fmac_f32_e32 v25, 0x32a5705f, v15
	v_sub_f32_e32 v19, v19, v26
	v_add_f32_e32 v18, v18, v23
	v_exp_f32_e32 v17, v17
	v_cvt_i32_f32_e32 v24, v24
	v_fmac_f32_e32 v27, 0x32a5705f, v16
	v_sub_f32_e32 v20, v20, v28
	v_add_f32_e32 v19, v19, v25
	v_exp_f32_e32 v18, v18
	v_cvt_i32_f32_e32 v26, v26
	v_add_f32_e32 v20, v20, v27
	v_exp_f32_e32 v19, v19
	v_cvt_i32_f32_e32 v28, v28
	v_exp_f32_e32 v20, v20
	v_ldexp_f32 v17, v17, v22
	v_cmp_ngt_f32_e32 vcc, s20, v5
	v_ldexp_f32 v18, v18, v24
	v_ldexp_f32 v19, v19, v26
	v_cndmask_b32_e32 v17, 0, v17, vcc
	v_cmp_ngt_f32_e32 vcc, s20, v14
	v_ldexp_f32 v20, v20, v28
	v_max_f32_e32 v11, v11, v11
	v_cndmask_b32_e32 v18, 0, v18, vcc
	v_cmp_ngt_f32_e32 vcc, s20, v15
	v_med3_f32 v11, v11, s22, v4
	v_pk_add_f32 v[12:13], v[12:13], 1.0 op_sel_hi:[1,0]
	v_cndmask_b32_e32 v19, 0, v19, vcc
	v_cmp_ngt_f32_e32 vcc, s20, v16
	v_pk_add_f32 v[10:11], v[10:11], 1.0 op_sel_hi:[1,0]
	s_nop 0
	v_cndmask_b32_e32 v20, 0, v20, vcc
	v_cmp_nlt_f32_e32 vcc, s21, v5
	s_nop 1
	v_cndmask_b32_e32 v5, v1, v17, vcc
	v_cmp_nlt_f32_e32 vcc, s21, v14
	v_add_f32_e32 v5, 1.0, v5
	s_nop 0
	v_cndmask_b32_e32 v14, v1, v18, vcc
	v_cmp_nlt_f32_e32 vcc, s21, v15
	v_add_f32_e32 v17, 1.0, v14
	v_rcp_f32_e32 v14, v5
	v_cndmask_b32_e32 v15, v1, v19, vcc
	v_cmp_nlt_f32_e32 vcc, s21, v16
	v_add_f32_e32 v18, 1.0, v15
	v_rcp_f32_e32 v15, v17
	v_cndmask_b32_e32 v16, v1, v20, vcc
	v_add_f32_e32 v19, 1.0, v16
	v_rcp_f32_e32 v16, v18
	v_rcp_f32_e32 v17, v19
	v_pk_mul_f32 v[6:7], v[6:7], v[14:15]
	v_pk_mul_f32 v[8:9], v[8:9], v[16:17]
	;; [unrolled: 1-line block ×4, first 2 shown]
	s_nop 0
	v_perm_b32 v9, v9, v8, s23
	v_perm_b32 v8, v7, v6, s23
	buffer_store_dwordx2 v[8:9], v0, s[8:11], 0 offen
	v_add_u32_e32 v0, s18, v0
	s_andn2_b64 exec, exec, s[16:17]
	s_cbranch_execnz .LBB79_2
.LBB79_3:
	s_endpgm
	.section	.rodata,"a",@progbits
	.p2align	6, 0x0
	.amdhsa_kernel _ZN5aiter25swiglu_act_and_mul_kernelIttLi4EEEvPT0_PKT_i
		.amdhsa_group_segment_fixed_size 0
		.amdhsa_private_segment_fixed_size 0
		.amdhsa_kernarg_size 280
		.amdhsa_user_sgpr_count 2
		.amdhsa_user_sgpr_dispatch_ptr 0
		.amdhsa_user_sgpr_queue_ptr 0
		.amdhsa_user_sgpr_kernarg_segment_ptr 1
		.amdhsa_user_sgpr_dispatch_id 0
		.amdhsa_user_sgpr_kernarg_preload_length 0
		.amdhsa_user_sgpr_kernarg_preload_offset 0
		.amdhsa_user_sgpr_private_segment_size 0
		.amdhsa_uses_dynamic_stack 0
		.amdhsa_enable_private_segment 0
		.amdhsa_system_sgpr_workgroup_id_x 1
		.amdhsa_system_sgpr_workgroup_id_y 0
		.amdhsa_system_sgpr_workgroup_id_z 0
		.amdhsa_system_sgpr_workgroup_info 0
		.amdhsa_system_vgpr_workitem_id 0
		.amdhsa_next_free_vgpr 29
		.amdhsa_next_free_sgpr 24
		.amdhsa_accum_offset 32
		.amdhsa_reserve_vcc 1
		.amdhsa_float_round_mode_32 0
		.amdhsa_float_round_mode_16_64 0
		.amdhsa_float_denorm_mode_32 3
		.amdhsa_float_denorm_mode_16_64 3
		.amdhsa_dx10_clamp 1
		.amdhsa_ieee_mode 1
		.amdhsa_fp16_overflow 0
		.amdhsa_tg_split 0
		.amdhsa_exception_fp_ieee_invalid_op 0
		.amdhsa_exception_fp_denorm_src 0
		.amdhsa_exception_fp_ieee_div_zero 0
		.amdhsa_exception_fp_ieee_overflow 0
		.amdhsa_exception_fp_ieee_underflow 0
		.amdhsa_exception_fp_ieee_inexact 0
		.amdhsa_exception_int_div_zero 0
	.end_amdhsa_kernel
	.section	.text._ZN5aiter25swiglu_act_and_mul_kernelIttLi4EEEvPT0_PKT_i,"axG",@progbits,_ZN5aiter25swiglu_act_and_mul_kernelIttLi4EEEvPT0_PKT_i,comdat
.Lfunc_end79:
	.size	_ZN5aiter25swiglu_act_and_mul_kernelIttLi4EEEvPT0_PKT_i, .Lfunc_end79-_ZN5aiter25swiglu_act_and_mul_kernelIttLi4EEEvPT0_PKT_i
                                        ; -- End function
	.section	.AMDGPU.csdata,"",@progbits
; Kernel info:
; codeLenInByte = 884
; NumSgprs: 30
; NumVgprs: 29
; NumAgprs: 0
; TotalNumVgprs: 29
; ScratchSize: 0
; MemoryBound: 0
; FloatMode: 240
; IeeeMode: 1
; LDSByteSize: 0 bytes/workgroup (compile time only)
; SGPRBlocks: 3
; VGPRBlocks: 3
; NumSGPRsForWavesPerEU: 30
; NumVGPRsForWavesPerEU: 29
; AccumOffset: 32
; Occupancy: 8
; WaveLimiterHint : 0
; COMPUTE_PGM_RSRC2:SCRATCH_EN: 0
; COMPUTE_PGM_RSRC2:USER_SGPR: 2
; COMPUTE_PGM_RSRC2:TRAP_HANDLER: 0
; COMPUTE_PGM_RSRC2:TGID_X_EN: 1
; COMPUTE_PGM_RSRC2:TGID_Y_EN: 0
; COMPUTE_PGM_RSRC2:TGID_Z_EN: 0
; COMPUTE_PGM_RSRC2:TIDIG_COMP_CNT: 0
; COMPUTE_PGM_RSRC3_GFX90A:ACCUM_OFFSET: 7
; COMPUTE_PGM_RSRC3_GFX90A:TG_SPLIT: 0
	.section	.text._ZN5aiter25swiglu_act_and_mul_kernelIttLi2EEEvPT0_PKT_i,"axG",@progbits,_ZN5aiter25swiglu_act_and_mul_kernelIttLi2EEEvPT0_PKT_i,comdat
	.protected	_ZN5aiter25swiglu_act_and_mul_kernelIttLi2EEEvPT0_PKT_i ; -- Begin function _ZN5aiter25swiglu_act_and_mul_kernelIttLi2EEEvPT0_PKT_i
	.globl	_ZN5aiter25swiglu_act_and_mul_kernelIttLi2EEEvPT0_PKT_i
	.p2align	8
	.type	_ZN5aiter25swiglu_act_and_mul_kernelIttLi2EEEvPT0_PKT_i,@function
_ZN5aiter25swiglu_act_and_mul_kernelIttLi2EEEvPT0_PKT_i: ; @_ZN5aiter25swiglu_act_and_mul_kernelIttLi2EEEvPT0_PKT_i
; %bb.0:
	s_load_dword s12, s[0:1], 0x10
	v_lshlrev_b32_e32 v2, 1, v0
	s_waitcnt lgkmcnt(0)
	v_cmp_gt_i32_e32 vcc, s12, v2
	s_and_saveexec_b64 s[4:5], vcc
	s_cbranch_execz .LBB80_3
; %bb.1:
	s_load_dwordx4 s[8:11], s[0:1], 0x0
	s_load_dword s14, s[0:1], 0x24
	s_ashr_i32 s13, s12, 31
	s_mul_hi_u32 s3, s12, s2
	s_mul_i32 s4, s13, s2
	s_add_i32 s3, s3, s4
	s_mul_i32 s2, s12, s2
	s_lshl_b64 s[6:7], s[2:3], 1
	s_lshl_b64 s[2:3], s[2:3], 2
	s_waitcnt lgkmcnt(0)
	s_add_u32 s0, s10, s2
	s_addc_u32 s1, s11, s3
	s_lshl_b64 s[2:3], s[12:13], 1
	s_add_u32 s4, s0, s2
	s_addc_u32 s5, s1, s3
	s_add_i32 s2, s12, 1
	s_lshr_b32 s3, s2, 31
	s_add_i32 s2, s2, s3
	s_lshl_b32 s2, s2, 1
	s_and_b32 s2, s2, -4
	s_and_b32 s1, s1, 0xffff
	s_and_b32 s5, s5, 0xffff
	s_add_u32 s8, s8, s6
	s_addc_u32 s6, s9, s7
	s_mov_b32 s3, 0x20000
	s_and_b32 s9, s6, 0xffff
	s_and_b32 s6, s14, 0xffff
	s_mov_b32 s15, 0
	v_mov_b32_e32 v3, 0
	s_lshl_b32 s14, s6, 1
	v_lshlrev_b32_e32 v0, 2, v0
	s_lshl_b32 s18, s6, 2
	s_mov_b64 s[16:17], 0
	s_mov_b32 s6, s2
	s_mov_b32 s7, s3
	;; [unrolled: 1-line block ×5, first 2 shown]
	v_mov_b32_e32 v1, 0x7f800000
	s_mov_b32 s22, 0xc0e00000
	v_mov_b32_e32 v4, 0x40e00000
	s_mov_b32 s23, 0x7060302
	s_mov_b32 s10, s2
	;; [unrolled: 1-line block ×3, first 2 shown]
.LBB80_2:                               ; =>This Inner Loop Header: Depth=1
	buffer_load_dword v5, v0, s[0:3], 0 offen
	buffer_load_dword v6, v0, s[4:7], 0 offen
	v_lshl_add_u64 v[2:3], s[14:15], 0, v[2:3]
	v_cmp_le_i64_e32 vcc, s[12:13], v[2:3]
	s_or_b64 s[16:17], vcc, s[16:17]
	s_waitcnt vmcnt(1)
	v_lshlrev_b32_e32 v7, 16, v5
	s_waitcnt vmcnt(0)
	v_lshlrev_b32_e32 v8, 16, v6
	v_and_b32_e32 v5, 0xffff0000, v5
	v_and_b32_e32 v9, 0xffff0000, v6
	v_max_f32_e32 v6, v7, v7
	v_max_f32_e32 v5, v5, v5
	v_min_f32_e32 v6, 0x40e00000, v6
	v_min_f32_e32 v7, 0x40e00000, v5
	v_mul_f32_e32 v5, 0xbfd9db23, v6
	v_mul_f32_e32 v10, 0xbfd9db23, v7
	;; [unrolled: 1-line block ×4, first 2 shown]
	v_fma_f32 v13, v5, s19, -v11
	v_rndne_f32_e32 v14, v11
	v_fma_f32 v15, v10, s19, -v12
	v_rndne_f32_e32 v16, v12
	v_fmac_f32_e32 v13, 0x32a5705f, v5
	v_sub_f32_e32 v11, v11, v14
	v_fmac_f32_e32 v15, 0x32a5705f, v10
	v_sub_f32_e32 v12, v12, v16
	v_add_f32_e32 v11, v11, v13
	v_cvt_i32_f32_e32 v14, v14
	v_add_f32_e32 v12, v12, v15
	v_exp_f32_e32 v11, v11
	v_cvt_i32_f32_e32 v16, v16
	v_exp_f32_e32 v12, v12
	v_max_f32_e32 v13, v8, v8
	v_ldexp_f32 v8, v11, v14
	v_cmp_ngt_f32_e32 vcc, s20, v5
	v_max_f32_e32 v15, v9, v9
	v_ldexp_f32 v9, v12, v16
	v_cndmask_b32_e32 v8, 0, v8, vcc
	v_cmp_ngt_f32_e32 vcc, s20, v10
	v_med3_f32 v11, v15, s22, v4
	s_nop 0
	v_cndmask_b32_e32 v9, 0, v9, vcc
	v_cmp_nlt_f32_e32 vcc, s21, v5
	s_nop 1
	v_cndmask_b32_e32 v5, v1, v8, vcc
	v_cmp_nlt_f32_e32 vcc, s21, v10
	v_add_f32_e32 v5, 1.0, v5
	v_med3_f32 v10, v13, s22, v4
	v_cndmask_b32_e32 v8, v1, v9, vcc
	v_add_f32_e32 v9, 1.0, v8
	v_rcp_f32_e32 v8, v5
	v_rcp_f32_e32 v9, v9
	v_pk_add_f32 v[10:11], v[10:11], 1.0 op_sel_hi:[1,0]
	v_pk_mul_f32 v[6:7], v[6:7], v[8:9]
	s_nop 0
	v_pk_mul_f32 v[6:7], v[10:11], v[6:7]
	s_nop 0
	v_perm_b32 v5, v7, v6, s23
	buffer_store_dword v5, v0, s[8:11], 0 offen
	v_add_u32_e32 v0, s18, v0
	s_andn2_b64 exec, exec, s[16:17]
	s_cbranch_execnz .LBB80_2
.LBB80_3:
	s_endpgm
	.section	.rodata,"a",@progbits
	.p2align	6, 0x0
	.amdhsa_kernel _ZN5aiter25swiglu_act_and_mul_kernelIttLi2EEEvPT0_PKT_i
		.amdhsa_group_segment_fixed_size 0
		.amdhsa_private_segment_fixed_size 0
		.amdhsa_kernarg_size 280
		.amdhsa_user_sgpr_count 2
		.amdhsa_user_sgpr_dispatch_ptr 0
		.amdhsa_user_sgpr_queue_ptr 0
		.amdhsa_user_sgpr_kernarg_segment_ptr 1
		.amdhsa_user_sgpr_dispatch_id 0
		.amdhsa_user_sgpr_kernarg_preload_length 0
		.amdhsa_user_sgpr_kernarg_preload_offset 0
		.amdhsa_user_sgpr_private_segment_size 0
		.amdhsa_uses_dynamic_stack 0
		.amdhsa_enable_private_segment 0
		.amdhsa_system_sgpr_workgroup_id_x 1
		.amdhsa_system_sgpr_workgroup_id_y 0
		.amdhsa_system_sgpr_workgroup_id_z 0
		.amdhsa_system_sgpr_workgroup_info 0
		.amdhsa_system_vgpr_workitem_id 0
		.amdhsa_next_free_vgpr 17
		.amdhsa_next_free_sgpr 24
		.amdhsa_accum_offset 20
		.amdhsa_reserve_vcc 1
		.amdhsa_float_round_mode_32 0
		.amdhsa_float_round_mode_16_64 0
		.amdhsa_float_denorm_mode_32 3
		.amdhsa_float_denorm_mode_16_64 3
		.amdhsa_dx10_clamp 1
		.amdhsa_ieee_mode 1
		.amdhsa_fp16_overflow 0
		.amdhsa_tg_split 0
		.amdhsa_exception_fp_ieee_invalid_op 0
		.amdhsa_exception_fp_denorm_src 0
		.amdhsa_exception_fp_ieee_div_zero 0
		.amdhsa_exception_fp_ieee_overflow 0
		.amdhsa_exception_fp_ieee_underflow 0
		.amdhsa_exception_fp_ieee_inexact 0
		.amdhsa_exception_int_div_zero 0
	.end_amdhsa_kernel
	.section	.text._ZN5aiter25swiglu_act_and_mul_kernelIttLi2EEEvPT0_PKT_i,"axG",@progbits,_ZN5aiter25swiglu_act_and_mul_kernelIttLi2EEEvPT0_PKT_i,comdat
.Lfunc_end80:
	.size	_ZN5aiter25swiglu_act_and_mul_kernelIttLi2EEEvPT0_PKT_i, .Lfunc_end80-_ZN5aiter25swiglu_act_and_mul_kernelIttLi2EEEvPT0_PKT_i
                                        ; -- End function
	.section	.AMDGPU.csdata,"",@progbits
; Kernel info:
; codeLenInByte = 612
; NumSgprs: 30
; NumVgprs: 17
; NumAgprs: 0
; TotalNumVgprs: 17
; ScratchSize: 0
; MemoryBound: 0
; FloatMode: 240
; IeeeMode: 1
; LDSByteSize: 0 bytes/workgroup (compile time only)
; SGPRBlocks: 3
; VGPRBlocks: 2
; NumSGPRsForWavesPerEU: 30
; NumVGPRsForWavesPerEU: 17
; AccumOffset: 20
; Occupancy: 8
; WaveLimiterHint : 0
; COMPUTE_PGM_RSRC2:SCRATCH_EN: 0
; COMPUTE_PGM_RSRC2:USER_SGPR: 2
; COMPUTE_PGM_RSRC2:TRAP_HANDLER: 0
; COMPUTE_PGM_RSRC2:TGID_X_EN: 1
; COMPUTE_PGM_RSRC2:TGID_Y_EN: 0
; COMPUTE_PGM_RSRC2:TGID_Z_EN: 0
; COMPUTE_PGM_RSRC2:TIDIG_COMP_CNT: 0
; COMPUTE_PGM_RSRC3_GFX90A:ACCUM_OFFSET: 4
; COMPUTE_PGM_RSRC3_GFX90A:TG_SPLIT: 0
	.section	.text._ZN5aiter25swiglu_act_and_mul_kernelIttLi1EEEvPT0_PKT_i,"axG",@progbits,_ZN5aiter25swiglu_act_and_mul_kernelIttLi1EEEvPT0_PKT_i,comdat
	.protected	_ZN5aiter25swiglu_act_and_mul_kernelIttLi1EEEvPT0_PKT_i ; -- Begin function _ZN5aiter25swiglu_act_and_mul_kernelIttLi1EEEvPT0_PKT_i
	.globl	_ZN5aiter25swiglu_act_and_mul_kernelIttLi1EEEvPT0_PKT_i
	.p2align	8
	.type	_ZN5aiter25swiglu_act_and_mul_kernelIttLi1EEEvPT0_PKT_i,@function
_ZN5aiter25swiglu_act_and_mul_kernelIttLi1EEEvPT0_PKT_i: ; @_ZN5aiter25swiglu_act_and_mul_kernelIttLi1EEEvPT0_PKT_i
; %bb.0:
	s_load_dword s12, s[0:1], 0x10
	s_waitcnt lgkmcnt(0)
	v_cmp_gt_i32_e32 vcc, s12, v0
	s_and_saveexec_b64 s[4:5], vcc
	s_cbranch_execz .LBB81_3
; %bb.1:
	s_load_dwordx4 s[8:11], s[0:1], 0x0
	s_load_dword s14, s[0:1], 0x24
	s_ashr_i32 s13, s12, 31
	s_mul_hi_u32 s3, s12, s2
	s_mul_i32 s4, s13, s2
	s_add_i32 s3, s3, s4
	s_mul_i32 s2, s12, s2
	s_lshl_b64 s[6:7], s[2:3], 1
	s_lshl_b64 s[2:3], s[2:3], 2
	s_waitcnt lgkmcnt(0)
	s_add_u32 s0, s10, s2
	s_addc_u32 s1, s11, s3
	s_lshl_b64 s[2:3], s[12:13], 1
	s_add_u32 s4, s0, s2
	s_addc_u32 s5, s1, s3
	s_add_i32 s2, s12, 1
	s_lshr_b32 s3, s2, 31
	s_add_i32 s2, s2, s3
	s_lshl_b32 s2, s2, 1
	s_and_b32 s2, s2, -4
	s_and_b32 s1, s1, 0xffff
	s_and_b32 s5, s5, 0xffff
	s_add_u32 s8, s8, s6
	s_mov_b32 s3, 0x20000
	s_addc_u32 s6, s9, s7
	s_and_b32 s14, s14, 0xffff
	s_and_b32 s9, s6, 0xffff
	s_mov_b32 s15, 0
	v_mov_b32_e32 v1, 0
	v_lshlrev_b32_e32 v2, 1, v0
	s_lshl_b32 s18, s14, 1
	s_mov_b64 s[16:17], 0
	s_mov_b32 s6, s2
	s_mov_b32 s7, s3
	;; [unrolled: 1-line block ×5, first 2 shown]
	v_mov_b32_e32 v3, 0x7f800000
	s_mov_b32 s10, s2
	s_mov_b32 s11, s3
.LBB81_2:                               ; =>This Inner Loop Header: Depth=1
	buffer_load_ushort v4, v2, s[0:3], 0 offen
	buffer_load_ushort v5, v2, s[4:7], 0 offen
	v_lshl_add_u64 v[0:1], v[0:1], 0, s[14:15]
	v_cmp_le_i64_e32 vcc, s[12:13], v[0:1]
	s_or_b64 s[16:17], vcc, s[16:17]
	s_waitcnt vmcnt(1)
	v_lshlrev_b32_e32 v4, 16, v4
	v_max_f32_e32 v4, v4, v4
	v_min_f32_e32 v4, 0x40e00000, v4
	v_mul_f32_e32 v6, 0xbfd9db23, v4
	v_mul_f32_e32 v7, 0x3fb8aa3b, v6
	v_fma_f32 v8, v6, s19, -v7
	v_rndne_f32_e32 v9, v7
	v_fmac_f32_e32 v8, 0x32a5705f, v6
	v_sub_f32_e32 v7, v7, v9
	v_add_f32_e32 v7, v7, v8
	v_cvt_i32_f32_e32 v9, v9
	v_exp_f32_e32 v7, v7
	v_cmp_ngt_f32_e32 vcc, s20, v6
	s_waitcnt vmcnt(0)
	v_lshlrev_b32_e32 v5, 16, v5
	v_max_f32_e32 v5, v5, v5
	v_ldexp_f32 v7, v7, v9
	v_cndmask_b32_e32 v7, 0, v7, vcc
	v_cmp_nlt_f32_e32 vcc, s21, v6
	v_max_f32_e32 v5, 0xc0e00000, v5
	v_min_f32_e32 v5, 0x40e00000, v5
	v_cndmask_b32_e32 v6, v3, v7, vcc
	v_add_f32_e32 v6, 1.0, v6
	v_rcp_f32_e32 v6, v6
	v_add_f32_e32 v5, 1.0, v5
	v_mul_f32_e32 v4, v4, v6
	v_mul_f32_e32 v4, v5, v4
	v_lshrrev_b32_e32 v4, 16, v4
	buffer_store_short v4, v2, s[8:11], 0 offen
	v_add_u32_e32 v2, s18, v2
	s_andn2_b64 exec, exec, s[16:17]
	s_cbranch_execnz .LBB81_2
.LBB81_3:
	s_endpgm
	.section	.rodata,"a",@progbits
	.p2align	6, 0x0
	.amdhsa_kernel _ZN5aiter25swiglu_act_and_mul_kernelIttLi1EEEvPT0_PKT_i
		.amdhsa_group_segment_fixed_size 0
		.amdhsa_private_segment_fixed_size 0
		.amdhsa_kernarg_size 280
		.amdhsa_user_sgpr_count 2
		.amdhsa_user_sgpr_dispatch_ptr 0
		.amdhsa_user_sgpr_queue_ptr 0
		.amdhsa_user_sgpr_kernarg_segment_ptr 1
		.amdhsa_user_sgpr_dispatch_id 0
		.amdhsa_user_sgpr_kernarg_preload_length 0
		.amdhsa_user_sgpr_kernarg_preload_offset 0
		.amdhsa_user_sgpr_private_segment_size 0
		.amdhsa_uses_dynamic_stack 0
		.amdhsa_enable_private_segment 0
		.amdhsa_system_sgpr_workgroup_id_x 1
		.amdhsa_system_sgpr_workgroup_id_y 0
		.amdhsa_system_sgpr_workgroup_id_z 0
		.amdhsa_system_sgpr_workgroup_info 0
		.amdhsa_system_vgpr_workitem_id 0
		.amdhsa_next_free_vgpr 10
		.amdhsa_next_free_sgpr 22
		.amdhsa_accum_offset 12
		.amdhsa_reserve_vcc 1
		.amdhsa_float_round_mode_32 0
		.amdhsa_float_round_mode_16_64 0
		.amdhsa_float_denorm_mode_32 3
		.amdhsa_float_denorm_mode_16_64 3
		.amdhsa_dx10_clamp 1
		.amdhsa_ieee_mode 1
		.amdhsa_fp16_overflow 0
		.amdhsa_tg_split 0
		.amdhsa_exception_fp_ieee_invalid_op 0
		.amdhsa_exception_fp_denorm_src 0
		.amdhsa_exception_fp_ieee_div_zero 0
		.amdhsa_exception_fp_ieee_overflow 0
		.amdhsa_exception_fp_ieee_underflow 0
		.amdhsa_exception_fp_ieee_inexact 0
		.amdhsa_exception_int_div_zero 0
	.end_amdhsa_kernel
	.section	.text._ZN5aiter25swiglu_act_and_mul_kernelIttLi1EEEvPT0_PKT_i,"axG",@progbits,_ZN5aiter25swiglu_act_and_mul_kernelIttLi1EEEvPT0_PKT_i,comdat
.Lfunc_end81:
	.size	_ZN5aiter25swiglu_act_and_mul_kernelIttLi1EEEvPT0_PKT_i, .Lfunc_end81-_ZN5aiter25swiglu_act_and_mul_kernelIttLi1EEEvPT0_PKT_i
                                        ; -- End function
	.section	.AMDGPU.csdata,"",@progbits
; Kernel info:
; codeLenInByte = 432
; NumSgprs: 28
; NumVgprs: 10
; NumAgprs: 0
; TotalNumVgprs: 10
; ScratchSize: 0
; MemoryBound: 0
; FloatMode: 240
; IeeeMode: 1
; LDSByteSize: 0 bytes/workgroup (compile time only)
; SGPRBlocks: 3
; VGPRBlocks: 1
; NumSGPRsForWavesPerEU: 28
; NumVGPRsForWavesPerEU: 10
; AccumOffset: 12
; Occupancy: 8
; WaveLimiterHint : 0
; COMPUTE_PGM_RSRC2:SCRATCH_EN: 0
; COMPUTE_PGM_RSRC2:USER_SGPR: 2
; COMPUTE_PGM_RSRC2:TRAP_HANDLER: 0
; COMPUTE_PGM_RSRC2:TGID_X_EN: 1
; COMPUTE_PGM_RSRC2:TGID_Y_EN: 0
; COMPUTE_PGM_RSRC2:TGID_Z_EN: 0
; COMPUTE_PGM_RSRC2:TIDIG_COMP_CNT: 0
; COMPUTE_PGM_RSRC3_GFX90A:ACCUM_OFFSET: 2
; COMPUTE_PGM_RSRC3_GFX90A:TG_SPLIT: 0
	.section	.text._ZN5aiter23act_and_mul_bias_kernelIfthfTnPFfRKT2_EXadL_ZNS_11silu_kernelIfEEfRKT_EELi16EEEvPT0_PS8_PKT1_PS2_il,"axG",@progbits,_ZN5aiter23act_and_mul_bias_kernelIfthfTnPFfRKT2_EXadL_ZNS_11silu_kernelIfEEfRKT_EELi16EEEvPT0_PS8_PKT1_PS2_il,comdat
	.protected	_ZN5aiter23act_and_mul_bias_kernelIfthfTnPFfRKT2_EXadL_ZNS_11silu_kernelIfEEfRKT_EELi16EEEvPT0_PS8_PKT1_PS2_il ; -- Begin function _ZN5aiter23act_and_mul_bias_kernelIfthfTnPFfRKT2_EXadL_ZNS_11silu_kernelIfEEfRKT_EELi16EEEvPT0_PS8_PKT1_PS2_il
	.globl	_ZN5aiter23act_and_mul_bias_kernelIfthfTnPFfRKT2_EXadL_ZNS_11silu_kernelIfEEfRKT_EELi16EEEvPT0_PS8_PKT1_PS2_il
	.p2align	8
	.type	_ZN5aiter23act_and_mul_bias_kernelIfthfTnPFfRKT2_EXadL_ZNS_11silu_kernelIfEEfRKT_EELi16EEEvPT0_PS8_PKT1_PS2_il,@function
_ZN5aiter23act_and_mul_bias_kernelIfthfTnPFfRKT2_EXadL_ZNS_11silu_kernelIfEEfRKT_EELi16EEEvPT0_PS8_PKT1_PS2_il: ; @_ZN5aiter23act_and_mul_bias_kernelIfthfTnPFfRKT2_EXadL_ZNS_11silu_kernelIfEEfRKT_EELi16EEEvPT0_PS8_PKT1_PS2_il
; %bb.0:
	s_load_dwordx2 s[4:5], s[0:1], 0x10
	s_load_dword s30, s[0:1], 0x20
	s_load_dwordx2 s[8:9], s[0:1], 0x28
	v_mov_b32_e32 v1, s2
	s_load_dwordx2 s[10:11], s[0:1], 0x0
	s_waitcnt lgkmcnt(0)
	global_load_ubyte v1, v1, s[4:5]
	s_ashr_i32 s31, s30, 31
	s_mul_hi_u32 s3, s30, s2
	s_mul_i32 s4, s31, s2
	s_mul_i32 s12, s30, s2
	s_add_i32 s13, s3, s4
	v_mov_b64_e32 v[2:3], s[8:9]
	s_lshl_b64 s[8:9], s[12:13], 1
	s_mov_b32 s5, 0
	s_mov_b64 s[6:7], -1
	v_lshlrev_b32_e32 v52, 4, v0
	s_waitcnt vmcnt(0)
	v_readfirstlane_b32 s3, v1
	s_and_b32 s4, s3, 0xffff
	s_add_u32 s36, s10, s8
	v_cmp_lt_i64_e32 vcc, s[4:5], v[2:3]
	s_addc_u32 s3, s11, s9
	s_add_i32 s5, s30, 1
	s_lshr_b32 s8, s5, 31
	s_add_i32 s5, s5, s8
	s_and_b32 s37, s3, 0xffff
	s_lshl_b32 s3, s5, 1
	s_and_b32 s38, s3, -4
	s_cbranch_vccnz .LBB82_5
; %bb.1:
	v_cmp_gt_i32_e32 vcc, s30, v52
	s_and_saveexec_b64 s[6:7], vcc
	s_cbranch_execz .LBB82_4
; %bb.2:
	s_load_dword s3, s[0:1], 0x3c
	s_mov_b32 s9, 0
	s_mov_b32 s12, s9
	;; [unrolled: 1-line block ×3, first 2 shown]
	v_mov_b32_e32 v53, 0
	v_lshlrev_b32_e32 v6, 5, v0
	s_waitcnt lgkmcnt(0)
	s_and_b32 s3, s3, 0xffff
	s_mov_b32 s14, s9
	s_mov_b32 s15, s9
	v_mov_b64_e32 v[0:1], s[12:13]
	s_lshl_b32 s8, s3, 4
	s_lshl_b32 s3, s3, 5
	s_mov_b64 s[10:11], 0
	s_mov_b32 s39, 0x20000
	v_mov_b64_e32 v[2:3], s[14:15]
	v_mov_b64_e32 v[4:5], v[52:53]
.LBB82_3:                               ; =>This Inner Loop Header: Depth=1
	v_lshl_add_u64 v[4:5], s[8:9], 0, v[4:5]
	v_cmp_le_i64_e32 vcc, s[30:31], v[4:5]
	buffer_store_dwordx4 v[0:3], v6, s[36:39], 0 offen
	buffer_store_dwordx4 v[0:3], v6, s[36:39], 16 offen
	s_or_b64 s[10:11], vcc, s[10:11]
	v_add_u32_e32 v6, s3, v6
	s_andn2_b64 exec, exec, s[10:11]
	s_cbranch_execnz .LBB82_3
.LBB82_4:
	s_or_b64 exec, exec, s[6:7]
	s_mov_b64 s[6:7], 0
.LBB82_5:
	s_andn2_b64 vcc, exec, s[6:7]
	s_cbranch_vccnz .LBB82_9
; %bb.6:
	v_cmp_gt_i32_e32 vcc, s30, v52
	s_and_saveexec_b64 s[6:7], vcc
	s_cbranch_execz .LBB82_9
; %bb.7:
	s_load_dwordx2 s[6:7], s[0:1], 0x8
	s_load_dwordx2 s[8:9], s[0:1], 0x18
	s_mul_hi_i32 s5, s30, s4
	s_mul_i32 s4, s30, s4
	s_lshl_b32 s42, s30, 2
	s_lshl_b64 s[4:5], s[4:5], 3
	s_waitcnt lgkmcnt(0)
	s_add_u32 s44, s8, s4
	s_addc_u32 s3, s9, s5
	s_lshl_b64 s[4:5], s[30:31], 2
	s_add_u32 s40, s44, s4
	s_addc_u32 s8, s3, s5
	s_and_b32 s45, s3, 0xffff
	s_and_b32 s41, s8, 0xffff
	s_mul_i32 s3, s2, s31
	s_mul_hi_u32 s8, s2, s30
	s_add_i32 s3, s8, s3
	s_mul_i32 s2, s2, s30
	s_lshl_b64 s[2:3], s[2:3], 3
	s_add_u32 s48, s6, s2
	s_addc_u32 s2, s7, s3
	s_add_u32 s52, s48, s4
	s_addc_u32 s3, s2, s5
	s_and_b32 s49, s2, 0xffff
	s_and_b32 s53, s3, 0xffff
	s_mov_b32 s39, 0x20000
	s_add_u32 s34, s0, 48
	s_mov_b32 s43, s39
	v_mov_b32_e32 v53, 0
	s_addc_u32 s35, s1, 0
	s_mov_b64 s[56:57], 0
	s_mov_b32 s50, s42
	s_mov_b32 s51, s39
	s_mov_b32 s59, 0
	s_mov_b32 s33, 0xbfb8aa3b
	s_mov_b32 s60, 0x42ce8ed0
	s_mov_b32 s61, 0xc2b17218
	v_mov_b32_e32 v54, 0x7f800000
	s_mov_b32 s62, 0x7060302
	s_mov_b32 s54, s42
	;; [unrolled: 1-line block ×5, first 2 shown]
.LBB82_8:                               ; =>This Inner Loop Header: Depth=1
	v_lshlrev_b32_e32 v55, 2, v52
	buffer_load_dwordx4 v[24:27], v55, s[40:43], 0 offen
	buffer_load_dwordx4 v[36:39], v55, s[52:55], 0 offen
	;; [unrolled: 1-line block ×15, first 2 shown]
	s_waitcnt vmcnt(13)
	v_pk_add_f32 v[38:39], v[38:39], v[26:27]
	v_pk_add_f32 v[36:37], v[36:37], v[24:25]
	buffer_load_dwordx4 v[24:27], v55, s[44:47], 48 offen
	s_waitcnt vmcnt(11)
	v_pk_add_f32 v[28:29], v[28:29], v[44:45]
	s_waitcnt vmcnt(10)
	v_pk_add_f32 v[32:33], v[48:49], v[32:33]
	v_pk_add_f32 v[34:35], v[50:51], v[34:35]
	s_waitcnt vmcnt(8)
	v_pk_add_f32 v[42:43], v[42:43], v[58:59]
	v_pk_add_f32 v[40:41], v[40:41], v[56:57]
	;; [unrolled: 1-line block ×3, first 2 shown]
	v_cmp_nlt_f32_e32 vcc, s60, v34
	s_waitcnt vmcnt(4)
	v_pk_add_f32 v[6:7], v[6:7], v[22:23]
	s_waitcnt vmcnt(3)
	v_pk_add_f32 v[2:3], v[2:3], v[14:15]
	;; [unrolled: 2-line block ×3, first 2 shown]
	v_pk_add_f32 v[4:5], v[4:5], v[20:21]
	v_pk_add_f32 v[0:1], v[0:1], v[12:13]
	v_mul_f32_e32 v20, 0xbfb8aa3b, v40
	v_mul_f32_e32 v21, 0xbfb8aa3b, v41
	;; [unrolled: 1-line block ×4, first 2 shown]
	v_pk_add_f32 v[10:11], v[62:63], v[10:11]
	v_fma_f32 v59, v40, s33, -v20
	v_rndne_f32_e32 v60, v20
	v_fma_f32 v61, v41, s33, -v21
	v_rndne_f32_e32 v62, v21
	;; [unrolled: 2-line block ×4, first 2 shown]
	v_fmac_f32_e32 v59, 0xb2a5705f, v40
	v_sub_f32_e32 v20, v20, v60
	v_fmac_f32_e32 v61, 0xb2a5705f, v41
	v_sub_f32_e32 v21, v21, v62
	;; [unrolled: 2-line block ×4, first 2 shown]
	v_add_f32_e32 v20, v20, v59
	v_add_f32_e32 v21, v21, v61
	;; [unrolled: 1-line block ×4, first 2 shown]
	v_cvt_i32_f32_e32 v60, v60
	v_cvt_i32_f32_e32 v62, v62
	;; [unrolled: 1-line block ×4, first 2 shown]
	v_exp_f32_e32 v20, v20
	v_exp_f32_e32 v21, v21
	;; [unrolled: 1-line block ×4, first 2 shown]
	v_ldexp_f32 v20, v20, v60
	v_ldexp_f32 v21, v21, v62
	;; [unrolled: 1-line block ×4, first 2 shown]
	v_cmp_nlt_f32_e64 s[0:1], s60, v35
	v_cmp_nlt_f32_e64 s[2:3], s60, v40
	;; [unrolled: 1-line block ×11, first 2 shown]
	v_cndmask_b32_e64 v20, 0, v20, s[2:3]
	v_cmp_ngt_f32_e64 s[2:3], s61, v40
	v_cndmask_b32_e64 v21, 0, v21, s[4:5]
	v_cmp_ngt_f32_e64 s[4:5], s61, v41
	v_cndmask_b32_e64 v22, 0, v22, s[6:7]
	v_cmp_ngt_f32_e64 s[6:7], s61, v42
	v_cndmask_b32_e64 v23, 0, v23, s[8:9]
	v_cmp_ngt_f32_e64 s[8:9], s61, v43
	v_cndmask_b32_e64 v20, v54, v20, s[2:3]
	v_cndmask_b32_e64 v21, v54, v21, s[4:5]
	;; [unrolled: 1-line block ×4, first 2 shown]
	v_add_f32_e32 v20, 1.0, v20
	v_add_f32_e32 v21, 1.0, v21
	;; [unrolled: 1-line block ×4, first 2 shown]
	v_rcp_f32_e32 v20, v20
	v_rcp_f32_e32 v21, v21
	v_rcp_f32_e32 v22, v22
	s_waitcnt vmcnt(0)
	v_pk_add_f32 v[14:15], v[16:17], v[24:25]
	v_mul_f32_e32 v16, 0xbfb8aa3b, v32
	v_fma_f32 v48, v32, s33, -v16
	v_rndne_f32_e32 v49, v16
	v_pk_add_f32 v[12:13], v[18:19], v[26:27]
	v_mul_f32_e32 v17, 0xbfb8aa3b, v33
	v_mul_f32_e32 v18, 0xbfb8aa3b, v34
	;; [unrolled: 1-line block ×4, first 2 shown]
	v_fmac_f32_e32 v48, 0xb2a5705f, v32
	v_sub_f32_e32 v16, v16, v49
	v_fma_f32 v50, v33, s33, -v17
	v_rndne_f32_e32 v51, v17
	v_fma_f32 v55, v34, s33, -v18
	v_rndne_f32_e32 v56, v18
	;; [unrolled: 2-line block ×3, first 2 shown]
	v_fma_f32 v67, v8, s33, -v24
	v_add_f32_e32 v16, v16, v48
	v_rndne_f32_e32 v48, v24
	v_mul_f32_e32 v25, 0xbfb8aa3b, v9
	v_mul_f32_e32 v26, 0xbfb8aa3b, v10
	v_mul_f32_e32 v27, 0xbfb8aa3b, v11
	v_mul_f32_e32 v44, 0xbfb8aa3b, v14
	v_fmac_f32_e32 v50, 0xb2a5705f, v33
	v_sub_f32_e32 v17, v17, v51
	v_fmac_f32_e32 v55, 0xb2a5705f, v34
	v_sub_f32_e32 v18, v18, v56
	;; [unrolled: 2-line block ×4, first 2 shown]
	v_add_f32_e32 v17, v17, v50
	v_fma_f32 v50, v9, s33, -v25
	v_add_f32_e32 v18, v18, v55
	v_rndne_f32_e32 v55, v25
	v_add_f32_e32 v19, v19, v57
	v_fma_f32 v57, v10, s33, -v26
	v_rndne_f32_e32 v59, v26
	v_fma_f32 v61, v11, s33, -v27
	v_rndne_f32_e32 v63, v27
	v_fma_f32 v65, v14, s33, -v44
	v_add_f32_e32 v24, v24, v67
	v_rndne_f32_e32 v67, v44
	v_mul_f32_e32 v45, 0xbfb8aa3b, v15
	v_mul_f32_e32 v46, 0xbfb8aa3b, v12
	v_fmac_f32_e32 v50, 0xb2a5705f, v9
	v_sub_f32_e32 v25, v25, v55
	v_fmac_f32_e32 v57, 0xb2a5705f, v10
	v_sub_f32_e32 v26, v26, v59
	;; [unrolled: 2-line block ×4, first 2 shown]
	v_add_f32_e32 v25, v25, v50
	v_fma_f32 v50, v15, s33, -v45
	v_add_f32_e32 v26, v26, v57
	v_rndne_f32_e32 v57, v45
	v_add_f32_e32 v27, v27, v61
	v_fma_f32 v61, v12, s33, -v46
	v_add_f32_e32 v44, v44, v65
	v_rndne_f32_e32 v65, v46
	v_mul_f32_e32 v47, 0xbfb8aa3b, v13
	v_fmac_f32_e32 v50, 0xb2a5705f, v15
	v_sub_f32_e32 v45, v45, v57
	v_fmac_f32_e32 v61, 0xb2a5705f, v12
	v_sub_f32_e32 v46, v46, v65
	v_add_f32_e32 v45, v45, v50
	v_fma_f32 v50, v13, s33, -v47
	v_add_f32_e32 v46, v46, v61
	v_rndne_f32_e32 v61, v47
	v_fmac_f32_e32 v50, 0xb2a5705f, v13
	v_sub_f32_e32 v47, v47, v61
	v_add_f32_e32 v47, v47, v50
	v_cvt_i32_f32_e32 v49, v49
	v_cvt_i32_f32_e32 v51, v51
	;; [unrolled: 1-line block ×8, first 2 shown]
	v_exp_f32_e32 v16, v16
	v_exp_f32_e32 v17, v17
	;; [unrolled: 1-line block ×8, first 2 shown]
	v_cvt_i32_f32_e32 v67, v67
	v_cvt_i32_f32_e32 v57, v57
	;; [unrolled: 1-line block ×4, first 2 shown]
	v_exp_f32_e32 v44, v44
	v_exp_f32_e32 v45, v45
	;; [unrolled: 1-line block ×4, first 2 shown]
	v_ldexp_f32 v16, v16, v49
	v_ldexp_f32 v17, v17, v51
	;; [unrolled: 1-line block ×11, first 2 shown]
	v_cmp_nlt_f32_e64 s[18:19], s60, v14
	v_cmp_nlt_f32_e64 s[20:21], s60, v15
	;; [unrolled: 1-line block ×3, first 2 shown]
	v_ldexp_f32 v47, v47, v61
	v_cmp_nlt_f32_e64 s[24:25], s60, v13
	v_cndmask_b32_e64 v17, 0, v17, s[28:29]
	v_cmp_ngt_f32_e64 s[28:29], s61, v33
	v_cndmask_b32_e32 v18, 0, v18, vcc
	v_cmp_ngt_f32_e32 vcc, s61, v34
	v_cndmask_b32_e64 v16, 0, v16, s[26:27]
	v_cndmask_b32_e64 v19, 0, v19, s[0:1]
	v_cmp_ngt_f32_e64 s[0:1], s61, v35
	v_cndmask_b32_e64 v24, 0, v24, s[10:11]
	v_cmp_ngt_f32_e64 s[10:11], s61, v8
	;; [unrolled: 2-line block ×5, first 2 shown]
	v_cmp_ngt_f32_e64 s[26:27], s61, v32
	v_cndmask_b32_e64 v44, 0, v44, s[18:19]
	v_cmp_ngt_f32_e64 s[18:19], s61, v14
	v_cndmask_b32_e64 v45, 0, v45, s[20:21]
	;; [unrolled: 2-line block ×5, first 2 shown]
	v_cndmask_b32_e64 v17, v54, v17, s[28:29]
	v_cndmask_b32_e32 v18, v54, v18, vcc
	v_cndmask_b32_e64 v19, v54, v19, s[0:1]
	v_cndmask_b32_e64 v24, v54, v24, s[10:11]
	;; [unrolled: 1-line block ×9, first 2 shown]
	v_add_f32_e32 v16, 1.0, v16
	v_add_f32_e32 v17, 1.0, v17
	;; [unrolled: 1-line block ×12, first 2 shown]
	v_rcp_f32_e32 v16, v16
	v_rcp_f32_e32 v17, v17
	;; [unrolled: 1-line block ×13, first 2 shown]
	v_pk_mul_f32 v[16:17], v[32:33], v[16:17]
	v_pk_mul_f32 v[18:19], v[34:35], v[18:19]
	v_pk_mul_f32 v[20:21], v[40:41], v[20:21]
	v_pk_mul_f32 v[22:23], v[42:43], v[22:23]
	v_pk_mul_f32 v[8:9], v[8:9], v[24:25]
	v_pk_mul_f32 v[10:11], v[10:11], v[26:27]
	v_pk_mul_f32 v[14:15], v[14:15], v[44:45]
	v_pk_mul_f32 v[12:13], v[12:13], v[46:47]
	;;#ASMSTART
	v_pk_mul_f32 v[16:17], v[16:17], v[36:37]
	;;#ASMEND
	;;#ASMSTART
	v_pk_mul_f32 v[18:19], v[18:19], v[38:39]
	;;#ASMEND
	;;#ASMSTART
	v_pk_mul_f32 v[20:21], v[20:21], v[28:29]
	;;#ASMEND
	;;#ASMSTART
	v_pk_mul_f32 v[22:23], v[22:23], v[30:31]
	;;#ASMEND
	;;#ASMSTART
	v_pk_mul_f32 v[8:9], v[8:9], v[4:5]
	;;#ASMEND
	;;#ASMSTART
	v_pk_mul_f32 v[4:5], v[10:11], v[6:7]
	;;#ASMEND
	;;#ASMSTART
	v_pk_mul_f32 v[10:11], v[14:15], v[0:1]
	;;#ASMEND
	s_nop 0
	;;#ASMSTART
	v_pk_mul_f32 v[6:7], v[12:13], v[2:3]
	;;#ASMEND
	s_load_dword s0, s[34:35], 0xc
	v_lshlrev_b32_e32 v50, 1, v52
	v_perm_b32 v1, v19, v18, s62
	v_perm_b32 v3, v23, v22, s62
	;; [unrolled: 1-line block ×3, first 2 shown]
	s_waitcnt lgkmcnt(0)
	s_and_b32 s0, s0, 0xffff
	s_lshl_b32 s58, s0, 4
	v_lshl_add_u64 v[52:53], s[58:59], 0, v[52:53]
	v_cmp_le_i64_e32 vcc, s[30:31], v[52:53]
	v_perm_b32 v2, v21, v20, s62
	v_perm_b32 v5, v5, v4, s62
	;; [unrolled: 1-line block ×5, first 2 shown]
	s_or_b64 s[56:57], vcc, s[56:57]
	buffer_store_dwordx4 v[0:3], v50, s[36:39], 0 offen
	buffer_store_dwordx4 v[4:7], v50, s[36:39], 16 offen
	s_andn2_b64 exec, exec, s[56:57]
	s_cbranch_execnz .LBB82_8
.LBB82_9:
	s_endpgm
	.section	.rodata,"a",@progbits
	.p2align	6, 0x0
	.amdhsa_kernel _ZN5aiter23act_and_mul_bias_kernelIfthfTnPFfRKT2_EXadL_ZNS_11silu_kernelIfEEfRKT_EELi16EEEvPT0_PS8_PKT1_PS2_il
		.amdhsa_group_segment_fixed_size 0
		.amdhsa_private_segment_fixed_size 0
		.amdhsa_kernarg_size 304
		.amdhsa_user_sgpr_count 2
		.amdhsa_user_sgpr_dispatch_ptr 0
		.amdhsa_user_sgpr_queue_ptr 0
		.amdhsa_user_sgpr_kernarg_segment_ptr 1
		.amdhsa_user_sgpr_dispatch_id 0
		.amdhsa_user_sgpr_kernarg_preload_length 0
		.amdhsa_user_sgpr_kernarg_preload_offset 0
		.amdhsa_user_sgpr_private_segment_size 0
		.amdhsa_uses_dynamic_stack 0
		.amdhsa_enable_private_segment 0
		.amdhsa_system_sgpr_workgroup_id_x 1
		.amdhsa_system_sgpr_workgroup_id_y 0
		.amdhsa_system_sgpr_workgroup_id_z 0
		.amdhsa_system_sgpr_workgroup_info 0
		.amdhsa_system_vgpr_workitem_id 0
		.amdhsa_next_free_vgpr 68
		.amdhsa_next_free_sgpr 63
		.amdhsa_accum_offset 68
		.amdhsa_reserve_vcc 1
		.amdhsa_float_round_mode_32 0
		.amdhsa_float_round_mode_16_64 0
		.amdhsa_float_denorm_mode_32 3
		.amdhsa_float_denorm_mode_16_64 3
		.amdhsa_dx10_clamp 1
		.amdhsa_ieee_mode 1
		.amdhsa_fp16_overflow 0
		.amdhsa_tg_split 0
		.amdhsa_exception_fp_ieee_invalid_op 0
		.amdhsa_exception_fp_denorm_src 0
		.amdhsa_exception_fp_ieee_div_zero 0
		.amdhsa_exception_fp_ieee_overflow 0
		.amdhsa_exception_fp_ieee_underflow 0
		.amdhsa_exception_fp_ieee_inexact 0
		.amdhsa_exception_int_div_zero 0
	.end_amdhsa_kernel
	.section	.text._ZN5aiter23act_and_mul_bias_kernelIfthfTnPFfRKT2_EXadL_ZNS_11silu_kernelIfEEfRKT_EELi16EEEvPT0_PS8_PKT1_PS2_il,"axG",@progbits,_ZN5aiter23act_and_mul_bias_kernelIfthfTnPFfRKT2_EXadL_ZNS_11silu_kernelIfEEfRKT_EELi16EEEvPT0_PS8_PKT1_PS2_il,comdat
.Lfunc_end82:
	.size	_ZN5aiter23act_and_mul_bias_kernelIfthfTnPFfRKT2_EXadL_ZNS_11silu_kernelIfEEfRKT_EELi16EEEvPT0_PS8_PKT1_PS2_il, .Lfunc_end82-_ZN5aiter23act_and_mul_bias_kernelIfthfTnPFfRKT2_EXadL_ZNS_11silu_kernelIfEEfRKT_EELi16EEEvPT0_PS8_PKT1_PS2_il
                                        ; -- End function
	.section	.AMDGPU.csdata,"",@progbits
; Kernel info:
; codeLenInByte = 2548
; NumSgprs: 69
; NumVgprs: 68
; NumAgprs: 0
; TotalNumVgprs: 68
; ScratchSize: 0
; MemoryBound: 0
; FloatMode: 240
; IeeeMode: 1
; LDSByteSize: 0 bytes/workgroup (compile time only)
; SGPRBlocks: 8
; VGPRBlocks: 8
; NumSGPRsForWavesPerEU: 69
; NumVGPRsForWavesPerEU: 68
; AccumOffset: 68
; Occupancy: 7
; WaveLimiterHint : 0
; COMPUTE_PGM_RSRC2:SCRATCH_EN: 0
; COMPUTE_PGM_RSRC2:USER_SGPR: 2
; COMPUTE_PGM_RSRC2:TRAP_HANDLER: 0
; COMPUTE_PGM_RSRC2:TGID_X_EN: 1
; COMPUTE_PGM_RSRC2:TGID_Y_EN: 0
; COMPUTE_PGM_RSRC2:TGID_Z_EN: 0
; COMPUTE_PGM_RSRC2:TIDIG_COMP_CNT: 0
; COMPUTE_PGM_RSRC3_GFX90A:ACCUM_OFFSET: 16
; COMPUTE_PGM_RSRC3_GFX90A:TG_SPLIT: 0
	.section	.text._ZN5aiter23act_and_mul_bias_kernelIfthfTnPFfRKT2_EXadL_ZNS_11silu_kernelIfEEfRKT_EELi8EEEvPT0_PS8_PKT1_PS2_il,"axG",@progbits,_ZN5aiter23act_and_mul_bias_kernelIfthfTnPFfRKT2_EXadL_ZNS_11silu_kernelIfEEfRKT_EELi8EEEvPT0_PS8_PKT1_PS2_il,comdat
	.protected	_ZN5aiter23act_and_mul_bias_kernelIfthfTnPFfRKT2_EXadL_ZNS_11silu_kernelIfEEfRKT_EELi8EEEvPT0_PS8_PKT1_PS2_il ; -- Begin function _ZN5aiter23act_and_mul_bias_kernelIfthfTnPFfRKT2_EXadL_ZNS_11silu_kernelIfEEfRKT_EELi8EEEvPT0_PS8_PKT1_PS2_il
	.globl	_ZN5aiter23act_and_mul_bias_kernelIfthfTnPFfRKT2_EXadL_ZNS_11silu_kernelIfEEfRKT_EELi8EEEvPT0_PS8_PKT1_PS2_il
	.p2align	8
	.type	_ZN5aiter23act_and_mul_bias_kernelIfthfTnPFfRKT2_EXadL_ZNS_11silu_kernelIfEEfRKT_EELi8EEEvPT0_PS8_PKT1_PS2_il,@function
_ZN5aiter23act_and_mul_bias_kernelIfthfTnPFfRKT2_EXadL_ZNS_11silu_kernelIfEEfRKT_EELi8EEEvPT0_PS8_PKT1_PS2_il: ; @_ZN5aiter23act_and_mul_bias_kernelIfthfTnPFfRKT2_EXadL_ZNS_11silu_kernelIfEEfRKT_EELi8EEEvPT0_PS8_PKT1_PS2_il
; %bb.0:
	s_load_dwordx2 s[4:5], s[0:1], 0x10
	s_load_dword s14, s[0:1], 0x20
	s_load_dwordx2 s[8:9], s[0:1], 0x28
	v_mov_b32_e32 v1, s2
	s_load_dwordx2 s[10:11], s[0:1], 0x0
	s_waitcnt lgkmcnt(0)
	global_load_ubyte v1, v1, s[4:5]
	s_ashr_i32 s15, s14, 31
	s_mul_hi_u32 s3, s14, s2
	s_mul_i32 s4, s15, s2
	s_mul_i32 s12, s14, s2
	s_add_i32 s13, s3, s4
	v_mov_b64_e32 v[2:3], s[8:9]
	s_lshl_b64 s[8:9], s[12:13], 1
	s_mov_b32 s5, 0
	s_mov_b64 s[6:7], -1
	v_lshlrev_b32_e32 v4, 3, v0
	s_waitcnt vmcnt(0)
	v_readfirstlane_b32 s3, v1
	s_and_b32 s4, s3, 0xffff
	s_add_u32 s16, s10, s8
	v_cmp_lt_i64_e32 vcc, s[4:5], v[2:3]
	s_addc_u32 s3, s11, s9
	s_add_i32 s5, s14, 1
	s_lshr_b32 s8, s5, 31
	s_add_i32 s5, s5, s8
	s_and_b32 s17, s3, 0xffff
	s_lshl_b32 s3, s5, 1
	s_and_b32 s18, s3, -4
	s_cbranch_vccnz .LBB83_5
; %bb.1:
	v_cmp_gt_i32_e32 vcc, s14, v4
	s_and_saveexec_b64 s[6:7], vcc
	s_cbranch_execz .LBB83_4
; %bb.2:
	s_load_dword s3, s[0:1], 0x3c
	v_mov_b32_e32 v5, 0
	s_mov_b32 s9, 0
	v_lshlrev_b32_e32 v8, 4, v0
	s_mov_b64 s[10:11], 0
	s_waitcnt lgkmcnt(0)
	s_and_b32 s3, s3, 0xffff
	s_lshl_b32 s8, s3, 3
	s_lshl_b32 s3, s3, 4
	s_mov_b32 s19, 0x20000
	v_mov_b32_e32 v0, v5
	v_mov_b32_e32 v1, v5
	;; [unrolled: 1-line block ×4, first 2 shown]
	v_mov_b64_e32 v[6:7], v[4:5]
.LBB83_3:                               ; =>This Inner Loop Header: Depth=1
	v_lshl_add_u64 v[6:7], s[8:9], 0, v[6:7]
	v_cmp_le_i64_e32 vcc, s[14:15], v[6:7]
	buffer_store_dwordx4 v[0:3], v8, s[16:19], 0 offen
	s_or_b64 s[10:11], vcc, s[10:11]
	v_add_u32_e32 v8, s3, v8
	s_andn2_b64 exec, exec, s[10:11]
	s_cbranch_execnz .LBB83_3
.LBB83_4:
	s_or_b64 exec, exec, s[6:7]
	s_mov_b64 s[6:7], 0
.LBB83_5:
	s_andn2_b64 vcc, exec, s[6:7]
	s_cbranch_vccnz .LBB83_9
; %bb.6:
	v_cmp_gt_i32_e32 vcc, s14, v4
	s_and_saveexec_b64 s[6:7], vcc
	s_cbranch_execz .LBB83_9
; %bb.7:
	s_load_dwordx2 s[6:7], s[0:1], 0x8
	s_load_dwordx2 s[8:9], s[0:1], 0x18
	s_mul_hi_i32 s5, s14, s4
	s_mul_i32 s4, s14, s4
	s_lshl_b32 s22, s14, 2
	s_lshl_b64 s[4:5], s[4:5], 3
	s_waitcnt lgkmcnt(0)
	s_add_u32 s24, s8, s4
	s_addc_u32 s3, s9, s5
	s_lshl_b64 s[4:5], s[14:15], 2
	s_add_u32 s20, s24, s4
	s_addc_u32 s8, s3, s5
	s_and_b32 s25, s3, 0xffff
	s_and_b32 s21, s8, 0xffff
	s_mul_i32 s3, s2, s15
	s_mul_hi_u32 s8, s2, s14
	s_add_i32 s3, s8, s3
	s_mul_i32 s2, s2, s14
	s_lshl_b64 s[2:3], s[2:3], 3
	s_add_u32 s28, s6, s2
	s_addc_u32 s2, s7, s3
	s_add_u32 s36, s28, s4
	s_addc_u32 s3, s2, s5
	s_and_b32 s29, s2, 0xffff
	s_and_b32 s37, s3, 0xffff
	s_mov_b32 s19, 0x20000
	s_add_u32 s34, s0, 48
	s_mov_b32 s23, s19
	v_mov_b32_e32 v5, 0
	s_addc_u32 s35, s1, 0
	s_mov_b64 s[40:41], 0
	s_mov_b32 s30, s22
	s_mov_b32 s31, s19
	;; [unrolled: 1-line block ×6, first 2 shown]
	v_mov_b32_e32 v10, 0x7f800000
	s_mov_b32 s46, 0x7060302
	s_mov_b32 s38, s22
	;; [unrolled: 1-line block ×5, first 2 shown]
.LBB83_8:                               ; =>This Inner Loop Header: Depth=1
	v_lshlrev_b32_e32 v0, 2, v4
	buffer_load_dwordx4 v[6:9], v0, s[20:23], 0 offen
	buffer_load_dwordx4 v[12:15], v0, s[36:39], 0 offen
	;; [unrolled: 1-line block ×8, first 2 shown]
	v_lshlrev_b32_e32 v11, 1, v4
	s_waitcnt vmcnt(6)
	v_pk_add_f32 v[0:1], v[14:15], v[8:9]
	v_pk_add_f32 v[2:3], v[12:13], v[6:7]
	s_waitcnt vmcnt(4)
	v_pk_add_f32 v[14:15], v[16:17], v[20:21]
	v_pk_add_f32 v[12:13], v[18:19], v[22:23]
	v_mul_f32_e32 v20, 0xbfb8aa3b, v14
	v_mul_f32_e32 v21, 0xbfb8aa3b, v15
	s_waitcnt vmcnt(0)
	v_pk_add_f32 v[16:17], v[34:35], v[38:39]
	v_pk_add_f32 v[18:19], v[32:33], v[36:37]
	;; [unrolled: 1-line block ×4, first 2 shown]
	v_mul_f32_e32 v22, 0xbfb8aa3b, v12
	v_mul_f32_e32 v23, 0xbfb8aa3b, v13
	;; [unrolled: 1-line block ×6, first 2 shown]
	v_fma_f32 v28, v14, s33, -v20
	v_rndne_f32_e32 v29, v20
	v_fma_f32 v30, v15, s33, -v21
	v_rndne_f32_e32 v31, v21
	;; [unrolled: 2-line block ×8, first 2 shown]
	v_fmac_f32_e32 v28, 0xb2a5705f, v14
	v_sub_f32_e32 v20, v20, v29
	v_fmac_f32_e32 v30, 0xb2a5705f, v15
	v_sub_f32_e32 v21, v21, v31
	;; [unrolled: 2-line block ×8, first 2 shown]
	v_add_f32_e32 v20, v20, v28
	v_add_f32_e32 v21, v21, v30
	v_cvt_i32_f32_e32 v29, v29
	v_cvt_i32_f32_e32 v31, v31
	v_add_f32_e32 v22, v22, v32
	v_add_f32_e32 v23, v23, v34
	;; [unrolled: 1-line block ×6, first 2 shown]
	v_exp_f32_e32 v20, v20
	v_exp_f32_e32 v21, v21
	v_cvt_i32_f32_e32 v33, v33
	v_cvt_i32_f32_e32 v35, v35
	;; [unrolled: 1-line block ×6, first 2 shown]
	v_exp_f32_e32 v22, v22
	v_exp_f32_e32 v23, v23
	;; [unrolled: 1-line block ×6, first 2 shown]
	v_ldexp_f32 v20, v20, v29
	v_ldexp_f32 v21, v21, v31
	v_cmp_nlt_f32_e32 vcc, s44, v15
	v_cmp_nlt_f32_e64 s[12:13], s44, v14
	v_ldexp_f32 v22, v22, v33
	v_cmp_nlt_f32_e64 s[0:1], s44, v12
	v_ldexp_f32 v23, v23, v35
	;; [unrolled: 2-line block ×6, first 2 shown]
	v_cmp_nlt_f32_e64 s[10:11], s44, v17
	v_cndmask_b32_e64 v20, 0, v20, s[12:13]
	v_cndmask_b32_e32 v21, 0, v21, vcc
	v_cmp_ngt_f32_e32 vcc, s45, v15
	v_cmp_ngt_f32_e64 s[12:13], s45, v14
	v_cndmask_b32_e64 v22, 0, v22, s[0:1]
	v_cmp_ngt_f32_e64 s[0:1], s45, v12
	v_cndmask_b32_e64 v23, 0, v23, s[2:3]
	;; [unrolled: 2-line block ×7, first 2 shown]
	v_cndmask_b32_e32 v21, v10, v21, vcc
	v_cndmask_b32_e64 v22, v10, v22, s[0:1]
	v_cndmask_b32_e64 v23, v10, v23, s[2:3]
	v_cndmask_b32_e64 v24, v10, v24, s[4:5]
	v_cndmask_b32_e64 v25, v10, v25, s[6:7]
	v_cndmask_b32_e64 v26, v10, v26, s[8:9]
	v_cndmask_b32_e64 v27, v10, v27, s[10:11]
	v_add_f32_e32 v20, 1.0, v20
	v_add_f32_e32 v21, 1.0, v21
	;; [unrolled: 1-line block ×8, first 2 shown]
	v_rcp_f32_e32 v20, v20
	v_rcp_f32_e32 v21, v21
	;; [unrolled: 1-line block ×8, first 2 shown]
	v_pk_mul_f32 v[14:15], v[14:15], v[20:21]
	v_pk_mul_f32 v[12:13], v[12:13], v[22:23]
	;; [unrolled: 1-line block ×4, first 2 shown]
	;;#ASMSTART
	v_pk_mul_f32 v[14:15], v[14:15], v[2:3]
	;;#ASMEND
	;;#ASMSTART
	v_pk_mul_f32 v[0:1], v[12:13], v[0:1]
	;;#ASMEND
	;; [unrolled: 3-line block ×3, first 2 shown]
	s_nop 0
	;;#ASMSTART
	v_pk_mul_f32 v[2:3], v[16:17], v[6:7]
	;;#ASMEND
	s_load_dword s0, s[34:35], 0xc
	v_perm_b32 v1, v1, v0, s46
	v_perm_b32 v3, v3, v2, s46
	;; [unrolled: 1-line block ×4, first 2 shown]
	s_waitcnt lgkmcnt(0)
	s_and_b32 s0, s0, 0xffff
	s_lshl_b32 s42, s0, 3
	v_lshl_add_u64 v[4:5], s[42:43], 0, v[4:5]
	v_cmp_le_i64_e32 vcc, s[14:15], v[4:5]
	s_or_b64 s[40:41], vcc, s[40:41]
	buffer_store_dwordx4 v[0:3], v11, s[16:19], 0 offen
	s_andn2_b64 exec, exec, s[40:41]
	s_cbranch_execnz .LBB83_8
.LBB83_9:
	s_endpgm
	.section	.rodata,"a",@progbits
	.p2align	6, 0x0
	.amdhsa_kernel _ZN5aiter23act_and_mul_bias_kernelIfthfTnPFfRKT2_EXadL_ZNS_11silu_kernelIfEEfRKT_EELi8EEEvPT0_PS8_PKT1_PS2_il
		.amdhsa_group_segment_fixed_size 0
		.amdhsa_private_segment_fixed_size 0
		.amdhsa_kernarg_size 304
		.amdhsa_user_sgpr_count 2
		.amdhsa_user_sgpr_dispatch_ptr 0
		.amdhsa_user_sgpr_queue_ptr 0
		.amdhsa_user_sgpr_kernarg_segment_ptr 1
		.amdhsa_user_sgpr_dispatch_id 0
		.amdhsa_user_sgpr_kernarg_preload_length 0
		.amdhsa_user_sgpr_kernarg_preload_offset 0
		.amdhsa_user_sgpr_private_segment_size 0
		.amdhsa_uses_dynamic_stack 0
		.amdhsa_enable_private_segment 0
		.amdhsa_system_sgpr_workgroup_id_x 1
		.amdhsa_system_sgpr_workgroup_id_y 0
		.amdhsa_system_sgpr_workgroup_id_z 0
		.amdhsa_system_sgpr_workgroup_info 0
		.amdhsa_system_vgpr_workitem_id 0
		.amdhsa_next_free_vgpr 44
		.amdhsa_next_free_sgpr 47
		.amdhsa_accum_offset 44
		.amdhsa_reserve_vcc 1
		.amdhsa_float_round_mode_32 0
		.amdhsa_float_round_mode_16_64 0
		.amdhsa_float_denorm_mode_32 3
		.amdhsa_float_denorm_mode_16_64 3
		.amdhsa_dx10_clamp 1
		.amdhsa_ieee_mode 1
		.amdhsa_fp16_overflow 0
		.amdhsa_tg_split 0
		.amdhsa_exception_fp_ieee_invalid_op 0
		.amdhsa_exception_fp_denorm_src 0
		.amdhsa_exception_fp_ieee_div_zero 0
		.amdhsa_exception_fp_ieee_overflow 0
		.amdhsa_exception_fp_ieee_underflow 0
		.amdhsa_exception_fp_ieee_inexact 0
		.amdhsa_exception_int_div_zero 0
	.end_amdhsa_kernel
	.section	.text._ZN5aiter23act_and_mul_bias_kernelIfthfTnPFfRKT2_EXadL_ZNS_11silu_kernelIfEEfRKT_EELi8EEEvPT0_PS8_PKT1_PS2_il,"axG",@progbits,_ZN5aiter23act_and_mul_bias_kernelIfthfTnPFfRKT2_EXadL_ZNS_11silu_kernelIfEEfRKT_EELi8EEEvPT0_PS8_PKT1_PS2_il,comdat
.Lfunc_end83:
	.size	_ZN5aiter23act_and_mul_bias_kernelIfthfTnPFfRKT2_EXadL_ZNS_11silu_kernelIfEEfRKT_EELi8EEEvPT0_PS8_PKT1_PS2_il, .Lfunc_end83-_ZN5aiter23act_and_mul_bias_kernelIfthfTnPFfRKT2_EXadL_ZNS_11silu_kernelIfEEfRKT_EELi8EEEvPT0_PS8_PKT1_PS2_il
                                        ; -- End function
	.section	.AMDGPU.csdata,"",@progbits
; Kernel info:
; codeLenInByte = 1544
; NumSgprs: 53
; NumVgprs: 44
; NumAgprs: 0
; TotalNumVgprs: 44
; ScratchSize: 0
; MemoryBound: 0
; FloatMode: 240
; IeeeMode: 1
; LDSByteSize: 0 bytes/workgroup (compile time only)
; SGPRBlocks: 6
; VGPRBlocks: 5
; NumSGPRsForWavesPerEU: 53
; NumVGPRsForWavesPerEU: 44
; AccumOffset: 44
; Occupancy: 8
; WaveLimiterHint : 0
; COMPUTE_PGM_RSRC2:SCRATCH_EN: 0
; COMPUTE_PGM_RSRC2:USER_SGPR: 2
; COMPUTE_PGM_RSRC2:TRAP_HANDLER: 0
; COMPUTE_PGM_RSRC2:TGID_X_EN: 1
; COMPUTE_PGM_RSRC2:TGID_Y_EN: 0
; COMPUTE_PGM_RSRC2:TGID_Z_EN: 0
; COMPUTE_PGM_RSRC2:TIDIG_COMP_CNT: 0
; COMPUTE_PGM_RSRC3_GFX90A:ACCUM_OFFSET: 10
; COMPUTE_PGM_RSRC3_GFX90A:TG_SPLIT: 0
	.section	.text._ZN5aiter23act_and_mul_bias_kernelIfthfTnPFfRKT2_EXadL_ZNS_11silu_kernelIfEEfRKT_EELi4EEEvPT0_PS8_PKT1_PS2_il,"axG",@progbits,_ZN5aiter23act_and_mul_bias_kernelIfthfTnPFfRKT2_EXadL_ZNS_11silu_kernelIfEEfRKT_EELi4EEEvPT0_PS8_PKT1_PS2_il,comdat
	.protected	_ZN5aiter23act_and_mul_bias_kernelIfthfTnPFfRKT2_EXadL_ZNS_11silu_kernelIfEEfRKT_EELi4EEEvPT0_PS8_PKT1_PS2_il ; -- Begin function _ZN5aiter23act_and_mul_bias_kernelIfthfTnPFfRKT2_EXadL_ZNS_11silu_kernelIfEEfRKT_EELi4EEEvPT0_PS8_PKT1_PS2_il
	.globl	_ZN5aiter23act_and_mul_bias_kernelIfthfTnPFfRKT2_EXadL_ZNS_11silu_kernelIfEEfRKT_EELi4EEEvPT0_PS8_PKT1_PS2_il
	.p2align	8
	.type	_ZN5aiter23act_and_mul_bias_kernelIfthfTnPFfRKT2_EXadL_ZNS_11silu_kernelIfEEfRKT_EELi4EEEvPT0_PS8_PKT1_PS2_il,@function
_ZN5aiter23act_and_mul_bias_kernelIfthfTnPFfRKT2_EXadL_ZNS_11silu_kernelIfEEfRKT_EELi4EEEvPT0_PS8_PKT1_PS2_il: ; @_ZN5aiter23act_and_mul_bias_kernelIfthfTnPFfRKT2_EXadL_ZNS_11silu_kernelIfEEfRKT_EELi4EEEvPT0_PS8_PKT1_PS2_il
; %bb.0:
	s_load_dwordx2 s[4:5], s[0:1], 0x10
	s_load_dword s6, s[0:1], 0x20
	s_load_dwordx2 s[8:9], s[0:1], 0x28
	v_mov_b32_e32 v1, s2
	s_load_dwordx2 s[10:11], s[0:1], 0x0
	s_waitcnt lgkmcnt(0)
	global_load_ubyte v1, v1, s[4:5]
	s_ashr_i32 s7, s6, 31
	s_mul_hi_u32 s3, s6, s2
	s_mul_i32 s4, s7, s2
	s_mul_i32 s14, s6, s2
	s_add_i32 s15, s3, s4
	v_mov_b64_e32 v[4:5], s[8:9]
	s_lshl_b64 s[8:9], s[14:15], 1
	s_mov_b32 s5, 0
	s_mov_b64 s[12:13], -1
	v_lshlrev_b32_e32 v2, 2, v0
	s_waitcnt vmcnt(0)
	v_readfirstlane_b32 s3, v1
	s_and_b32 s4, s3, 0xffff
	s_add_u32 s8, s10, s8
	v_cmp_lt_i64_e32 vcc, s[4:5], v[4:5]
	s_addc_u32 s3, s11, s9
	s_add_i32 s5, s6, 1
	s_lshr_b32 s10, s5, 31
	s_add_i32 s5, s5, s10
	s_and_b32 s9, s3, 0xffff
	s_lshl_b32 s3, s5, 1
	s_and_b32 s10, s3, -4
	s_cbranch_vccnz .LBB84_5
; %bb.1:
	v_cmp_gt_i32_e32 vcc, s6, v2
	s_and_saveexec_b64 s[12:13], vcc
	s_cbranch_execz .LBB84_4
; %bb.2:
	s_load_dword s3, s[0:1], 0x3c
	v_mov_b32_e32 v3, 0
	s_mov_b32 s15, 0
	v_lshlrev_b32_e32 v6, 3, v0
	s_mov_b64 s[16:17], 0
	s_waitcnt lgkmcnt(0)
	s_and_b32 s3, s3, 0xffff
	s_lshl_b32 s14, s3, 2
	s_lshl_b32 s3, s3, 3
	s_mov_b32 s11, 0x20000
	v_mov_b32_e32 v0, v3
	v_mov_b32_e32 v1, v3
	v_mov_b64_e32 v[4:5], v[2:3]
.LBB84_3:                               ; =>This Inner Loop Header: Depth=1
	v_lshl_add_u64 v[4:5], s[14:15], 0, v[4:5]
	v_cmp_le_i64_e32 vcc, s[6:7], v[4:5]
	buffer_store_dwordx2 v[0:1], v6, s[8:11], 0 offen
	s_or_b64 s[16:17], vcc, s[16:17]
	v_add_u32_e32 v6, s3, v6
	s_andn2_b64 exec, exec, s[16:17]
	s_cbranch_execnz .LBB84_3
.LBB84_4:
	s_or_b64 exec, exec, s[12:13]
	s_mov_b64 s[12:13], 0
.LBB84_5:
	s_andn2_b64 vcc, exec, s[12:13]
	s_cbranch_vccnz .LBB84_9
; %bb.6:
	v_cmp_gt_i32_e32 vcc, s6, v2
	s_and_saveexec_b64 s[12:13], vcc
	s_cbranch_execz .LBB84_9
; %bb.7:
	s_load_dwordx2 s[18:19], s[0:1], 0x8
	s_load_dwordx2 s[12:13], s[0:1], 0x18
	s_mul_hi_i32 s5, s6, s4
	s_mul_i32 s4, s6, s4
	s_lshl_b32 s14, s6, 2
	s_lshl_b64 s[4:5], s[4:5], 3
	s_waitcnt lgkmcnt(0)
	s_add_u32 s16, s12, s4
	s_addc_u32 s3, s13, s5
	s_lshl_b64 s[4:5], s[6:7], 2
	s_add_u32 s12, s16, s4
	s_addc_u32 s13, s3, s5
	s_and_b32 s17, s3, 0xffff
	s_mul_i32 s3, s2, s7
	s_mul_hi_u32 s20, s2, s6
	s_add_i32 s3, s20, s3
	s_mul_i32 s2, s2, s6
	s_and_b32 s13, s13, 0xffff
	s_lshl_b64 s[2:3], s[2:3], 3
	s_add_u32 s20, s18, s2
	s_addc_u32 s2, s19, s3
	s_add_u32 s24, s20, s4
	s_addc_u32 s3, s2, s5
	s_and_b32 s21, s2, 0xffff
	s_and_b32 s25, s3, 0xffff
	s_mov_b32 s11, 0x20000
	s_add_u32 s28, s0, 48
	s_mov_b32 s15, s11
	v_mov_b32_e32 v3, 0
	s_addc_u32 s29, s1, 0
	s_mov_b64 s[30:31], 0
	s_mov_b32 s22, s14
	s_mov_b32 s23, s11
	;; [unrolled: 1-line block ×6, first 2 shown]
	v_mov_b32_e32 v0, 0x7f800000
	s_mov_b32 s38, 0x7060302
	s_mov_b32 s26, s14
	;; [unrolled: 1-line block ×5, first 2 shown]
.LBB84_8:                               ; =>This Inner Loop Header: Depth=1
	v_lshlrev_b32_e32 v1, 2, v2
	buffer_load_dwordx4 v[4:7], v1, s[20:23], 0 offen
	buffer_load_dwordx4 v[8:11], v1, s[24:27], 0 offen
	;; [unrolled: 1-line block ×4, first 2 shown]
	s_waitcnt vmcnt(1)
	v_pk_add_f32 v[6:7], v[6:7], v[14:15]
	v_pk_add_f32 v[4:5], v[4:5], v[12:13]
	v_mul_f32_e32 v13, 0xbfb8aa3b, v6
	v_mul_f32_e32 v1, 0xbfb8aa3b, v4
	;; [unrolled: 1-line block ×4, first 2 shown]
	s_waitcnt vmcnt(0)
	v_pk_add_f32 v[10:11], v[10:11], v[18:19]
	v_pk_add_f32 v[8:9], v[8:9], v[16:17]
	v_fma_f32 v15, v4, s33, -v1
	v_rndne_f32_e32 v16, v1
	v_fma_f32 v17, v5, s33, -v12
	v_rndne_f32_e32 v18, v12
	;; [unrolled: 2-line block ×4, first 2 shown]
	v_fmac_f32_e32 v15, 0xb2a5705f, v4
	v_sub_f32_e32 v1, v1, v16
	v_fmac_f32_e32 v17, 0xb2a5705f, v5
	v_sub_f32_e32 v12, v12, v18
	;; [unrolled: 2-line block ×4, first 2 shown]
	v_add_f32_e32 v1, v1, v15
	v_add_f32_e32 v12, v12, v17
	;; [unrolled: 1-line block ×4, first 2 shown]
	v_cvt_i32_f32_e32 v16, v16
	v_cvt_i32_f32_e32 v18, v18
	;; [unrolled: 1-line block ×4, first 2 shown]
	v_exp_f32_e32 v1, v1
	v_exp_f32_e32 v12, v12
	;; [unrolled: 1-line block ×4, first 2 shown]
	v_ldexp_f32 v1, v1, v16
	v_ldexp_f32 v12, v12, v18
	v_cmp_nlt_f32_e32 vcc, s36, v5
	v_ldexp_f32 v13, v13, v20
	v_cmp_nlt_f32_e64 s[0:1], s36, v6
	v_ldexp_f32 v14, v14, v22
	v_cmp_nlt_f32_e64 s[2:3], s36, v7
	v_cmp_nlt_f32_e64 s[4:5], s36, v4
	v_cndmask_b32_e32 v12, 0, v12, vcc
	v_cmp_ngt_f32_e32 vcc, s37, v5
	v_cndmask_b32_e64 v1, 0, v1, s[4:5]
	v_cndmask_b32_e64 v13, 0, v13, s[0:1]
	v_cmp_ngt_f32_e64 s[0:1], s37, v6
	v_cndmask_b32_e64 v14, 0, v14, s[2:3]
	v_cmp_ngt_f32_e64 s[2:3], s37, v7
	v_cmp_ngt_f32_e64 s[4:5], s37, v4
	v_cndmask_b32_e32 v12, v0, v12, vcc
	v_cndmask_b32_e64 v13, v0, v13, s[0:1]
	v_cndmask_b32_e64 v1, v0, v1, s[4:5]
	;; [unrolled: 1-line block ×3, first 2 shown]
	v_add_f32_e32 v1, 1.0, v1
	v_add_f32_e32 v15, 1.0, v12
	;; [unrolled: 1-line block ×4, first 2 shown]
	v_rcp_f32_e32 v12, v1
	v_rcp_f32_e32 v13, v15
	;; [unrolled: 1-line block ×4, first 2 shown]
	v_lshlrev_b32_e32 v1, 1, v2
	v_pk_mul_f32 v[4:5], v[4:5], v[12:13]
	v_pk_mul_f32 v[6:7], v[6:7], v[14:15]
	;;#ASMSTART
	v_pk_mul_f32 v[4:5], v[4:5], v[8:9]
	;;#ASMEND
	s_nop 0
	;;#ASMSTART
	v_pk_mul_f32 v[6:7], v[6:7], v[10:11]
	;;#ASMEND
	s_load_dword s0, s[28:29], 0xc
	v_perm_b32 v7, v7, v6, s38
	v_perm_b32 v6, v5, v4, s38
	buffer_store_dwordx2 v[6:7], v1, s[8:11], 0 offen
	s_waitcnt lgkmcnt(0)
	s_and_b32 s0, s0, 0xffff
	s_lshl_b32 s34, s0, 2
	v_lshl_add_u64 v[2:3], s[34:35], 0, v[2:3]
	v_cmp_le_i64_e32 vcc, s[6:7], v[2:3]
	s_or_b64 s[30:31], vcc, s[30:31]
	s_andn2_b64 exec, exec, s[30:31]
	s_cbranch_execnz .LBB84_8
.LBB84_9:
	s_endpgm
	.section	.rodata,"a",@progbits
	.p2align	6, 0x0
	.amdhsa_kernel _ZN5aiter23act_and_mul_bias_kernelIfthfTnPFfRKT2_EXadL_ZNS_11silu_kernelIfEEfRKT_EELi4EEEvPT0_PS8_PKT1_PS2_il
		.amdhsa_group_segment_fixed_size 0
		.amdhsa_private_segment_fixed_size 0
		.amdhsa_kernarg_size 304
		.amdhsa_user_sgpr_count 2
		.amdhsa_user_sgpr_dispatch_ptr 0
		.amdhsa_user_sgpr_queue_ptr 0
		.amdhsa_user_sgpr_kernarg_segment_ptr 1
		.amdhsa_user_sgpr_dispatch_id 0
		.amdhsa_user_sgpr_kernarg_preload_length 0
		.amdhsa_user_sgpr_kernarg_preload_offset 0
		.amdhsa_user_sgpr_private_segment_size 0
		.amdhsa_uses_dynamic_stack 0
		.amdhsa_enable_private_segment 0
		.amdhsa_system_sgpr_workgroup_id_x 1
		.amdhsa_system_sgpr_workgroup_id_y 0
		.amdhsa_system_sgpr_workgroup_id_z 0
		.amdhsa_system_sgpr_workgroup_info 0
		.amdhsa_system_vgpr_workitem_id 0
		.amdhsa_next_free_vgpr 23
		.amdhsa_next_free_sgpr 39
		.amdhsa_accum_offset 24
		.amdhsa_reserve_vcc 1
		.amdhsa_float_round_mode_32 0
		.amdhsa_float_round_mode_16_64 0
		.amdhsa_float_denorm_mode_32 3
		.amdhsa_float_denorm_mode_16_64 3
		.amdhsa_dx10_clamp 1
		.amdhsa_ieee_mode 1
		.amdhsa_fp16_overflow 0
		.amdhsa_tg_split 0
		.amdhsa_exception_fp_ieee_invalid_op 0
		.amdhsa_exception_fp_denorm_src 0
		.amdhsa_exception_fp_ieee_div_zero 0
		.amdhsa_exception_fp_ieee_overflow 0
		.amdhsa_exception_fp_ieee_underflow 0
		.amdhsa_exception_fp_ieee_inexact 0
		.amdhsa_exception_int_div_zero 0
	.end_amdhsa_kernel
	.section	.text._ZN5aiter23act_and_mul_bias_kernelIfthfTnPFfRKT2_EXadL_ZNS_11silu_kernelIfEEfRKT_EELi4EEEvPT0_PS8_PKT1_PS2_il,"axG",@progbits,_ZN5aiter23act_and_mul_bias_kernelIfthfTnPFfRKT2_EXadL_ZNS_11silu_kernelIfEEfRKT_EELi4EEEvPT0_PS8_PKT1_PS2_il,comdat
.Lfunc_end84:
	.size	_ZN5aiter23act_and_mul_bias_kernelIfthfTnPFfRKT2_EXadL_ZNS_11silu_kernelIfEEfRKT_EELi4EEEvPT0_PS8_PKT1_PS2_il, .Lfunc_end84-_ZN5aiter23act_and_mul_bias_kernelIfthfTnPFfRKT2_EXadL_ZNS_11silu_kernelIfEEfRKT_EELi4EEEvPT0_PS8_PKT1_PS2_il
                                        ; -- End function
	.section	.AMDGPU.csdata,"",@progbits
; Kernel info:
; codeLenInByte = 1052
; NumSgprs: 45
; NumVgprs: 23
; NumAgprs: 0
; TotalNumVgprs: 23
; ScratchSize: 0
; MemoryBound: 0
; FloatMode: 240
; IeeeMode: 1
; LDSByteSize: 0 bytes/workgroup (compile time only)
; SGPRBlocks: 5
; VGPRBlocks: 2
; NumSGPRsForWavesPerEU: 45
; NumVGPRsForWavesPerEU: 23
; AccumOffset: 24
; Occupancy: 8
; WaveLimiterHint : 0
; COMPUTE_PGM_RSRC2:SCRATCH_EN: 0
; COMPUTE_PGM_RSRC2:USER_SGPR: 2
; COMPUTE_PGM_RSRC2:TRAP_HANDLER: 0
; COMPUTE_PGM_RSRC2:TGID_X_EN: 1
; COMPUTE_PGM_RSRC2:TGID_Y_EN: 0
; COMPUTE_PGM_RSRC2:TGID_Z_EN: 0
; COMPUTE_PGM_RSRC2:TIDIG_COMP_CNT: 0
; COMPUTE_PGM_RSRC3_GFX90A:ACCUM_OFFSET: 5
; COMPUTE_PGM_RSRC3_GFX90A:TG_SPLIT: 0
	.section	.text._ZN5aiter23act_and_mul_bias_kernelIfthfTnPFfRKT2_EXadL_ZNS_11silu_kernelIfEEfRKT_EELi2EEEvPT0_PS8_PKT1_PS2_il,"axG",@progbits,_ZN5aiter23act_and_mul_bias_kernelIfthfTnPFfRKT2_EXadL_ZNS_11silu_kernelIfEEfRKT_EELi2EEEvPT0_PS8_PKT1_PS2_il,comdat
	.protected	_ZN5aiter23act_and_mul_bias_kernelIfthfTnPFfRKT2_EXadL_ZNS_11silu_kernelIfEEfRKT_EELi2EEEvPT0_PS8_PKT1_PS2_il ; -- Begin function _ZN5aiter23act_and_mul_bias_kernelIfthfTnPFfRKT2_EXadL_ZNS_11silu_kernelIfEEfRKT_EELi2EEEvPT0_PS8_PKT1_PS2_il
	.globl	_ZN5aiter23act_and_mul_bias_kernelIfthfTnPFfRKT2_EXadL_ZNS_11silu_kernelIfEEfRKT_EELi2EEEvPT0_PS8_PKT1_PS2_il
	.p2align	8
	.type	_ZN5aiter23act_and_mul_bias_kernelIfthfTnPFfRKT2_EXadL_ZNS_11silu_kernelIfEEfRKT_EELi2EEEvPT0_PS8_PKT1_PS2_il,@function
_ZN5aiter23act_and_mul_bias_kernelIfthfTnPFfRKT2_EXadL_ZNS_11silu_kernelIfEEfRKT_EELi2EEEvPT0_PS8_PKT1_PS2_il: ; @_ZN5aiter23act_and_mul_bias_kernelIfthfTnPFfRKT2_EXadL_ZNS_11silu_kernelIfEEfRKT_EELi2EEEvPT0_PS8_PKT1_PS2_il
; %bb.0:
	s_load_dwordx2 s[4:5], s[0:1], 0x10
	s_load_dword s24, s[0:1], 0x20
	s_load_dwordx2 s[6:7], s[0:1], 0x28
	v_mov_b32_e32 v1, s2
	s_mov_b32 s9, 0
	s_waitcnt lgkmcnt(0)
	global_load_ubyte v1, v1, s[4:5]
	s_load_dwordx2 s[4:5], s[0:1], 0x0
	s_ashr_i32 s25, s24, 31
	s_mul_hi_u32 s3, s24, s2
	v_mov_b64_e32 v[4:5], s[6:7]
	s_mul_i32 s6, s25, s2
	s_mul_i32 s12, s24, s2
	s_add_i32 s13, s3, s6
	s_lshl_b64 s[6:7], s[12:13], 1
	s_mov_b64 s[10:11], -1
	v_lshlrev_b32_e32 v2, 1, v0
	s_waitcnt vmcnt(0)
	v_readfirstlane_b32 s3, v1
	s_and_b32 s8, s3, 0xffff
	s_waitcnt lgkmcnt(0)
	s_add_u32 s4, s4, s6
	s_addc_u32 s3, s5, s7
	s_add_i32 s6, s24, 1
	s_lshr_b32 s7, s6, 31
	s_add_i32 s6, s6, s7
	v_cmp_lt_i64_e32 vcc, s[8:9], v[4:5]
	s_and_b32 s5, s3, 0xffff
	s_lshl_b32 s3, s6, 1
	s_and_b32 s6, s3, -4
	s_cbranch_vccnz .LBB85_5
; %bb.1:
	v_cmp_gt_i32_e32 vcc, s24, v2
	s_and_saveexec_b64 s[10:11], vcc
	s_cbranch_execz .LBB85_4
; %bb.2:
	s_load_dword s3, s[0:1], 0x3c
	v_mov_b32_e32 v3, 0
	s_mov_b32 s13, 0
	v_lshlrev_b32_e32 v4, 2, v0
	s_mov_b64 s[14:15], 0
	s_waitcnt lgkmcnt(0)
	s_and_b32 s3, s3, 0xffff
	s_lshl_b32 s12, s3, 1
	s_lshl_b32 s3, s3, 2
	s_mov_b32 s7, 0x20000
	v_mov_b64_e32 v[0:1], v[2:3]
.LBB85_3:                               ; =>This Inner Loop Header: Depth=1
	v_lshl_add_u64 v[0:1], s[12:13], 0, v[0:1]
	v_cmp_le_i64_e32 vcc, s[24:25], v[0:1]
	buffer_store_dword v3, v4, s[4:7], 0 offen
	s_or_b64 s[14:15], vcc, s[14:15]
	v_add_u32_e32 v4, s3, v4
	s_andn2_b64 exec, exec, s[14:15]
	s_cbranch_execnz .LBB85_3
.LBB85_4:
	s_or_b64 exec, exec, s[10:11]
	s_mov_b64 s[10:11], 0
.LBB85_5:
	s_andn2_b64 vcc, exec, s[10:11]
	s_cbranch_vccnz .LBB85_9
; %bb.6:
	v_cmp_gt_i32_e32 vcc, s24, v2
	s_and_saveexec_b64 s[10:11], vcc
	s_cbranch_execz .LBB85_9
; %bb.7:
	s_load_dwordx2 s[14:15], s[0:1], 0x8
	s_load_dwordx2 s[12:13], s[0:1], 0x18
	s_mul_hi_i32 s9, s24, s8
	s_mul_i32 s8, s24, s8
	s_lshl_b32 s10, s24, 2
	s_lshl_b64 s[8:9], s[8:9], 3
	s_waitcnt lgkmcnt(0)
	s_add_u32 s12, s12, s8
	s_addc_u32 s3, s13, s9
	s_lshl_b64 s[18:19], s[24:25], 2
	s_add_u32 s8, s12, s18
	s_addc_u32 s9, s3, s19
	s_and_b32 s13, s3, 0xffff
	s_mul_i32 s3, s2, s25
	s_mul_hi_u32 s16, s2, s24
	s_add_i32 s3, s16, s3
	s_mul_i32 s2, s2, s24
	s_and_b32 s9, s9, 0xffff
	s_lshl_b64 s[2:3], s[2:3], 3
	s_add_u32 s16, s14, s2
	s_addc_u32 s2, s15, s3
	s_add_u32 s20, s16, s18
	s_addc_u32 s3, s2, s19
	s_and_b32 s17, s2, 0xffff
	s_and_b32 s21, s3, 0xffff
	s_mov_b32 s7, 0x20000
	s_add_u32 s2, s0, 48
	s_mov_b32 s11, s7
	v_mov_b32_e32 v3, 0
	s_addc_u32 s3, s1, 0
	s_mov_b64 s[26:27], 0
	s_mov_b32 s18, s10
	s_mov_b32 s19, s7
	s_mov_b32 s29, 0
	s_mov_b32 s30, 0xbfb8aa3b
	s_mov_b32 s31, 0x42ce8ed0
	s_mov_b32 s33, 0xc2b17218
	v_mov_b32_e32 v0, 0x7f800000
	s_mov_b32 s34, 0x7060302
	s_mov_b32 s22, s10
	;; [unrolled: 1-line block ×5, first 2 shown]
.LBB85_8:                               ; =>This Inner Loop Header: Depth=1
	v_lshlrev_b32_e32 v1, 2, v2
	buffer_load_dwordx2 v[4:5], v1, s[12:15], 0 offen
	buffer_load_dwordx2 v[6:7], v1, s[16:19], 0 offen
	;; [unrolled: 1-line block ×4, first 2 shown]
	s_waitcnt vmcnt(2)
	v_pk_add_f32 v[4:5], v[6:7], v[4:5]
	s_nop 0
	v_mul_f32_e32 v1, 0xbfb8aa3b, v5
	v_mul_f32_e32 v6, 0xbfb8aa3b, v4
	v_fma_f32 v7, v5, s30, -v1
	v_rndne_f32_e32 v12, v1
	v_fma_f32 v13, v4, s30, -v6
	v_rndne_f32_e32 v14, v6
	v_fmac_f32_e32 v7, 0xb2a5705f, v5
	v_sub_f32_e32 v1, v1, v12
	v_fmac_f32_e32 v13, 0xb2a5705f, v4
	v_sub_f32_e32 v6, v6, v14
	v_add_f32_e32 v1, v1, v7
	v_add_f32_e32 v6, v6, v13
	v_cvt_i32_f32_e32 v12, v12
	v_cvt_i32_f32_e32 v14, v14
	v_exp_f32_e32 v1, v1
	v_exp_f32_e32 v6, v6
	v_cmp_nlt_f32_e32 vcc, s31, v4
	v_cmp_nlt_f32_e64 s[0:1], s31, v5
	v_ldexp_f32 v1, v1, v12
	v_ldexp_f32 v6, v6, v14
	v_cndmask_b32_e64 v1, 0, v1, s[0:1]
	v_cndmask_b32_e32 v6, 0, v6, vcc
	v_cmp_ngt_f32_e32 vcc, s33, v4
	v_cmp_ngt_f32_e64 s[0:1], s33, v5
	s_waitcnt vmcnt(0)
	v_pk_add_f32 v[8:9], v[8:9], v[10:11]
	v_cndmask_b32_e32 v6, v0, v6, vcc
	v_cndmask_b32_e64 v1, v0, v1, s[0:1]
	v_add_f32_e32 v1, 1.0, v1
	v_add_f32_e32 v6, 1.0, v6
	v_rcp_f32_e32 v7, v1
	v_rcp_f32_e32 v6, v6
	v_lshlrev_b32_e32 v1, 1, v2
	v_pk_mul_f32 v[4:5], v[4:5], v[6:7]
	s_nop 0
	;;#ASMSTART
	v_pk_mul_f32 v[4:5], v[4:5], v[8:9]
	;;#ASMEND
	s_load_dword s0, s[2:3], 0xc
	v_perm_b32 v4, v5, v4, s34
	buffer_store_dword v4, v1, s[4:7], 0 offen
	s_waitcnt lgkmcnt(0)
	s_and_b32 s0, s0, 0xffff
	s_lshl_b32 s28, s0, 1
	v_lshl_add_u64 v[2:3], s[28:29], 0, v[2:3]
	v_cmp_le_i64_e32 vcc, s[24:25], v[2:3]
	s_or_b64 s[26:27], vcc, s[26:27]
	s_andn2_b64 exec, exec, s[26:27]
	s_cbranch_execnz .LBB85_8
.LBB85_9:
	s_endpgm
	.section	.rodata,"a",@progbits
	.p2align	6, 0x0
	.amdhsa_kernel _ZN5aiter23act_and_mul_bias_kernelIfthfTnPFfRKT2_EXadL_ZNS_11silu_kernelIfEEfRKT_EELi2EEEvPT0_PS8_PKT1_PS2_il
		.amdhsa_group_segment_fixed_size 0
		.amdhsa_private_segment_fixed_size 0
		.amdhsa_kernarg_size 304
		.amdhsa_user_sgpr_count 2
		.amdhsa_user_sgpr_dispatch_ptr 0
		.amdhsa_user_sgpr_queue_ptr 0
		.amdhsa_user_sgpr_kernarg_segment_ptr 1
		.amdhsa_user_sgpr_dispatch_id 0
		.amdhsa_user_sgpr_kernarg_preload_length 0
		.amdhsa_user_sgpr_kernarg_preload_offset 0
		.amdhsa_user_sgpr_private_segment_size 0
		.amdhsa_uses_dynamic_stack 0
		.amdhsa_enable_private_segment 0
		.amdhsa_system_sgpr_workgroup_id_x 1
		.amdhsa_system_sgpr_workgroup_id_y 0
		.amdhsa_system_sgpr_workgroup_id_z 0
		.amdhsa_system_sgpr_workgroup_info 0
		.amdhsa_system_vgpr_workitem_id 0
		.amdhsa_next_free_vgpr 15
		.amdhsa_next_free_sgpr 35
		.amdhsa_accum_offset 16
		.amdhsa_reserve_vcc 1
		.amdhsa_float_round_mode_32 0
		.amdhsa_float_round_mode_16_64 0
		.amdhsa_float_denorm_mode_32 3
		.amdhsa_float_denorm_mode_16_64 3
		.amdhsa_dx10_clamp 1
		.amdhsa_ieee_mode 1
		.amdhsa_fp16_overflow 0
		.amdhsa_tg_split 0
		.amdhsa_exception_fp_ieee_invalid_op 0
		.amdhsa_exception_fp_denorm_src 0
		.amdhsa_exception_fp_ieee_div_zero 0
		.amdhsa_exception_fp_ieee_overflow 0
		.amdhsa_exception_fp_ieee_underflow 0
		.amdhsa_exception_fp_ieee_inexact 0
		.amdhsa_exception_int_div_zero 0
	.end_amdhsa_kernel
	.section	.text._ZN5aiter23act_and_mul_bias_kernelIfthfTnPFfRKT2_EXadL_ZNS_11silu_kernelIfEEfRKT_EELi2EEEvPT0_PS8_PKT1_PS2_il,"axG",@progbits,_ZN5aiter23act_and_mul_bias_kernelIfthfTnPFfRKT2_EXadL_ZNS_11silu_kernelIfEEfRKT_EELi2EEEvPT0_PS8_PKT1_PS2_il,comdat
.Lfunc_end85:
	.size	_ZN5aiter23act_and_mul_bias_kernelIfthfTnPFfRKT2_EXadL_ZNS_11silu_kernelIfEEfRKT_EELi2EEEvPT0_PS8_PKT1_PS2_il, .Lfunc_end85-_ZN5aiter23act_and_mul_bias_kernelIfthfTnPFfRKT2_EXadL_ZNS_11silu_kernelIfEEfRKT_EELi2EEEvPT0_PS8_PKT1_PS2_il
                                        ; -- End function
	.section	.AMDGPU.csdata,"",@progbits
; Kernel info:
; codeLenInByte = 828
; NumSgprs: 41
; NumVgprs: 15
; NumAgprs: 0
; TotalNumVgprs: 15
; ScratchSize: 0
; MemoryBound: 0
; FloatMode: 240
; IeeeMode: 1
; LDSByteSize: 0 bytes/workgroup (compile time only)
; SGPRBlocks: 5
; VGPRBlocks: 1
; NumSGPRsForWavesPerEU: 41
; NumVGPRsForWavesPerEU: 15
; AccumOffset: 16
; Occupancy: 8
; WaveLimiterHint : 0
; COMPUTE_PGM_RSRC2:SCRATCH_EN: 0
; COMPUTE_PGM_RSRC2:USER_SGPR: 2
; COMPUTE_PGM_RSRC2:TRAP_HANDLER: 0
; COMPUTE_PGM_RSRC2:TGID_X_EN: 1
; COMPUTE_PGM_RSRC2:TGID_Y_EN: 0
; COMPUTE_PGM_RSRC2:TGID_Z_EN: 0
; COMPUTE_PGM_RSRC2:TIDIG_COMP_CNT: 0
; COMPUTE_PGM_RSRC3_GFX90A:ACCUM_OFFSET: 3
; COMPUTE_PGM_RSRC3_GFX90A:TG_SPLIT: 0
	.section	.text._ZN5aiter23act_and_mul_bias_kernelIfthfTnPFfRKT2_EXadL_ZNS_11silu_kernelIfEEfRKT_EELi1EEEvPT0_PS8_PKT1_PS2_il,"axG",@progbits,_ZN5aiter23act_and_mul_bias_kernelIfthfTnPFfRKT2_EXadL_ZNS_11silu_kernelIfEEfRKT_EELi1EEEvPT0_PS8_PKT1_PS2_il,comdat
	.protected	_ZN5aiter23act_and_mul_bias_kernelIfthfTnPFfRKT2_EXadL_ZNS_11silu_kernelIfEEfRKT_EELi1EEEvPT0_PS8_PKT1_PS2_il ; -- Begin function _ZN5aiter23act_and_mul_bias_kernelIfthfTnPFfRKT2_EXadL_ZNS_11silu_kernelIfEEfRKT_EELi1EEEvPT0_PS8_PKT1_PS2_il
	.globl	_ZN5aiter23act_and_mul_bias_kernelIfthfTnPFfRKT2_EXadL_ZNS_11silu_kernelIfEEfRKT_EELi1EEEvPT0_PS8_PKT1_PS2_il
	.p2align	8
	.type	_ZN5aiter23act_and_mul_bias_kernelIfthfTnPFfRKT2_EXadL_ZNS_11silu_kernelIfEEfRKT_EELi1EEEvPT0_PS8_PKT1_PS2_il,@function
_ZN5aiter23act_and_mul_bias_kernelIfthfTnPFfRKT2_EXadL_ZNS_11silu_kernelIfEEfRKT_EELi1EEEvPT0_PS8_PKT1_PS2_il: ; @_ZN5aiter23act_and_mul_bias_kernelIfthfTnPFfRKT2_EXadL_ZNS_11silu_kernelIfEEfRKT_EELi1EEEvPT0_PS8_PKT1_PS2_il
; %bb.0:
	s_load_dwordx2 s[4:5], s[0:1], 0x10
	s_load_dword s20, s[0:1], 0x20
	s_load_dwordx2 s[8:9], s[0:1], 0x28
	v_mov_b32_e32 v1, s2
	s_load_dwordx2 s[10:11], s[0:1], 0x0
	s_waitcnt lgkmcnt(0)
	global_load_ubyte v1, v1, s[4:5]
	s_ashr_i32 s21, s20, 31
	s_mul_hi_u32 s3, s20, s2
	v_mov_b64_e32 v[2:3], s[8:9]
	s_mul_i32 s8, s21, s2
	s_mul_i32 s14, s20, s2
	s_add_i32 s15, s3, s8
	s_lshl_b64 s[8:9], s[14:15], 1
	s_mov_b32 s13, 0
	s_mov_b64 s[6:7], -1
	v_cmp_gt_i32_e64 s[4:5], s20, v0
	s_waitcnt vmcnt(0)
	v_readfirstlane_b32 s3, v1
	s_and_b32 s12, s3, 0xffff
	s_add_u32 s8, s10, s8
	s_addc_u32 s3, s11, s9
	s_add_i32 s10, s20, 1
	s_lshr_b32 s11, s10, 31
	s_add_i32 s10, s10, s11
	v_cmp_lt_i64_e32 vcc, s[12:13], v[2:3]
	s_and_b32 s9, s3, 0xffff
	s_lshl_b32 s3, s10, 1
	s_and_b32 s10, s3, -4
	s_cbranch_vccnz .LBB86_5
; %bb.1:
	s_and_saveexec_b64 s[6:7], s[4:5]
	s_cbranch_execz .LBB86_4
; %bb.2:
	s_load_dword s3, s[0:1], 0x3c
	v_mov_b32_e32 v1, 0
	s_mov_b32 s5, 0
	v_lshlrev_b32_e32 v4, 1, v0
	s_mov_b64 s[14:15], 0
	s_waitcnt lgkmcnt(0)
	s_and_b32 s4, s3, 0xffff
	s_lshl_b32 s3, s4, 1
	s_mov_b32 s11, 0x20000
	v_mov_b64_e32 v[2:3], v[0:1]
.LBB86_3:                               ; =>This Inner Loop Header: Depth=1
	v_lshl_add_u64 v[2:3], v[2:3], 0, s[4:5]
	v_cmp_le_i64_e32 vcc, s[20:21], v[2:3]
	buffer_store_short v1, v4, s[8:11], 0 offen
	s_or_b64 s[14:15], vcc, s[14:15]
	v_add_u32_e32 v4, s3, v4
	s_andn2_b64 exec, exec, s[14:15]
	s_cbranch_execnz .LBB86_3
.LBB86_4:
	s_or_b64 exec, exec, s[6:7]
	s_mov_b64 s[6:7], 0
.LBB86_5:
	s_andn2_b64 vcc, exec, s[6:7]
	s_cbranch_vccnz .LBB86_9
; %bb.6:
	v_cmp_gt_i32_e32 vcc, s20, v0
	s_and_saveexec_b64 s[4:5], vcc
	s_cbranch_execz .LBB86_9
; %bb.7:
	s_load_dwordx2 s[14:15], s[0:1], 0x8
	s_load_dwordx2 s[4:5], s[0:1], 0x18
	s_mul_hi_i32 s13, s20, s12
	s_mul_i32 s12, s20, s12
	s_lshl_b32 s6, s20, 2
	s_lshl_b64 s[12:13], s[12:13], 3
	s_load_dword s18, s[0:1], 0x3c
	s_waitcnt lgkmcnt(0)
	s_add_u32 s0, s4, s12
	s_addc_u32 s1, s5, s13
	s_lshl_b64 s[16:17], s[20:21], 2
	s_add_u32 s4, s0, s16
	s_addc_u32 s3, s1, s17
	s_and_b32 s5, s3, 0xffff
	s_mul_i32 s3, s2, s21
	s_mul_hi_u32 s12, s2, s20
	s_add_i32 s3, s12, s3
	s_mul_i32 s2, s2, s20
	s_and_b32 s1, s1, 0xffff
	s_lshl_b64 s[2:3], s[2:3], 3
	s_add_u32 s12, s14, s2
	s_addc_u32 s2, s15, s3
	s_add_u32 s16, s12, s16
	s_mov_b32 s11, 0x20000
	s_addc_u32 s3, s2, s17
	s_and_b32 s22, s18, 0xffff
	s_mov_b32 s7, s11
	s_and_b32 s13, s2, 0xffff
	s_and_b32 s17, s3, 0xffff
	s_mov_b32 s23, 0
	v_mov_b32_e32 v1, 0
	v_lshlrev_b32_e32 v2, 1, v0
	s_lshl_b32 s26, s22, 1
	v_lshlrev_b32_e32 v3, 2, v0
	s_lshl_b32 s27, s22, 2
	s_mov_b64 s[24:25], 0
	s_mov_b32 s14, s6
	s_mov_b32 s15, s11
	;; [unrolled: 1-line block ×5, first 2 shown]
	v_mov_b32_e32 v4, 0x7f800000
	s_mov_b32 s18, s6
	s_mov_b32 s19, s11
	;; [unrolled: 1-line block ×4, first 2 shown]
.LBB86_8:                               ; =>This Inner Loop Header: Depth=1
	buffer_load_dword v7, v3, s[12:15], 0 offen
	buffer_load_dword v6, v3, s[16:19], 0 offen
	;; [unrolled: 1-line block ×4, first 2 shown]
	v_lshl_add_u64 v[0:1], v[0:1], 0, s[22:23]
	v_add_u32_e32 v3, s27, v3
	s_waitcnt vmcnt(0)
	v_pk_add_f32 v[6:7], v[6:7], v[8:9]
	s_nop 0
	v_mul_f32_e32 v5, 0xbfb8aa3b, v7
	v_fma_f32 v8, v7, s28, -v5
	v_rndne_f32_e32 v9, v5
	v_fmac_f32_e32 v8, 0xb2a5705f, v7
	v_sub_f32_e32 v5, v5, v9
	v_add_f32_e32 v5, v5, v8
	v_cvt_i32_f32_e32 v9, v9
	v_exp_f32_e32 v5, v5
	v_cmp_nlt_f32_e32 vcc, s29, v7
	v_ldexp_f32 v5, v5, v9
	s_nop 0
	v_cndmask_b32_e32 v5, 0, v5, vcc
	v_cmp_ngt_f32_e32 vcc, s30, v7
	s_nop 1
	v_cndmask_b32_e32 v5, v4, v5, vcc
	v_add_f32_e32 v5, 1.0, v5
	v_rcp_f32_e32 v5, v5
	v_cmp_le_i64_e32 vcc, s[20:21], v[0:1]
	s_or_b64 s[24:25], vcc, s[24:25]
	v_mul_f32_e32 v5, v7, v5
	v_mul_f32_e32 v5, v6, v5
	v_lshrrev_b32_e32 v5, 16, v5
	buffer_store_short v5, v2, s[8:11], 0 offen
	v_add_u32_e32 v2, s26, v2
	s_andn2_b64 exec, exec, s[24:25]
	s_cbranch_execnz .LBB86_8
.LBB86_9:
	s_endpgm
	.section	.rodata,"a",@progbits
	.p2align	6, 0x0
	.amdhsa_kernel _ZN5aiter23act_and_mul_bias_kernelIfthfTnPFfRKT2_EXadL_ZNS_11silu_kernelIfEEfRKT_EELi1EEEvPT0_PS8_PKT1_PS2_il
		.amdhsa_group_segment_fixed_size 0
		.amdhsa_private_segment_fixed_size 0
		.amdhsa_kernarg_size 304
		.amdhsa_user_sgpr_count 2
		.amdhsa_user_sgpr_dispatch_ptr 0
		.amdhsa_user_sgpr_queue_ptr 0
		.amdhsa_user_sgpr_kernarg_segment_ptr 1
		.amdhsa_user_sgpr_dispatch_id 0
		.amdhsa_user_sgpr_kernarg_preload_length 0
		.amdhsa_user_sgpr_kernarg_preload_offset 0
		.amdhsa_user_sgpr_private_segment_size 0
		.amdhsa_uses_dynamic_stack 0
		.amdhsa_enable_private_segment 0
		.amdhsa_system_sgpr_workgroup_id_x 1
		.amdhsa_system_sgpr_workgroup_id_y 0
		.amdhsa_system_sgpr_workgroup_id_z 0
		.amdhsa_system_sgpr_workgroup_info 0
		.amdhsa_system_vgpr_workitem_id 0
		.amdhsa_next_free_vgpr 10
		.amdhsa_next_free_sgpr 31
		.amdhsa_accum_offset 12
		.amdhsa_reserve_vcc 1
		.amdhsa_float_round_mode_32 0
		.amdhsa_float_round_mode_16_64 0
		.amdhsa_float_denorm_mode_32 3
		.amdhsa_float_denorm_mode_16_64 3
		.amdhsa_dx10_clamp 1
		.amdhsa_ieee_mode 1
		.amdhsa_fp16_overflow 0
		.amdhsa_tg_split 0
		.amdhsa_exception_fp_ieee_invalid_op 0
		.amdhsa_exception_fp_denorm_src 0
		.amdhsa_exception_fp_ieee_div_zero 0
		.amdhsa_exception_fp_ieee_overflow 0
		.amdhsa_exception_fp_ieee_underflow 0
		.amdhsa_exception_fp_ieee_inexact 0
		.amdhsa_exception_int_div_zero 0
	.end_amdhsa_kernel
	.section	.text._ZN5aiter23act_and_mul_bias_kernelIfthfTnPFfRKT2_EXadL_ZNS_11silu_kernelIfEEfRKT_EELi1EEEvPT0_PS8_PKT1_PS2_il,"axG",@progbits,_ZN5aiter23act_and_mul_bias_kernelIfthfTnPFfRKT2_EXadL_ZNS_11silu_kernelIfEEfRKT_EELi1EEEvPT0_PS8_PKT1_PS2_il,comdat
.Lfunc_end86:
	.size	_ZN5aiter23act_and_mul_bias_kernelIfthfTnPFfRKT2_EXadL_ZNS_11silu_kernelIfEEfRKT_EELi1EEEvPT0_PS8_PKT1_PS2_il, .Lfunc_end86-_ZN5aiter23act_and_mul_bias_kernelIfthfTnPFfRKT2_EXadL_ZNS_11silu_kernelIfEEfRKT_EELi1EEEvPT0_PS8_PKT1_PS2_il
                                        ; -- End function
	.section	.AMDGPU.csdata,"",@progbits
; Kernel info:
; codeLenInByte = 700
; NumSgprs: 37
; NumVgprs: 10
; NumAgprs: 0
; TotalNumVgprs: 10
; ScratchSize: 0
; MemoryBound: 0
; FloatMode: 240
; IeeeMode: 1
; LDSByteSize: 0 bytes/workgroup (compile time only)
; SGPRBlocks: 4
; VGPRBlocks: 1
; NumSGPRsForWavesPerEU: 37
; NumVGPRsForWavesPerEU: 10
; AccumOffset: 12
; Occupancy: 8
; WaveLimiterHint : 0
; COMPUTE_PGM_RSRC2:SCRATCH_EN: 0
; COMPUTE_PGM_RSRC2:USER_SGPR: 2
; COMPUTE_PGM_RSRC2:TRAP_HANDLER: 0
; COMPUTE_PGM_RSRC2:TGID_X_EN: 1
; COMPUTE_PGM_RSRC2:TGID_Y_EN: 0
; COMPUTE_PGM_RSRC2:TGID_Z_EN: 0
; COMPUTE_PGM_RSRC2:TIDIG_COMP_CNT: 0
; COMPUTE_PGM_RSRC3_GFX90A:ACCUM_OFFSET: 2
; COMPUTE_PGM_RSRC3_GFX90A:TG_SPLIT: 0
	.section	.text._ZN5aiter23act_and_mul_bias_kernelIfDF16_hfTnPFfRKT2_EXadL_ZNS_11silu_kernelIfEEfRKT_EELi16EEEvPT0_PS8_PKT1_PS2_il,"axG",@progbits,_ZN5aiter23act_and_mul_bias_kernelIfDF16_hfTnPFfRKT2_EXadL_ZNS_11silu_kernelIfEEfRKT_EELi16EEEvPT0_PS8_PKT1_PS2_il,comdat
	.protected	_ZN5aiter23act_and_mul_bias_kernelIfDF16_hfTnPFfRKT2_EXadL_ZNS_11silu_kernelIfEEfRKT_EELi16EEEvPT0_PS8_PKT1_PS2_il ; -- Begin function _ZN5aiter23act_and_mul_bias_kernelIfDF16_hfTnPFfRKT2_EXadL_ZNS_11silu_kernelIfEEfRKT_EELi16EEEvPT0_PS8_PKT1_PS2_il
	.globl	_ZN5aiter23act_and_mul_bias_kernelIfDF16_hfTnPFfRKT2_EXadL_ZNS_11silu_kernelIfEEfRKT_EELi16EEEvPT0_PS8_PKT1_PS2_il
	.p2align	8
	.type	_ZN5aiter23act_and_mul_bias_kernelIfDF16_hfTnPFfRKT2_EXadL_ZNS_11silu_kernelIfEEfRKT_EELi16EEEvPT0_PS8_PKT1_PS2_il,@function
_ZN5aiter23act_and_mul_bias_kernelIfDF16_hfTnPFfRKT2_EXadL_ZNS_11silu_kernelIfEEfRKT_EELi16EEEvPT0_PS8_PKT1_PS2_il: ; @_ZN5aiter23act_and_mul_bias_kernelIfDF16_hfTnPFfRKT2_EXadL_ZNS_11silu_kernelIfEEfRKT_EELi16EEEvPT0_PS8_PKT1_PS2_il
; %bb.0:
	s_load_dwordx2 s[4:5], s[0:1], 0x10
	s_load_dword s30, s[0:1], 0x20
	s_load_dwordx2 s[8:9], s[0:1], 0x28
	v_mov_b32_e32 v1, s2
	s_load_dwordx2 s[10:11], s[0:1], 0x0
	s_waitcnt lgkmcnt(0)
	global_load_ubyte v1, v1, s[4:5]
	s_ashr_i32 s31, s30, 31
	s_mul_hi_u32 s3, s30, s2
	s_mul_i32 s4, s31, s2
	s_mul_i32 s12, s30, s2
	s_add_i32 s13, s3, s4
	v_mov_b64_e32 v[2:3], s[8:9]
	s_lshl_b64 s[8:9], s[12:13], 1
	s_mov_b32 s5, 0
	s_mov_b64 s[6:7], -1
	v_lshlrev_b32_e32 v56, 4, v0
	s_waitcnt vmcnt(0)
	v_readfirstlane_b32 s3, v1
	s_and_b32 s4, s3, 0xffff
	s_add_u32 s36, s10, s8
	v_cmp_lt_i64_e32 vcc, s[4:5], v[2:3]
	s_addc_u32 s3, s11, s9
	s_add_i32 s5, s30, 1
	s_lshr_b32 s8, s5, 31
	s_add_i32 s5, s5, s8
	s_and_b32 s37, s3, 0xffff
	s_lshl_b32 s3, s5, 1
	s_and_b32 s38, s3, -4
	s_cbranch_vccnz .LBB87_5
; %bb.1:
	v_cmp_gt_i32_e32 vcc, s30, v56
	s_and_saveexec_b64 s[6:7], vcc
	s_cbranch_execz .LBB87_4
; %bb.2:
	s_load_dword s3, s[0:1], 0x3c
	s_mov_b32 s9, 0
	s_mov_b32 s12, s9
	;; [unrolled: 1-line block ×3, first 2 shown]
	v_mov_b32_e32 v57, 0
	v_lshlrev_b32_e32 v6, 5, v0
	s_waitcnt lgkmcnt(0)
	s_and_b32 s3, s3, 0xffff
	s_mov_b32 s14, s9
	s_mov_b32 s15, s9
	v_mov_b64_e32 v[0:1], s[12:13]
	s_lshl_b32 s8, s3, 4
	s_lshl_b32 s3, s3, 5
	s_mov_b64 s[10:11], 0
	s_mov_b32 s39, 0x20000
	v_mov_b64_e32 v[2:3], s[14:15]
	v_mov_b64_e32 v[4:5], v[56:57]
.LBB87_3:                               ; =>This Inner Loop Header: Depth=1
	v_lshl_add_u64 v[4:5], s[8:9], 0, v[4:5]
	v_cmp_le_i64_e32 vcc, s[30:31], v[4:5]
	buffer_store_dwordx4 v[0:3], v6, s[36:39], 0 offen
	buffer_store_dwordx4 v[0:3], v6, s[36:39], 16 offen
	s_or_b64 s[10:11], vcc, s[10:11]
	v_add_u32_e32 v6, s3, v6
	s_andn2_b64 exec, exec, s[10:11]
	s_cbranch_execnz .LBB87_3
.LBB87_4:
	s_or_b64 exec, exec, s[6:7]
	s_mov_b64 s[6:7], 0
.LBB87_5:
	s_andn2_b64 vcc, exec, s[6:7]
	s_cbranch_vccnz .LBB87_9
; %bb.6:
	v_cmp_gt_i32_e32 vcc, s30, v56
	s_and_saveexec_b64 s[6:7], vcc
	s_cbranch_execz .LBB87_9
; %bb.7:
	s_load_dwordx2 s[6:7], s[0:1], 0x8
	s_load_dwordx2 s[8:9], s[0:1], 0x18
	s_mul_hi_i32 s5, s30, s4
	s_mul_i32 s4, s30, s4
	s_lshl_b32 s42, s30, 2
	s_lshl_b64 s[4:5], s[4:5], 3
	s_waitcnt lgkmcnt(0)
	s_add_u32 s44, s8, s4
	s_addc_u32 s3, s9, s5
	s_lshl_b64 s[4:5], s[30:31], 2
	s_add_u32 s48, s44, s4
	s_addc_u32 s8, s3, s5
	s_and_b32 s45, s3, 0xffff
	s_and_b32 s49, s8, 0xffff
	s_mul_i32 s3, s2, s31
	s_mul_hi_u32 s8, s2, s30
	s_add_i32 s3, s8, s3
	s_mul_i32 s2, s2, s30
	s_lshl_b64 s[2:3], s[2:3], 3
	s_add_u32 s40, s6, s2
	s_addc_u32 s2, s7, s3
	s_add_u32 s52, s40, s4
	s_addc_u32 s3, s2, s5
	s_and_b32 s41, s2, 0xffff
	s_and_b32 s53, s3, 0xffff
	s_mov_b32 s39, 0x20000
	s_add_u32 s34, s0, 48
	s_mov_b32 s43, s39
	v_mov_b32_e32 v57, 0
	s_addc_u32 s35, s1, 0
	s_mov_b64 s[56:57], 0
	s_mov_b32 s59, 0
	s_mov_b32 s33, 0xbfb8aa3b
	;; [unrolled: 1-line block ×4, first 2 shown]
	v_mov_b32_e32 v58, 0x7f800000
	s_mov_b32 s54, s42
	s_mov_b32 s55, s39
	;; [unrolled: 1-line block ×6, first 2 shown]
.LBB87_8:                               ; =>This Inner Loop Header: Depth=1
	v_lshlrev_b32_e32 v59, 2, v56
	buffer_load_dwordx4 v[24:27], v59, s[48:51], 0 offen
	buffer_load_dwordx4 v[36:39], v59, s[52:55], 0 offen
	buffer_load_dwordx4 v[32:35], v59, s[44:47], 0 offen
	buffer_load_dwordx4 v[28:31], v59, s[52:55], 16 offen
	buffer_load_dwordx4 v[44:47], v59, s[48:51], 16 offen
	buffer_load_dwordx4 v[48:51], v59, s[40:43], 0 offen
	buffer_load_dwordx4 v[40:43], v59, s[40:43], 16 offen
	buffer_load_dwordx4 v[52:55], v59, s[44:47], 16 offen
	buffer_load_dwordx4 v[4:7], v59, s[52:55], 32 offen
	buffer_load_dwordx4 v[0:3], v59, s[52:55], 48 offen
	buffer_load_dwordx4 v[8:11], v59, s[44:47], 32 offen
	buffer_load_dwordx4 v[20:23], v59, s[48:51], 32 offen
	buffer_load_dwordx4 v[12:15], v59, s[48:51], 48 offen
	buffer_load_dwordx4 v[60:63], v59, s[40:43], 32 offen
	buffer_load_dwordx4 v[16:19], v59, s[40:43], 48 offen
	s_waitcnt vmcnt(13)
	v_pk_add_f32 v[38:39], v[38:39], v[26:27]
	v_pk_add_f32 v[36:37], v[36:37], v[24:25]
	buffer_load_dwordx4 v[24:27], v59, s[44:47], 48 offen
	s_waitcnt vmcnt(11)
	v_pk_add_f32 v[28:29], v[28:29], v[44:45]
	s_waitcnt vmcnt(10)
	v_pk_add_f32 v[32:33], v[48:49], v[32:33]
	v_pk_add_f32 v[34:35], v[50:51], v[34:35]
	s_waitcnt vmcnt(8)
	v_pk_add_f32 v[42:43], v[42:43], v[54:55]
	v_pk_add_f32 v[40:41], v[40:41], v[52:53]
	;; [unrolled: 1-line block ×3, first 2 shown]
	v_cmp_nlt_f32_e32 vcc, s60, v34
	s_waitcnt vmcnt(4)
	v_pk_add_f32 v[6:7], v[6:7], v[22:23]
	s_waitcnt vmcnt(3)
	v_pk_add_f32 v[2:3], v[2:3], v[14:15]
	v_pk_add_f32 v[4:5], v[4:5], v[20:21]
	;; [unrolled: 1-line block ×3, first 2 shown]
	v_mul_f32_e32 v20, 0xbfb8aa3b, v40
	v_mul_f32_e32 v21, 0xbfb8aa3b, v41
	;; [unrolled: 1-line block ×4, first 2 shown]
	s_waitcnt vmcnt(2)
	v_pk_add_f32 v[10:11], v[62:63], v[10:11]
	v_pk_add_f32 v[8:9], v[60:61], v[8:9]
	v_fma_f32 v59, v40, s33, -v20
	v_rndne_f32_e32 v60, v20
	v_fma_f32 v61, v41, s33, -v21
	v_rndne_f32_e32 v62, v21
	;; [unrolled: 2-line block ×4, first 2 shown]
	v_fmac_f32_e32 v59, 0xb2a5705f, v40
	v_sub_f32_e32 v20, v20, v60
	v_fmac_f32_e32 v61, 0xb2a5705f, v41
	v_sub_f32_e32 v21, v21, v62
	;; [unrolled: 2-line block ×4, first 2 shown]
	v_add_f32_e32 v20, v20, v59
	v_add_f32_e32 v21, v21, v61
	;; [unrolled: 1-line block ×4, first 2 shown]
	v_cvt_i32_f32_e32 v60, v60
	v_cvt_i32_f32_e32 v62, v62
	;; [unrolled: 1-line block ×4, first 2 shown]
	v_exp_f32_e32 v20, v20
	v_exp_f32_e32 v21, v21
	;; [unrolled: 1-line block ×4, first 2 shown]
	v_ldexp_f32 v20, v20, v60
	v_ldexp_f32 v21, v21, v62
	v_ldexp_f32 v22, v22, v64
	v_ldexp_f32 v23, v23, v66
	v_cmp_nlt_f32_e64 s[0:1], s60, v35
	v_cmp_nlt_f32_e64 s[2:3], s60, v40
	;; [unrolled: 1-line block ×11, first 2 shown]
	v_cndmask_b32_e64 v20, 0, v20, s[2:3]
	v_cmp_ngt_f32_e64 s[2:3], s61, v40
	v_cndmask_b32_e64 v21, 0, v21, s[4:5]
	v_cmp_ngt_f32_e64 s[4:5], s61, v41
	;; [unrolled: 2-line block ×4, first 2 shown]
	v_cndmask_b32_e64 v20, v58, v20, s[2:3]
	v_cndmask_b32_e64 v21, v58, v21, s[4:5]
	;; [unrolled: 1-line block ×4, first 2 shown]
	s_waitcnt vmcnt(0)
	v_pk_add_f32 v[14:15], v[16:17], v[24:25]
	v_mul_f32_e32 v16, 0xbfb8aa3b, v32
	v_pk_add_f32 v[12:13], v[18:19], v[26:27]
	v_mul_f32_e32 v17, 0xbfb8aa3b, v33
	v_mul_f32_e32 v18, 0xbfb8aa3b, v34
	;; [unrolled: 1-line block ×3, first 2 shown]
	v_fma_f32 v48, v32, s33, -v16
	v_rndne_f32_e32 v49, v16
	v_fma_f32 v50, v33, s33, -v17
	v_rndne_f32_e32 v51, v17
	;; [unrolled: 2-line block ×4, first 2 shown]
	v_fmac_f32_e32 v48, 0xb2a5705f, v32
	v_sub_f32_e32 v16, v16, v49
	v_mul_f32_e32 v25, 0xbfb8aa3b, v9
	v_mul_f32_e32 v26, 0xbfb8aa3b, v10
	;; [unrolled: 1-line block ×4, first 2 shown]
	v_add_f32_e32 v48, v16, v48
	v_fmac_f32_e32 v50, 0xb2a5705f, v33
	v_sub_f32_e32 v16, v17, v51
	v_fmac_f32_e32 v52, 0xb2a5705f, v34
	v_sub_f32_e32 v18, v18, v53
	;; [unrolled: 2-line block ×3, first 2 shown]
	v_add_f32_e32 v17, v16, v50
	v_fma_f32 v16, v9, s33, -v25
	v_add_f32_e32 v18, v18, v52
	v_rndne_f32_e32 v50, v25
	v_add_f32_e32 v19, v19, v54
	v_fma_f32 v52, v10, s33, -v26
	v_rndne_f32_e32 v54, v26
	v_fma_f32 v59, v11, s33, -v27
	v_rndne_f32_e32 v61, v27
	;; [unrolled: 2-line block ×3, first 2 shown]
	v_mul_f32_e32 v45, 0xbfb8aa3b, v15
	v_mul_f32_e32 v46, 0xbfb8aa3b, v12
	v_fmac_f32_e32 v16, 0xb2a5705f, v9
	v_sub_f32_e32 v25, v25, v50
	v_fmac_f32_e32 v52, 0xb2a5705f, v10
	v_sub_f32_e32 v26, v26, v54
	v_fmac_f32_e32 v59, 0xb2a5705f, v11
	v_sub_f32_e32 v27, v27, v61
	v_fmac_f32_e32 v63, 0xb2a5705f, v14
	v_sub_f32_e32 v44, v44, v65
	v_add_f32_e32 v25, v25, v16
	v_fma_f32 v16, v15, s33, -v45
	v_add_f32_e32 v26, v26, v52
	v_rndne_f32_e32 v52, v45
	v_add_f32_e32 v27, v27, v59
	v_fma_f32 v59, v12, s33, -v46
	v_add_f32_e32 v44, v44, v63
	v_rndne_f32_e32 v63, v46
	v_mul_f32_e32 v24, 0xbfb8aa3b, v8
	v_mul_f32_e32 v47, 0xbfb8aa3b, v13
	v_fmac_f32_e32 v16, 0xb2a5705f, v15
	v_sub_f32_e32 v45, v45, v52
	v_fmac_f32_e32 v59, 0xb2a5705f, v12
	v_sub_f32_e32 v46, v46, v63
	v_fma_f32 v67, v8, s33, -v24
	v_rndne_f32_e32 v68, v24
	v_add_f32_e32 v45, v45, v16
	v_fma_f32 v16, v13, s33, -v47
	v_add_f32_e32 v46, v46, v59
	v_rndne_f32_e32 v59, v47
	v_fmac_f32_e32 v67, 0xb2a5705f, v8
	v_sub_f32_e32 v24, v24, v68
	v_fmac_f32_e32 v16, 0xb2a5705f, v13
	v_sub_f32_e32 v47, v47, v59
	v_add_f32_e32 v24, v24, v67
	v_add_f32_e32 v47, v47, v16
	v_cvt_i32_f32_e32 v49, v49
	v_cvt_i32_f32_e32 v51, v51
	;; [unrolled: 1-line block ×4, first 2 shown]
	v_exp_f32_e32 v48, v48
	v_exp_f32_e32 v17, v17
	;; [unrolled: 1-line block ×4, first 2 shown]
	v_cvt_i32_f32_e32 v67, v68
	v_cvt_i32_f32_e32 v50, v50
	;; [unrolled: 1-line block ×8, first 2 shown]
	v_exp_f32_e32 v24, v24
	v_exp_f32_e32 v25, v25
	;; [unrolled: 1-line block ×8, first 2 shown]
	v_ldexp_f32 v48, v48, v49
	v_ldexp_f32 v17, v17, v51
	;; [unrolled: 1-line block ×11, first 2 shown]
	v_cmp_nlt_f32_e64 s[18:19], s60, v14
	v_cmp_nlt_f32_e64 s[20:21], s60, v15
	;; [unrolled: 1-line block ×3, first 2 shown]
	v_ldexp_f32 v47, v47, v59
	v_cmp_nlt_f32_e64 s[24:25], s60, v13
	v_cndmask_b32_e64 v17, 0, v17, s[28:29]
	v_cmp_ngt_f32_e64 s[28:29], s61, v33
	v_cndmask_b32_e32 v18, 0, v18, vcc
	v_cmp_ngt_f32_e32 vcc, s61, v34
	v_cndmask_b32_e64 v19, 0, v19, s[0:1]
	v_cmp_ngt_f32_e64 s[0:1], s61, v35
	v_cndmask_b32_e64 v48, 0, v48, s[26:27]
	v_cmp_ngt_f32_e64 s[26:27], s61, v32
	;; [unrolled: 2-line block ×10, first 2 shown]
	v_cndmask_b32_e64 v48, v58, v48, s[26:27]
	v_cndmask_b32_e64 v17, v58, v17, s[28:29]
	v_cndmask_b32_e32 v18, v58, v18, vcc
	v_cndmask_b32_e64 v19, v58, v19, s[0:1]
	v_cndmask_b32_e64 v24, v58, v24, s[10:11]
	;; [unrolled: 1-line block ×9, first 2 shown]
	v_add_f32_e32 v48, 1.0, v48
	v_add_f32_e32 v17, 1.0, v17
	v_add_f32_e32 v49, 1.0, v18
	v_add_f32_e32 v50, 1.0, v19
	v_add_f32_e32 v51, 1.0, v20
	v_add_f32_e32 v52, 1.0, v21
	v_add_f32_e32 v53, 1.0, v22
	v_add_f32_e32 v54, 1.0, v23
	v_add_f32_e32 v55, 1.0, v24
	v_add_f32_e32 v59, 1.0, v25
	v_add_f32_e32 v60, 1.0, v26
	v_add_f32_e32 v61, 1.0, v27
	v_add_f32_e32 v62, 1.0, v44
	v_add_f32_e32 v63, 1.0, v45
	v_add_f32_e32 v64, 1.0, v46
	v_add_f32_e32 v65, 1.0, v47
	v_rcp_f32_e32 v18, v48
	v_rcp_f32_e32 v19, v17
	;; [unrolled: 1-line block ×16, first 2 shown]
	v_pk_mul_f32 v[18:19], v[32:33], v[18:19]
	v_pk_mul_f32 v[20:21], v[34:35], v[20:21]
	;; [unrolled: 1-line block ×8, first 2 shown]
	;;#ASMSTART
	v_pk_mul_f32 v[18:19], v[18:19], v[36:37]
	;;#ASMEND
	;;#ASMSTART
	v_pk_mul_f32 v[20:21], v[20:21], v[38:39]
	;;#ASMEND
	;; [unrolled: 3-line block ×7, first 2 shown]
	s_nop 0
	;;#ASMSTART
	v_pk_mul_f32 v[2:3], v[12:13], v[2:3]
	;;#ASMEND
	s_load_dword s0, s[34:35], 0xc
	v_cvt_f16_f32_e32 v8, v18
	v_cvt_f16_f32_e32 v9, v19
	;; [unrolled: 1-line block ×16, first 2 shown]
	s_waitcnt lgkmcnt(0)
	s_and_b32 s0, s0, 0xffff
	s_lshl_b32 s58, s0, 4
	v_lshlrev_b32_e32 v16, 1, v56
	v_lshl_add_u64 v[56:57], s[58:59], 0, v[56:57]
	v_cmp_le_i64_e32 vcc, s[30:31], v[56:57]
	v_pack_b32_f16 v1, v10, v11
	v_pack_b32_f16 v3, v14, v15
	;; [unrolled: 1-line block ×8, first 2 shown]
	s_or_b64 s[56:57], vcc, s[56:57]
	buffer_store_dwordx4 v[0:3], v16, s[36:39], 0 offen
	buffer_store_dwordx4 v[4:7], v16, s[36:39], 16 offen
	s_andn2_b64 exec, exec, s[56:57]
	s_cbranch_execnz .LBB87_8
.LBB87_9:
	s_endpgm
	.section	.rodata,"a",@progbits
	.p2align	6, 0x0
	.amdhsa_kernel _ZN5aiter23act_and_mul_bias_kernelIfDF16_hfTnPFfRKT2_EXadL_ZNS_11silu_kernelIfEEfRKT_EELi16EEEvPT0_PS8_PKT1_PS2_il
		.amdhsa_group_segment_fixed_size 0
		.amdhsa_private_segment_fixed_size 0
		.amdhsa_kernarg_size 304
		.amdhsa_user_sgpr_count 2
		.amdhsa_user_sgpr_dispatch_ptr 0
		.amdhsa_user_sgpr_queue_ptr 0
		.amdhsa_user_sgpr_kernarg_segment_ptr 1
		.amdhsa_user_sgpr_dispatch_id 0
		.amdhsa_user_sgpr_kernarg_preload_length 0
		.amdhsa_user_sgpr_kernarg_preload_offset 0
		.amdhsa_user_sgpr_private_segment_size 0
		.amdhsa_uses_dynamic_stack 0
		.amdhsa_enable_private_segment 0
		.amdhsa_system_sgpr_workgroup_id_x 1
		.amdhsa_system_sgpr_workgroup_id_y 0
		.amdhsa_system_sgpr_workgroup_id_z 0
		.amdhsa_system_sgpr_workgroup_info 0
		.amdhsa_system_vgpr_workitem_id 0
		.amdhsa_next_free_vgpr 69
		.amdhsa_next_free_sgpr 62
		.amdhsa_accum_offset 72
		.amdhsa_reserve_vcc 1
		.amdhsa_float_round_mode_32 0
		.amdhsa_float_round_mode_16_64 0
		.amdhsa_float_denorm_mode_32 3
		.amdhsa_float_denorm_mode_16_64 3
		.amdhsa_dx10_clamp 1
		.amdhsa_ieee_mode 1
		.amdhsa_fp16_overflow 0
		.amdhsa_tg_split 0
		.amdhsa_exception_fp_ieee_invalid_op 0
		.amdhsa_exception_fp_denorm_src 0
		.amdhsa_exception_fp_ieee_div_zero 0
		.amdhsa_exception_fp_ieee_overflow 0
		.amdhsa_exception_fp_ieee_underflow 0
		.amdhsa_exception_fp_ieee_inexact 0
		.amdhsa_exception_int_div_zero 0
	.end_amdhsa_kernel
	.section	.text._ZN5aiter23act_and_mul_bias_kernelIfDF16_hfTnPFfRKT2_EXadL_ZNS_11silu_kernelIfEEfRKT_EELi16EEEvPT0_PS8_PKT1_PS2_il,"axG",@progbits,_ZN5aiter23act_and_mul_bias_kernelIfDF16_hfTnPFfRKT2_EXadL_ZNS_11silu_kernelIfEEfRKT_EELi16EEEvPT0_PS8_PKT1_PS2_il,comdat
.Lfunc_end87:
	.size	_ZN5aiter23act_and_mul_bias_kernelIfDF16_hfTnPFfRKT2_EXadL_ZNS_11silu_kernelIfEEfRKT_EELi16EEEvPT0_PS8_PKT1_PS2_il, .Lfunc_end87-_ZN5aiter23act_and_mul_bias_kernelIfDF16_hfTnPFfRKT2_EXadL_ZNS_11silu_kernelIfEEfRKT_EELi16EEEvPT0_PS8_PKT1_PS2_il
                                        ; -- End function
	.section	.AMDGPU.csdata,"",@progbits
; Kernel info:
; codeLenInByte = 2604
; NumSgprs: 68
; NumVgprs: 69
; NumAgprs: 0
; TotalNumVgprs: 69
; ScratchSize: 0
; MemoryBound: 0
; FloatMode: 240
; IeeeMode: 1
; LDSByteSize: 0 bytes/workgroup (compile time only)
; SGPRBlocks: 8
; VGPRBlocks: 8
; NumSGPRsForWavesPerEU: 68
; NumVGPRsForWavesPerEU: 69
; AccumOffset: 72
; Occupancy: 7
; WaveLimiterHint : 0
; COMPUTE_PGM_RSRC2:SCRATCH_EN: 0
; COMPUTE_PGM_RSRC2:USER_SGPR: 2
; COMPUTE_PGM_RSRC2:TRAP_HANDLER: 0
; COMPUTE_PGM_RSRC2:TGID_X_EN: 1
; COMPUTE_PGM_RSRC2:TGID_Y_EN: 0
; COMPUTE_PGM_RSRC2:TGID_Z_EN: 0
; COMPUTE_PGM_RSRC2:TIDIG_COMP_CNT: 0
; COMPUTE_PGM_RSRC3_GFX90A:ACCUM_OFFSET: 17
; COMPUTE_PGM_RSRC3_GFX90A:TG_SPLIT: 0
	.section	.text._ZN5aiter23act_and_mul_bias_kernelIfDF16_hfTnPFfRKT2_EXadL_ZNS_11silu_kernelIfEEfRKT_EELi8EEEvPT0_PS8_PKT1_PS2_il,"axG",@progbits,_ZN5aiter23act_and_mul_bias_kernelIfDF16_hfTnPFfRKT2_EXadL_ZNS_11silu_kernelIfEEfRKT_EELi8EEEvPT0_PS8_PKT1_PS2_il,comdat
	.protected	_ZN5aiter23act_and_mul_bias_kernelIfDF16_hfTnPFfRKT2_EXadL_ZNS_11silu_kernelIfEEfRKT_EELi8EEEvPT0_PS8_PKT1_PS2_il ; -- Begin function _ZN5aiter23act_and_mul_bias_kernelIfDF16_hfTnPFfRKT2_EXadL_ZNS_11silu_kernelIfEEfRKT_EELi8EEEvPT0_PS8_PKT1_PS2_il
	.globl	_ZN5aiter23act_and_mul_bias_kernelIfDF16_hfTnPFfRKT2_EXadL_ZNS_11silu_kernelIfEEfRKT_EELi8EEEvPT0_PS8_PKT1_PS2_il
	.p2align	8
	.type	_ZN5aiter23act_and_mul_bias_kernelIfDF16_hfTnPFfRKT2_EXadL_ZNS_11silu_kernelIfEEfRKT_EELi8EEEvPT0_PS8_PKT1_PS2_il,@function
_ZN5aiter23act_and_mul_bias_kernelIfDF16_hfTnPFfRKT2_EXadL_ZNS_11silu_kernelIfEEfRKT_EELi8EEEvPT0_PS8_PKT1_PS2_il: ; @_ZN5aiter23act_and_mul_bias_kernelIfDF16_hfTnPFfRKT2_EXadL_ZNS_11silu_kernelIfEEfRKT_EELi8EEEvPT0_PS8_PKT1_PS2_il
; %bb.0:
	s_load_dwordx2 s[4:5], s[0:1], 0x10
	s_load_dword s14, s[0:1], 0x20
	s_load_dwordx2 s[8:9], s[0:1], 0x28
	v_mov_b32_e32 v1, s2
	s_load_dwordx2 s[10:11], s[0:1], 0x0
	s_waitcnt lgkmcnt(0)
	global_load_ubyte v1, v1, s[4:5]
	s_ashr_i32 s15, s14, 31
	s_mul_hi_u32 s3, s14, s2
	s_mul_i32 s4, s15, s2
	s_mul_i32 s12, s14, s2
	s_add_i32 s13, s3, s4
	v_mov_b64_e32 v[2:3], s[8:9]
	s_lshl_b64 s[8:9], s[12:13], 1
	s_mov_b32 s5, 0
	s_mov_b64 s[6:7], -1
	v_lshlrev_b32_e32 v4, 3, v0
	s_waitcnt vmcnt(0)
	v_readfirstlane_b32 s3, v1
	s_and_b32 s4, s3, 0xffff
	s_add_u32 s16, s10, s8
	v_cmp_lt_i64_e32 vcc, s[4:5], v[2:3]
	s_addc_u32 s3, s11, s9
	s_add_i32 s5, s14, 1
	s_lshr_b32 s8, s5, 31
	s_add_i32 s5, s5, s8
	s_and_b32 s17, s3, 0xffff
	s_lshl_b32 s3, s5, 1
	s_and_b32 s18, s3, -4
	s_cbranch_vccnz .LBB88_5
; %bb.1:
	v_cmp_gt_i32_e32 vcc, s14, v4
	s_and_saveexec_b64 s[6:7], vcc
	s_cbranch_execz .LBB88_4
; %bb.2:
	s_load_dword s3, s[0:1], 0x3c
	v_mov_b32_e32 v5, 0
	s_mov_b32 s9, 0
	v_lshlrev_b32_e32 v8, 4, v0
	s_mov_b64 s[10:11], 0
	s_waitcnt lgkmcnt(0)
	s_and_b32 s3, s3, 0xffff
	s_lshl_b32 s8, s3, 3
	s_lshl_b32 s3, s3, 4
	s_mov_b32 s19, 0x20000
	v_mov_b32_e32 v0, v5
	v_mov_b32_e32 v1, v5
	;; [unrolled: 1-line block ×4, first 2 shown]
	v_mov_b64_e32 v[6:7], v[4:5]
.LBB88_3:                               ; =>This Inner Loop Header: Depth=1
	v_lshl_add_u64 v[6:7], s[8:9], 0, v[6:7]
	v_cmp_le_i64_e32 vcc, s[14:15], v[6:7]
	buffer_store_dwordx4 v[0:3], v8, s[16:19], 0 offen
	s_or_b64 s[10:11], vcc, s[10:11]
	v_add_u32_e32 v8, s3, v8
	s_andn2_b64 exec, exec, s[10:11]
	s_cbranch_execnz .LBB88_3
.LBB88_4:
	s_or_b64 exec, exec, s[6:7]
	s_mov_b64 s[6:7], 0
.LBB88_5:
	s_andn2_b64 vcc, exec, s[6:7]
	s_cbranch_vccnz .LBB88_9
; %bb.6:
	v_cmp_gt_i32_e32 vcc, s14, v4
	s_and_saveexec_b64 s[6:7], vcc
	s_cbranch_execz .LBB88_9
; %bb.7:
	s_load_dwordx2 s[6:7], s[0:1], 0x8
	s_load_dwordx2 s[8:9], s[0:1], 0x18
	s_mul_hi_i32 s5, s14, s4
	s_mul_i32 s4, s14, s4
	s_lshl_b32 s22, s14, 2
	s_lshl_b64 s[4:5], s[4:5], 3
	s_waitcnt lgkmcnt(0)
	s_add_u32 s24, s8, s4
	s_addc_u32 s3, s9, s5
	s_lshl_b64 s[4:5], s[14:15], 2
	s_add_u32 s28, s24, s4
	s_addc_u32 s8, s3, s5
	s_and_b32 s25, s3, 0xffff
	s_and_b32 s29, s8, 0xffff
	s_mul_i32 s3, s2, s15
	s_mul_hi_u32 s8, s2, s14
	s_add_i32 s3, s8, s3
	s_mul_i32 s2, s2, s14
	s_lshl_b64 s[2:3], s[2:3], 3
	s_add_u32 s20, s6, s2
	s_addc_u32 s2, s7, s3
	s_add_u32 s36, s20, s4
	s_addc_u32 s3, s2, s5
	s_and_b32 s21, s2, 0xffff
	s_and_b32 s37, s3, 0xffff
	s_mov_b32 s19, 0x20000
	s_add_u32 s34, s0, 48
	s_mov_b32 s23, s19
	v_mov_b32_e32 v5, 0
	s_addc_u32 s35, s1, 0
	s_mov_b64 s[40:41], 0
	s_mov_b32 s43, 0
	s_mov_b32 s33, 0xbfb8aa3b
	;; [unrolled: 1-line block ×4, first 2 shown]
	v_mov_b32_e32 v10, 0x7f800000
	s_mov_b32 s38, s22
	s_mov_b32 s39, s19
	;; [unrolled: 1-line block ×6, first 2 shown]
.LBB88_8:                               ; =>This Inner Loop Header: Depth=1
	v_lshlrev_b32_e32 v0, 2, v4
	buffer_load_dwordx4 v[6:9], v0, s[28:31], 0 offen
	buffer_load_dwordx4 v[12:15], v0, s[36:39], 0 offen
	;; [unrolled: 1-line block ×8, first 2 shown]
	v_lshlrev_b32_e32 v11, 1, v4
	s_waitcnt vmcnt(6)
	v_pk_add_f32 v[0:1], v[14:15], v[8:9]
	v_pk_add_f32 v[2:3], v[12:13], v[6:7]
	s_waitcnt vmcnt(4)
	v_pk_add_f32 v[12:13], v[18:19], v[22:23]
	v_pk_add_f32 v[14:15], v[16:17], v[20:21]
	;; [unrolled: 3-line block ×4, first 2 shown]
	v_mul_f32_e32 v20, 0xbfb8aa3b, v14
	v_mul_f32_e32 v21, 0xbfb8aa3b, v15
	;; [unrolled: 1-line block ×8, first 2 shown]
	v_fma_f32 v28, v14, s33, -v20
	v_rndne_f32_e32 v29, v20
	v_fma_f32 v30, v15, s33, -v21
	v_rndne_f32_e32 v31, v21
	;; [unrolled: 2-line block ×8, first 2 shown]
	v_fmac_f32_e32 v28, 0xb2a5705f, v14
	v_sub_f32_e32 v20, v20, v29
	v_fmac_f32_e32 v30, 0xb2a5705f, v15
	v_sub_f32_e32 v21, v21, v31
	;; [unrolled: 2-line block ×8, first 2 shown]
	v_add_f32_e32 v20, v20, v28
	v_add_f32_e32 v21, v21, v30
	;; [unrolled: 1-line block ×8, first 2 shown]
	v_cvt_i32_f32_e32 v29, v29
	v_cvt_i32_f32_e32 v31, v31
	;; [unrolled: 1-line block ×8, first 2 shown]
	v_exp_f32_e32 v20, v20
	v_exp_f32_e32 v21, v21
	v_exp_f32_e32 v22, v22
	v_exp_f32_e32 v23, v23
	v_exp_f32_e32 v24, v24
	v_exp_f32_e32 v25, v25
	v_exp_f32_e32 v26, v26
	v_exp_f32_e32 v27, v27
	v_ldexp_f32 v20, v20, v29
	v_ldexp_f32 v21, v21, v31
	v_cmp_nlt_f32_e32 vcc, s44, v15
	v_ldexp_f32 v22, v22, v33
	v_cmp_nlt_f32_e64 s[0:1], s44, v12
	v_ldexp_f32 v23, v23, v35
	v_cmp_nlt_f32_e64 s[2:3], s44, v13
	;; [unrolled: 2-line block ×6, first 2 shown]
	v_cmp_nlt_f32_e64 s[12:13], s44, v14
	v_cndmask_b32_e32 v21, 0, v21, vcc
	v_cmp_ngt_f32_e32 vcc, s45, v15
	v_cndmask_b32_e64 v20, 0, v20, s[12:13]
	v_cndmask_b32_e64 v22, 0, v22, s[0:1]
	v_cmp_ngt_f32_e64 s[0:1], s45, v12
	v_cndmask_b32_e64 v23, 0, v23, s[2:3]
	v_cmp_ngt_f32_e64 s[2:3], s45, v13
	v_cndmask_b32_e64 v24, 0, v24, s[4:5]
	v_cmp_ngt_f32_e64 s[4:5], s45, v18
	v_cndmask_b32_e64 v25, 0, v25, s[6:7]
	v_cmp_ngt_f32_e64 s[6:7], s45, v19
	v_cndmask_b32_e64 v26, 0, v26, s[8:9]
	v_cmp_ngt_f32_e64 s[8:9], s45, v16
	v_cndmask_b32_e64 v27, 0, v27, s[10:11]
	v_cmp_ngt_f32_e64 s[10:11], s45, v17
	v_cmp_ngt_f32_e64 s[12:13], s45, v14
	v_cndmask_b32_e32 v21, v10, v21, vcc
	v_cndmask_b32_e64 v22, v10, v22, s[0:1]
	v_cndmask_b32_e64 v20, v10, v20, s[12:13]
	;; [unrolled: 1-line block ×7, first 2 shown]
	v_add_f32_e32 v20, 1.0, v20
	v_add_f32_e32 v21, 1.0, v21
	;; [unrolled: 1-line block ×8, first 2 shown]
	v_rcp_f32_e32 v20, v20
	v_rcp_f32_e32 v21, v21
	;; [unrolled: 1-line block ×8, first 2 shown]
	v_pk_mul_f32 v[14:15], v[14:15], v[20:21]
	v_pk_mul_f32 v[12:13], v[12:13], v[22:23]
	;; [unrolled: 1-line block ×4, first 2 shown]
	;;#ASMSTART
	v_pk_mul_f32 v[2:3], v[14:15], v[2:3]
	;;#ASMEND
	;;#ASMSTART
	v_pk_mul_f32 v[0:1], v[12:13], v[0:1]
	;;#ASMEND
	;; [unrolled: 3-line block ×3, first 2 shown]
	s_nop 0
	;;#ASMSTART
	v_pk_mul_f32 v[6:7], v[16:17], v[6:7]
	;;#ASMEND
	s_load_dword s0, s[34:35], 0xc
	v_cvt_f16_f32_e32 v2, v2
	v_cvt_f16_f32_e32 v12, v3
	;; [unrolled: 1-line block ×8, first 2 shown]
	s_waitcnt lgkmcnt(0)
	s_and_b32 s0, s0, 0xffff
	s_lshl_b32 s42, s0, 3
	v_lshl_add_u64 v[4:5], s[42:43], 0, v[4:5]
	v_cmp_le_i64_e32 vcc, s[14:15], v[4:5]
	v_pack_b32_f16 v1, v0, v1
	v_pack_b32_f16 v3, v3, v6
	;; [unrolled: 1-line block ×4, first 2 shown]
	s_or_b64 s[40:41], vcc, s[40:41]
	buffer_store_dwordx4 v[0:3], v11, s[16:19], 0 offen
	s_andn2_b64 exec, exec, s[40:41]
	s_cbranch_execnz .LBB88_8
.LBB88_9:
	s_endpgm
	.section	.rodata,"a",@progbits
	.p2align	6, 0x0
	.amdhsa_kernel _ZN5aiter23act_and_mul_bias_kernelIfDF16_hfTnPFfRKT2_EXadL_ZNS_11silu_kernelIfEEfRKT_EELi8EEEvPT0_PS8_PKT1_PS2_il
		.amdhsa_group_segment_fixed_size 0
		.amdhsa_private_segment_fixed_size 0
		.amdhsa_kernarg_size 304
		.amdhsa_user_sgpr_count 2
		.amdhsa_user_sgpr_dispatch_ptr 0
		.amdhsa_user_sgpr_queue_ptr 0
		.amdhsa_user_sgpr_kernarg_segment_ptr 1
		.amdhsa_user_sgpr_dispatch_id 0
		.amdhsa_user_sgpr_kernarg_preload_length 0
		.amdhsa_user_sgpr_kernarg_preload_offset 0
		.amdhsa_user_sgpr_private_segment_size 0
		.amdhsa_uses_dynamic_stack 0
		.amdhsa_enable_private_segment 0
		.amdhsa_system_sgpr_workgroup_id_x 1
		.amdhsa_system_sgpr_workgroup_id_y 0
		.amdhsa_system_sgpr_workgroup_id_z 0
		.amdhsa_system_sgpr_workgroup_info 0
		.amdhsa_system_vgpr_workitem_id 0
		.amdhsa_next_free_vgpr 44
		.amdhsa_next_free_sgpr 46
		.amdhsa_accum_offset 44
		.amdhsa_reserve_vcc 1
		.amdhsa_float_round_mode_32 0
		.amdhsa_float_round_mode_16_64 0
		.amdhsa_float_denorm_mode_32 3
		.amdhsa_float_denorm_mode_16_64 3
		.amdhsa_dx10_clamp 1
		.amdhsa_ieee_mode 1
		.amdhsa_fp16_overflow 0
		.amdhsa_tg_split 0
		.amdhsa_exception_fp_ieee_invalid_op 0
		.amdhsa_exception_fp_denorm_src 0
		.amdhsa_exception_fp_ieee_div_zero 0
		.amdhsa_exception_fp_ieee_overflow 0
		.amdhsa_exception_fp_ieee_underflow 0
		.amdhsa_exception_fp_ieee_inexact 0
		.amdhsa_exception_int_div_zero 0
	.end_amdhsa_kernel
	.section	.text._ZN5aiter23act_and_mul_bias_kernelIfDF16_hfTnPFfRKT2_EXadL_ZNS_11silu_kernelIfEEfRKT_EELi8EEEvPT0_PS8_PKT1_PS2_il,"axG",@progbits,_ZN5aiter23act_and_mul_bias_kernelIfDF16_hfTnPFfRKT2_EXadL_ZNS_11silu_kernelIfEEfRKT_EELi8EEEvPT0_PS8_PKT1_PS2_il,comdat
.Lfunc_end88:
	.size	_ZN5aiter23act_and_mul_bias_kernelIfDF16_hfTnPFfRKT2_EXadL_ZNS_11silu_kernelIfEEfRKT_EELi8EEEvPT0_PS8_PKT1_PS2_il, .Lfunc_end88-_ZN5aiter23act_and_mul_bias_kernelIfDF16_hfTnPFfRKT2_EXadL_ZNS_11silu_kernelIfEEfRKT_EELi8EEEvPT0_PS8_PKT1_PS2_il
                                        ; -- End function
	.section	.AMDGPU.csdata,"",@progbits
; Kernel info:
; codeLenInByte = 1572
; NumSgprs: 52
; NumVgprs: 44
; NumAgprs: 0
; TotalNumVgprs: 44
; ScratchSize: 0
; MemoryBound: 0
; FloatMode: 240
; IeeeMode: 1
; LDSByteSize: 0 bytes/workgroup (compile time only)
; SGPRBlocks: 6
; VGPRBlocks: 5
; NumSGPRsForWavesPerEU: 52
; NumVGPRsForWavesPerEU: 44
; AccumOffset: 44
; Occupancy: 8
; WaveLimiterHint : 0
; COMPUTE_PGM_RSRC2:SCRATCH_EN: 0
; COMPUTE_PGM_RSRC2:USER_SGPR: 2
; COMPUTE_PGM_RSRC2:TRAP_HANDLER: 0
; COMPUTE_PGM_RSRC2:TGID_X_EN: 1
; COMPUTE_PGM_RSRC2:TGID_Y_EN: 0
; COMPUTE_PGM_RSRC2:TGID_Z_EN: 0
; COMPUTE_PGM_RSRC2:TIDIG_COMP_CNT: 0
; COMPUTE_PGM_RSRC3_GFX90A:ACCUM_OFFSET: 10
; COMPUTE_PGM_RSRC3_GFX90A:TG_SPLIT: 0
	.section	.text._ZN5aiter23act_and_mul_bias_kernelIfDF16_hfTnPFfRKT2_EXadL_ZNS_11silu_kernelIfEEfRKT_EELi4EEEvPT0_PS8_PKT1_PS2_il,"axG",@progbits,_ZN5aiter23act_and_mul_bias_kernelIfDF16_hfTnPFfRKT2_EXadL_ZNS_11silu_kernelIfEEfRKT_EELi4EEEvPT0_PS8_PKT1_PS2_il,comdat
	.protected	_ZN5aiter23act_and_mul_bias_kernelIfDF16_hfTnPFfRKT2_EXadL_ZNS_11silu_kernelIfEEfRKT_EELi4EEEvPT0_PS8_PKT1_PS2_il ; -- Begin function _ZN5aiter23act_and_mul_bias_kernelIfDF16_hfTnPFfRKT2_EXadL_ZNS_11silu_kernelIfEEfRKT_EELi4EEEvPT0_PS8_PKT1_PS2_il
	.globl	_ZN5aiter23act_and_mul_bias_kernelIfDF16_hfTnPFfRKT2_EXadL_ZNS_11silu_kernelIfEEfRKT_EELi4EEEvPT0_PS8_PKT1_PS2_il
	.p2align	8
	.type	_ZN5aiter23act_and_mul_bias_kernelIfDF16_hfTnPFfRKT2_EXadL_ZNS_11silu_kernelIfEEfRKT_EELi4EEEvPT0_PS8_PKT1_PS2_il,@function
_ZN5aiter23act_and_mul_bias_kernelIfDF16_hfTnPFfRKT2_EXadL_ZNS_11silu_kernelIfEEfRKT_EELi4EEEvPT0_PS8_PKT1_PS2_il: ; @_ZN5aiter23act_and_mul_bias_kernelIfDF16_hfTnPFfRKT2_EXadL_ZNS_11silu_kernelIfEEfRKT_EELi4EEEvPT0_PS8_PKT1_PS2_il
; %bb.0:
	s_load_dwordx2 s[4:5], s[0:1], 0x10
	s_load_dword s6, s[0:1], 0x20
	s_load_dwordx2 s[8:9], s[0:1], 0x28
	v_mov_b32_e32 v1, s2
	s_load_dwordx2 s[10:11], s[0:1], 0x0
	s_waitcnt lgkmcnt(0)
	global_load_ubyte v1, v1, s[4:5]
	s_ashr_i32 s7, s6, 31
	s_mul_hi_u32 s3, s6, s2
	s_mul_i32 s4, s7, s2
	s_mul_i32 s14, s6, s2
	s_add_i32 s15, s3, s4
	v_mov_b64_e32 v[4:5], s[8:9]
	s_lshl_b64 s[8:9], s[14:15], 1
	s_mov_b32 s5, 0
	s_mov_b64 s[12:13], -1
	v_lshlrev_b32_e32 v2, 2, v0
	s_waitcnt vmcnt(0)
	v_readfirstlane_b32 s3, v1
	s_and_b32 s4, s3, 0xffff
	s_add_u32 s8, s10, s8
	v_cmp_lt_i64_e32 vcc, s[4:5], v[4:5]
	s_addc_u32 s3, s11, s9
	s_add_i32 s5, s6, 1
	s_lshr_b32 s10, s5, 31
	s_add_i32 s5, s5, s10
	s_and_b32 s9, s3, 0xffff
	s_lshl_b32 s3, s5, 1
	s_and_b32 s10, s3, -4
	s_cbranch_vccnz .LBB89_5
; %bb.1:
	v_cmp_gt_i32_e32 vcc, s6, v2
	s_and_saveexec_b64 s[12:13], vcc
	s_cbranch_execz .LBB89_4
; %bb.2:
	s_load_dword s3, s[0:1], 0x3c
	v_mov_b32_e32 v3, 0
	s_mov_b32 s15, 0
	v_lshlrev_b32_e32 v6, 3, v0
	s_mov_b64 s[16:17], 0
	s_waitcnt lgkmcnt(0)
	s_and_b32 s3, s3, 0xffff
	s_lshl_b32 s14, s3, 2
	s_lshl_b32 s3, s3, 3
	s_mov_b32 s11, 0x20000
	v_mov_b32_e32 v0, v3
	v_mov_b32_e32 v1, v3
	v_mov_b64_e32 v[4:5], v[2:3]
.LBB89_3:                               ; =>This Inner Loop Header: Depth=1
	v_lshl_add_u64 v[4:5], s[14:15], 0, v[4:5]
	v_cmp_le_i64_e32 vcc, s[6:7], v[4:5]
	buffer_store_dwordx2 v[0:1], v6, s[8:11], 0 offen
	s_or_b64 s[16:17], vcc, s[16:17]
	v_add_u32_e32 v6, s3, v6
	s_andn2_b64 exec, exec, s[16:17]
	s_cbranch_execnz .LBB89_3
.LBB89_4:
	s_or_b64 exec, exec, s[12:13]
	s_mov_b64 s[12:13], 0
.LBB89_5:
	s_andn2_b64 vcc, exec, s[12:13]
	s_cbranch_vccnz .LBB89_9
; %bb.6:
	v_cmp_gt_i32_e32 vcc, s6, v2
	s_and_saveexec_b64 s[12:13], vcc
	s_cbranch_execz .LBB89_9
; %bb.7:
	s_load_dwordx2 s[12:13], s[0:1], 0x8
	s_load_dwordx2 s[16:17], s[0:1], 0x18
	s_mul_hi_i32 s5, s6, s4
	s_mul_i32 s4, s6, s4
	s_lshl_b32 s14, s6, 2
	s_lshl_b64 s[4:5], s[4:5], 3
	s_waitcnt lgkmcnt(0)
	s_add_u32 s16, s16, s4
	s_addc_u32 s3, s17, s5
	s_lshl_b64 s[4:5], s[6:7], 2
	s_add_u32 s20, s16, s4
	s_addc_u32 s18, s3, s5
	s_and_b32 s17, s3, 0xffff
	s_and_b32 s21, s18, 0xffff
	s_mul_i32 s3, s2, s7
	s_mul_hi_u32 s18, s2, s6
	s_add_i32 s3, s18, s3
	s_mul_i32 s2, s2, s6
	s_lshl_b64 s[2:3], s[2:3], 3
	s_add_u32 s12, s12, s2
	s_addc_u32 s2, s13, s3
	s_add_u32 s24, s12, s4
	s_addc_u32 s3, s2, s5
	s_and_b32 s13, s2, 0xffff
	s_and_b32 s25, s3, 0xffff
	s_mov_b32 s11, 0x20000
	s_add_u32 s28, s0, 48
	s_mov_b32 s15, s11
	v_mov_b32_e32 v3, 0
	s_addc_u32 s29, s1, 0
	s_mov_b64 s[30:31], 0
	s_mov_b32 s35, 0
	s_mov_b32 s33, 0xbfb8aa3b
	;; [unrolled: 1-line block ×4, first 2 shown]
	v_mov_b32_e32 v0, 0x7f800000
	s_mov_b32 s26, s14
	s_mov_b32 s27, s11
	;; [unrolled: 1-line block ×6, first 2 shown]
.LBB89_8:                               ; =>This Inner Loop Header: Depth=1
	v_lshlrev_b32_e32 v1, 2, v2
	buffer_load_dwordx4 v[4:7], v1, s[12:15], 0 offen
	buffer_load_dwordx4 v[8:11], v1, s[24:27], 0 offen
	buffer_load_dwordx4 v[12:15], v1, s[16:19], 0 offen
	buffer_load_dwordx4 v[16:19], v1, s[20:23], 0 offen
	v_lshlrev_b32_e32 v1, 1, v2
	s_waitcnt vmcnt(1)
	v_pk_add_f32 v[6:7], v[6:7], v[14:15]
	v_pk_add_f32 v[4:5], v[4:5], v[12:13]
	v_mul_f32_e32 v14, 0xbfb8aa3b, v6
	v_mul_f32_e32 v12, 0xbfb8aa3b, v4
	;; [unrolled: 1-line block ×4, first 2 shown]
	s_waitcnt vmcnt(0)
	v_pk_add_f32 v[10:11], v[10:11], v[18:19]
	v_pk_add_f32 v[8:9], v[8:9], v[16:17]
	v_fma_f32 v16, v4, s33, -v12
	v_rndne_f32_e32 v17, v12
	v_fma_f32 v18, v5, s33, -v13
	v_rndne_f32_e32 v19, v13
	;; [unrolled: 2-line block ×4, first 2 shown]
	v_fmac_f32_e32 v16, 0xb2a5705f, v4
	v_sub_f32_e32 v12, v12, v17
	v_fmac_f32_e32 v18, 0xb2a5705f, v5
	v_sub_f32_e32 v13, v13, v19
	;; [unrolled: 2-line block ×4, first 2 shown]
	v_add_f32_e32 v12, v12, v16
	v_add_f32_e32 v13, v13, v18
	;; [unrolled: 1-line block ×4, first 2 shown]
	v_cvt_i32_f32_e32 v17, v17
	v_cvt_i32_f32_e32 v19, v19
	;; [unrolled: 1-line block ×4, first 2 shown]
	v_exp_f32_e32 v12, v12
	v_exp_f32_e32 v13, v13
	;; [unrolled: 1-line block ×4, first 2 shown]
	v_ldexp_f32 v12, v12, v17
	v_ldexp_f32 v13, v13, v19
	v_cmp_nlt_f32_e32 vcc, s36, v5
	v_ldexp_f32 v14, v14, v21
	v_cmp_nlt_f32_e64 s[0:1], s36, v6
	v_ldexp_f32 v15, v15, v23
	v_cmp_nlt_f32_e64 s[2:3], s36, v7
	v_cmp_nlt_f32_e64 s[4:5], s36, v4
	v_cndmask_b32_e32 v13, 0, v13, vcc
	v_cmp_ngt_f32_e32 vcc, s37, v5
	v_cndmask_b32_e64 v12, 0, v12, s[4:5]
	v_cndmask_b32_e64 v14, 0, v14, s[0:1]
	v_cmp_ngt_f32_e64 s[0:1], s37, v6
	v_cndmask_b32_e64 v15, 0, v15, s[2:3]
	v_cmp_ngt_f32_e64 s[2:3], s37, v7
	v_cmp_ngt_f32_e64 s[4:5], s37, v4
	v_cndmask_b32_e32 v13, v0, v13, vcc
	v_cndmask_b32_e64 v14, v0, v14, s[0:1]
	v_cndmask_b32_e64 v12, v0, v12, s[4:5]
	;; [unrolled: 1-line block ×3, first 2 shown]
	v_add_f32_e32 v12, 1.0, v12
	v_add_f32_e32 v13, 1.0, v13
	;; [unrolled: 1-line block ×4, first 2 shown]
	v_rcp_f32_e32 v12, v12
	v_rcp_f32_e32 v13, v13
	;; [unrolled: 1-line block ×4, first 2 shown]
	v_pk_mul_f32 v[4:5], v[4:5], v[12:13]
	s_nop 0
	;;#ASMSTART
	v_pk_mul_f32 v[4:5], v[4:5], v[8:9]
	;;#ASMEND
	v_pk_mul_f32 v[6:7], v[6:7], v[14:15]
	v_cvt_f16_f32_e32 v4, v4
	;;#ASMSTART
	v_pk_mul_f32 v[6:7], v[6:7], v[10:11]
	;;#ASMEND
	s_load_dword s0, s[28:29], 0xc
	v_cvt_f16_f32_e32 v6, v6
	v_cvt_f16_f32_e32 v7, v7
	;; [unrolled: 1-line block ×3, first 2 shown]
	s_waitcnt lgkmcnt(0)
	s_and_b32 s0, s0, 0xffff
	s_lshl_b32 s34, s0, 2
	v_lshl_add_u64 v[2:3], s[34:35], 0, v[2:3]
	v_cmp_le_i64_e32 vcc, s[6:7], v[2:3]
	v_pack_b32_f16 v5, v6, v7
	v_pack_b32_f16 v4, v4, v8
	s_or_b64 s[30:31], vcc, s[30:31]
	buffer_store_dwordx2 v[4:5], v1, s[8:11], 0 offen
	s_andn2_b64 exec, exec, s[30:31]
	s_cbranch_execnz .LBB89_8
.LBB89_9:
	s_endpgm
	.section	.rodata,"a",@progbits
	.p2align	6, 0x0
	.amdhsa_kernel _ZN5aiter23act_and_mul_bias_kernelIfDF16_hfTnPFfRKT2_EXadL_ZNS_11silu_kernelIfEEfRKT_EELi4EEEvPT0_PS8_PKT1_PS2_il
		.amdhsa_group_segment_fixed_size 0
		.amdhsa_private_segment_fixed_size 0
		.amdhsa_kernarg_size 304
		.amdhsa_user_sgpr_count 2
		.amdhsa_user_sgpr_dispatch_ptr 0
		.amdhsa_user_sgpr_queue_ptr 0
		.amdhsa_user_sgpr_kernarg_segment_ptr 1
		.amdhsa_user_sgpr_dispatch_id 0
		.amdhsa_user_sgpr_kernarg_preload_length 0
		.amdhsa_user_sgpr_kernarg_preload_offset 0
		.amdhsa_user_sgpr_private_segment_size 0
		.amdhsa_uses_dynamic_stack 0
		.amdhsa_enable_private_segment 0
		.amdhsa_system_sgpr_workgroup_id_x 1
		.amdhsa_system_sgpr_workgroup_id_y 0
		.amdhsa_system_sgpr_workgroup_id_z 0
		.amdhsa_system_sgpr_workgroup_info 0
		.amdhsa_system_vgpr_workitem_id 0
		.amdhsa_next_free_vgpr 24
		.amdhsa_next_free_sgpr 38
		.amdhsa_accum_offset 24
		.amdhsa_reserve_vcc 1
		.amdhsa_float_round_mode_32 0
		.amdhsa_float_round_mode_16_64 0
		.amdhsa_float_denorm_mode_32 3
		.amdhsa_float_denorm_mode_16_64 3
		.amdhsa_dx10_clamp 1
		.amdhsa_ieee_mode 1
		.amdhsa_fp16_overflow 0
		.amdhsa_tg_split 0
		.amdhsa_exception_fp_ieee_invalid_op 0
		.amdhsa_exception_fp_denorm_src 0
		.amdhsa_exception_fp_ieee_div_zero 0
		.amdhsa_exception_fp_ieee_overflow 0
		.amdhsa_exception_fp_ieee_underflow 0
		.amdhsa_exception_fp_ieee_inexact 0
		.amdhsa_exception_int_div_zero 0
	.end_amdhsa_kernel
	.section	.text._ZN5aiter23act_and_mul_bias_kernelIfDF16_hfTnPFfRKT2_EXadL_ZNS_11silu_kernelIfEEfRKT_EELi4EEEvPT0_PS8_PKT1_PS2_il,"axG",@progbits,_ZN5aiter23act_and_mul_bias_kernelIfDF16_hfTnPFfRKT2_EXadL_ZNS_11silu_kernelIfEEfRKT_EELi4EEEvPT0_PS8_PKT1_PS2_il,comdat
.Lfunc_end89:
	.size	_ZN5aiter23act_and_mul_bias_kernelIfDF16_hfTnPFfRKT2_EXadL_ZNS_11silu_kernelIfEEfRKT_EELi4EEEvPT0_PS8_PKT1_PS2_il, .Lfunc_end89-_ZN5aiter23act_and_mul_bias_kernelIfDF16_hfTnPFfRKT2_EXadL_ZNS_11silu_kernelIfEEfRKT_EELi4EEEvPT0_PS8_PKT1_PS2_il
                                        ; -- End function
	.section	.AMDGPU.csdata,"",@progbits
; Kernel info:
; codeLenInByte = 1060
; NumSgprs: 44
; NumVgprs: 24
; NumAgprs: 0
; TotalNumVgprs: 24
; ScratchSize: 0
; MemoryBound: 0
; FloatMode: 240
; IeeeMode: 1
; LDSByteSize: 0 bytes/workgroup (compile time only)
; SGPRBlocks: 5
; VGPRBlocks: 2
; NumSGPRsForWavesPerEU: 44
; NumVGPRsForWavesPerEU: 24
; AccumOffset: 24
; Occupancy: 8
; WaveLimiterHint : 0
; COMPUTE_PGM_RSRC2:SCRATCH_EN: 0
; COMPUTE_PGM_RSRC2:USER_SGPR: 2
; COMPUTE_PGM_RSRC2:TRAP_HANDLER: 0
; COMPUTE_PGM_RSRC2:TGID_X_EN: 1
; COMPUTE_PGM_RSRC2:TGID_Y_EN: 0
; COMPUTE_PGM_RSRC2:TGID_Z_EN: 0
; COMPUTE_PGM_RSRC2:TIDIG_COMP_CNT: 0
; COMPUTE_PGM_RSRC3_GFX90A:ACCUM_OFFSET: 5
; COMPUTE_PGM_RSRC3_GFX90A:TG_SPLIT: 0
	.section	.text._ZN5aiter23act_and_mul_bias_kernelIfDF16_hfTnPFfRKT2_EXadL_ZNS_11silu_kernelIfEEfRKT_EELi2EEEvPT0_PS8_PKT1_PS2_il,"axG",@progbits,_ZN5aiter23act_and_mul_bias_kernelIfDF16_hfTnPFfRKT2_EXadL_ZNS_11silu_kernelIfEEfRKT_EELi2EEEvPT0_PS8_PKT1_PS2_il,comdat
	.protected	_ZN5aiter23act_and_mul_bias_kernelIfDF16_hfTnPFfRKT2_EXadL_ZNS_11silu_kernelIfEEfRKT_EELi2EEEvPT0_PS8_PKT1_PS2_il ; -- Begin function _ZN5aiter23act_and_mul_bias_kernelIfDF16_hfTnPFfRKT2_EXadL_ZNS_11silu_kernelIfEEfRKT_EELi2EEEvPT0_PS8_PKT1_PS2_il
	.globl	_ZN5aiter23act_and_mul_bias_kernelIfDF16_hfTnPFfRKT2_EXadL_ZNS_11silu_kernelIfEEfRKT_EELi2EEEvPT0_PS8_PKT1_PS2_il
	.p2align	8
	.type	_ZN5aiter23act_and_mul_bias_kernelIfDF16_hfTnPFfRKT2_EXadL_ZNS_11silu_kernelIfEEfRKT_EELi2EEEvPT0_PS8_PKT1_PS2_il,@function
_ZN5aiter23act_and_mul_bias_kernelIfDF16_hfTnPFfRKT2_EXadL_ZNS_11silu_kernelIfEEfRKT_EELi2EEEvPT0_PS8_PKT1_PS2_il: ; @_ZN5aiter23act_and_mul_bias_kernelIfDF16_hfTnPFfRKT2_EXadL_ZNS_11silu_kernelIfEEfRKT_EELi2EEEvPT0_PS8_PKT1_PS2_il
; %bb.0:
	s_load_dwordx2 s[4:5], s[0:1], 0x10
	s_load_dword s24, s[0:1], 0x20
	s_load_dwordx2 s[6:7], s[0:1], 0x28
	v_mov_b32_e32 v1, s2
	s_mov_b32 s9, 0
	s_waitcnt lgkmcnt(0)
	global_load_ubyte v1, v1, s[4:5]
	s_load_dwordx2 s[4:5], s[0:1], 0x0
	s_ashr_i32 s25, s24, 31
	s_mul_hi_u32 s3, s24, s2
	v_mov_b64_e32 v[4:5], s[6:7]
	s_mul_i32 s6, s25, s2
	s_mul_i32 s12, s24, s2
	s_add_i32 s13, s3, s6
	s_lshl_b64 s[6:7], s[12:13], 1
	s_mov_b64 s[10:11], -1
	v_lshlrev_b32_e32 v2, 1, v0
	s_waitcnt vmcnt(0)
	v_readfirstlane_b32 s3, v1
	s_and_b32 s8, s3, 0xffff
	s_waitcnt lgkmcnt(0)
	s_add_u32 s4, s4, s6
	s_addc_u32 s3, s5, s7
	s_add_i32 s6, s24, 1
	s_lshr_b32 s7, s6, 31
	s_add_i32 s6, s6, s7
	v_cmp_lt_i64_e32 vcc, s[8:9], v[4:5]
	s_and_b32 s5, s3, 0xffff
	s_lshl_b32 s3, s6, 1
	s_and_b32 s6, s3, -4
	s_cbranch_vccnz .LBB90_5
; %bb.1:
	v_cmp_gt_i32_e32 vcc, s24, v2
	s_and_saveexec_b64 s[10:11], vcc
	s_cbranch_execz .LBB90_4
; %bb.2:
	s_load_dword s3, s[0:1], 0x3c
	v_mov_b32_e32 v3, 0
	s_mov_b32 s13, 0
	v_lshlrev_b32_e32 v4, 2, v0
	s_mov_b64 s[14:15], 0
	s_waitcnt lgkmcnt(0)
	s_and_b32 s3, s3, 0xffff
	s_lshl_b32 s12, s3, 1
	s_lshl_b32 s3, s3, 2
	s_mov_b32 s7, 0x20000
	v_mov_b64_e32 v[0:1], v[2:3]
.LBB90_3:                               ; =>This Inner Loop Header: Depth=1
	v_lshl_add_u64 v[0:1], s[12:13], 0, v[0:1]
	v_cmp_le_i64_e32 vcc, s[24:25], v[0:1]
	buffer_store_dword v3, v4, s[4:7], 0 offen
	s_or_b64 s[14:15], vcc, s[14:15]
	v_add_u32_e32 v4, s3, v4
	s_andn2_b64 exec, exec, s[14:15]
	s_cbranch_execnz .LBB90_3
.LBB90_4:
	s_or_b64 exec, exec, s[10:11]
	s_mov_b64 s[10:11], 0
.LBB90_5:
	s_andn2_b64 vcc, exec, s[10:11]
	s_cbranch_vccnz .LBB90_9
; %bb.6:
	v_cmp_gt_i32_e32 vcc, s24, v2
	s_and_saveexec_b64 s[10:11], vcc
	s_cbranch_execz .LBB90_9
; %bb.7:
	s_load_dwordx2 s[14:15], s[0:1], 0x8
	s_load_dwordx2 s[12:13], s[0:1], 0x18
	s_mul_hi_i32 s9, s24, s8
	s_mul_i32 s8, s24, s8
	s_lshl_b32 s10, s24, 2
	s_lshl_b64 s[8:9], s[8:9], 3
	s_waitcnt lgkmcnt(0)
	s_add_u32 s12, s12, s8
	s_addc_u32 s3, s13, s9
	s_lshl_b64 s[18:19], s[24:25], 2
	s_add_u32 s16, s12, s18
	s_addc_u32 s8, s3, s19
	s_and_b32 s13, s3, 0xffff
	s_and_b32 s17, s8, 0xffff
	s_mul_i32 s3, s2, s25
	s_mul_hi_u32 s8, s2, s24
	s_add_i32 s3, s8, s3
	s_mul_i32 s2, s2, s24
	s_lshl_b64 s[2:3], s[2:3], 3
	s_add_u32 s8, s14, s2
	s_addc_u32 s2, s15, s3
	s_add_u32 s20, s8, s18
	s_addc_u32 s3, s2, s19
	s_and_b32 s9, s2, 0xffff
	s_and_b32 s21, s3, 0xffff
	s_mov_b32 s7, 0x20000
	s_add_u32 s2, s0, 48
	s_mov_b32 s11, s7
	v_mov_b32_e32 v3, 0
	s_addc_u32 s3, s1, 0
	s_mov_b64 s[26:27], 0
	s_mov_b32 s29, 0
	s_mov_b32 s30, 0xbfb8aa3b
	;; [unrolled: 1-line block ×4, first 2 shown]
	v_mov_b32_e32 v0, 0x7f800000
	s_mov_b32 s22, s10
	s_mov_b32 s23, s7
	;; [unrolled: 1-line block ×6, first 2 shown]
.LBB90_8:                               ; =>This Inner Loop Header: Depth=1
	v_lshlrev_b32_e32 v1, 2, v2
	buffer_load_dwordx2 v[4:5], v1, s[8:11], 0 offen
	buffer_load_dwordx2 v[6:7], v1, s[20:23], 0 offen
	;; [unrolled: 1-line block ×4, first 2 shown]
	v_lshlrev_b32_e32 v1, 1, v2
	s_waitcnt vmcnt(1)
	v_pk_add_f32 v[4:5], v[4:5], v[8:9]
	s_nop 0
	v_mul_f32_e32 v8, 0xbfb8aa3b, v5
	v_mul_f32_e32 v9, 0xbfb8aa3b, v4
	s_waitcnt vmcnt(0)
	v_pk_add_f32 v[6:7], v[6:7], v[10:11]
	v_fma_f32 v10, v5, s30, -v8
	v_rndne_f32_e32 v11, v8
	v_fma_f32 v12, v4, s30, -v9
	v_rndne_f32_e32 v13, v9
	v_fmac_f32_e32 v10, 0xb2a5705f, v5
	v_sub_f32_e32 v8, v8, v11
	v_fmac_f32_e32 v12, 0xb2a5705f, v4
	v_sub_f32_e32 v9, v9, v13
	v_add_f32_e32 v8, v8, v10
	v_add_f32_e32 v9, v9, v12
	v_cvt_i32_f32_e32 v11, v11
	v_cvt_i32_f32_e32 v13, v13
	v_exp_f32_e32 v8, v8
	v_exp_f32_e32 v9, v9
	v_cmp_nlt_f32_e32 vcc, s31, v4
	v_cmp_nlt_f32_e64 s[0:1], s31, v5
	v_ldexp_f32 v8, v8, v11
	v_ldexp_f32 v9, v9, v13
	v_cndmask_b32_e64 v8, 0, v8, s[0:1]
	v_cndmask_b32_e32 v9, 0, v9, vcc
	v_cmp_ngt_f32_e32 vcc, s33, v4
	v_cmp_ngt_f32_e64 s[0:1], s33, v5
	s_nop 0
	v_cndmask_b32_e32 v9, v0, v9, vcc
	v_cndmask_b32_e64 v8, v0, v8, s[0:1]
	v_add_f32_e32 v8, 1.0, v8
	v_add_f32_e32 v10, 1.0, v9
	v_rcp_f32_e32 v9, v8
	v_rcp_f32_e32 v8, v10
	s_nop 0
	v_pk_mul_f32 v[4:5], v[4:5], v[8:9]
	s_nop 0
	;;#ASMSTART
	v_pk_mul_f32 v[4:5], v[4:5], v[6:7]
	;;#ASMEND
	s_load_dword s0, s[2:3], 0xc
	v_cvt_f16_f32_e32 v4, v4
	v_cvt_f16_f32_e32 v5, v5
	s_waitcnt lgkmcnt(0)
	s_and_b32 s0, s0, 0xffff
	s_lshl_b32 s28, s0, 1
	v_lshl_add_u64 v[2:3], s[28:29], 0, v[2:3]
	v_cmp_le_i64_e32 vcc, s[24:25], v[2:3]
	v_pack_b32_f16 v4, v4, v5
	s_or_b64 s[26:27], vcc, s[26:27]
	buffer_store_dword v4, v1, s[4:7], 0 offen
	s_andn2_b64 exec, exec, s[26:27]
	s_cbranch_execnz .LBB90_8
.LBB90_9:
	s_endpgm
	.section	.rodata,"a",@progbits
	.p2align	6, 0x0
	.amdhsa_kernel _ZN5aiter23act_and_mul_bias_kernelIfDF16_hfTnPFfRKT2_EXadL_ZNS_11silu_kernelIfEEfRKT_EELi2EEEvPT0_PS8_PKT1_PS2_il
		.amdhsa_group_segment_fixed_size 0
		.amdhsa_private_segment_fixed_size 0
		.amdhsa_kernarg_size 304
		.amdhsa_user_sgpr_count 2
		.amdhsa_user_sgpr_dispatch_ptr 0
		.amdhsa_user_sgpr_queue_ptr 0
		.amdhsa_user_sgpr_kernarg_segment_ptr 1
		.amdhsa_user_sgpr_dispatch_id 0
		.amdhsa_user_sgpr_kernarg_preload_length 0
		.amdhsa_user_sgpr_kernarg_preload_offset 0
		.amdhsa_user_sgpr_private_segment_size 0
		.amdhsa_uses_dynamic_stack 0
		.amdhsa_enable_private_segment 0
		.amdhsa_system_sgpr_workgroup_id_x 1
		.amdhsa_system_sgpr_workgroup_id_y 0
		.amdhsa_system_sgpr_workgroup_id_z 0
		.amdhsa_system_sgpr_workgroup_info 0
		.amdhsa_system_vgpr_workitem_id 0
		.amdhsa_next_free_vgpr 14
		.amdhsa_next_free_sgpr 34
		.amdhsa_accum_offset 16
		.amdhsa_reserve_vcc 1
		.amdhsa_float_round_mode_32 0
		.amdhsa_float_round_mode_16_64 0
		.amdhsa_float_denorm_mode_32 3
		.amdhsa_float_denorm_mode_16_64 3
		.amdhsa_dx10_clamp 1
		.amdhsa_ieee_mode 1
		.amdhsa_fp16_overflow 0
		.amdhsa_tg_split 0
		.amdhsa_exception_fp_ieee_invalid_op 0
		.amdhsa_exception_fp_denorm_src 0
		.amdhsa_exception_fp_ieee_div_zero 0
		.amdhsa_exception_fp_ieee_overflow 0
		.amdhsa_exception_fp_ieee_underflow 0
		.amdhsa_exception_fp_ieee_inexact 0
		.amdhsa_exception_int_div_zero 0
	.end_amdhsa_kernel
	.section	.text._ZN5aiter23act_and_mul_bias_kernelIfDF16_hfTnPFfRKT2_EXadL_ZNS_11silu_kernelIfEEfRKT_EELi2EEEvPT0_PS8_PKT1_PS2_il,"axG",@progbits,_ZN5aiter23act_and_mul_bias_kernelIfDF16_hfTnPFfRKT2_EXadL_ZNS_11silu_kernelIfEEfRKT_EELi2EEEvPT0_PS8_PKT1_PS2_il,comdat
.Lfunc_end90:
	.size	_ZN5aiter23act_and_mul_bias_kernelIfDF16_hfTnPFfRKT2_EXadL_ZNS_11silu_kernelIfEEfRKT_EELi2EEEvPT0_PS8_PKT1_PS2_il, .Lfunc_end90-_ZN5aiter23act_and_mul_bias_kernelIfDF16_hfTnPFfRKT2_EXadL_ZNS_11silu_kernelIfEEfRKT_EELi2EEEvPT0_PS8_PKT1_PS2_il
                                        ; -- End function
	.section	.AMDGPU.csdata,"",@progbits
; Kernel info:
; codeLenInByte = 836
; NumSgprs: 40
; NumVgprs: 14
; NumAgprs: 0
; TotalNumVgprs: 14
; ScratchSize: 0
; MemoryBound: 0
; FloatMode: 240
; IeeeMode: 1
; LDSByteSize: 0 bytes/workgroup (compile time only)
; SGPRBlocks: 4
; VGPRBlocks: 1
; NumSGPRsForWavesPerEU: 40
; NumVGPRsForWavesPerEU: 14
; AccumOffset: 16
; Occupancy: 8
; WaveLimiterHint : 0
; COMPUTE_PGM_RSRC2:SCRATCH_EN: 0
; COMPUTE_PGM_RSRC2:USER_SGPR: 2
; COMPUTE_PGM_RSRC2:TRAP_HANDLER: 0
; COMPUTE_PGM_RSRC2:TGID_X_EN: 1
; COMPUTE_PGM_RSRC2:TGID_Y_EN: 0
; COMPUTE_PGM_RSRC2:TGID_Z_EN: 0
; COMPUTE_PGM_RSRC2:TIDIG_COMP_CNT: 0
; COMPUTE_PGM_RSRC3_GFX90A:ACCUM_OFFSET: 3
; COMPUTE_PGM_RSRC3_GFX90A:TG_SPLIT: 0
	.section	.text._ZN5aiter23act_and_mul_bias_kernelIfDF16_hfTnPFfRKT2_EXadL_ZNS_11silu_kernelIfEEfRKT_EELi1EEEvPT0_PS8_PKT1_PS2_il,"axG",@progbits,_ZN5aiter23act_and_mul_bias_kernelIfDF16_hfTnPFfRKT2_EXadL_ZNS_11silu_kernelIfEEfRKT_EELi1EEEvPT0_PS8_PKT1_PS2_il,comdat
	.protected	_ZN5aiter23act_and_mul_bias_kernelIfDF16_hfTnPFfRKT2_EXadL_ZNS_11silu_kernelIfEEfRKT_EELi1EEEvPT0_PS8_PKT1_PS2_il ; -- Begin function _ZN5aiter23act_and_mul_bias_kernelIfDF16_hfTnPFfRKT2_EXadL_ZNS_11silu_kernelIfEEfRKT_EELi1EEEvPT0_PS8_PKT1_PS2_il
	.globl	_ZN5aiter23act_and_mul_bias_kernelIfDF16_hfTnPFfRKT2_EXadL_ZNS_11silu_kernelIfEEfRKT_EELi1EEEvPT0_PS8_PKT1_PS2_il
	.p2align	8
	.type	_ZN5aiter23act_and_mul_bias_kernelIfDF16_hfTnPFfRKT2_EXadL_ZNS_11silu_kernelIfEEfRKT_EELi1EEEvPT0_PS8_PKT1_PS2_il,@function
_ZN5aiter23act_and_mul_bias_kernelIfDF16_hfTnPFfRKT2_EXadL_ZNS_11silu_kernelIfEEfRKT_EELi1EEEvPT0_PS8_PKT1_PS2_il: ; @_ZN5aiter23act_and_mul_bias_kernelIfDF16_hfTnPFfRKT2_EXadL_ZNS_11silu_kernelIfEEfRKT_EELi1EEEvPT0_PS8_PKT1_PS2_il
; %bb.0:
	s_load_dwordx2 s[4:5], s[0:1], 0x10
	s_load_dword s20, s[0:1], 0x20
	s_load_dwordx2 s[8:9], s[0:1], 0x28
	v_mov_b32_e32 v1, s2
	s_load_dwordx2 s[10:11], s[0:1], 0x0
	s_waitcnt lgkmcnt(0)
	global_load_ubyte v1, v1, s[4:5]
	s_ashr_i32 s21, s20, 31
	s_mul_hi_u32 s3, s20, s2
	v_mov_b64_e32 v[2:3], s[8:9]
	s_mul_i32 s8, s21, s2
	s_mul_i32 s14, s20, s2
	s_add_i32 s15, s3, s8
	s_lshl_b64 s[8:9], s[14:15], 1
	s_mov_b32 s13, 0
	s_mov_b64 s[6:7], -1
	v_cmp_gt_i32_e64 s[4:5], s20, v0
	s_waitcnt vmcnt(0)
	v_readfirstlane_b32 s3, v1
	s_and_b32 s12, s3, 0xffff
	s_add_u32 s8, s10, s8
	s_addc_u32 s3, s11, s9
	s_add_i32 s10, s20, 1
	s_lshr_b32 s11, s10, 31
	s_add_i32 s10, s10, s11
	v_cmp_lt_i64_e32 vcc, s[12:13], v[2:3]
	s_and_b32 s9, s3, 0xffff
	s_lshl_b32 s3, s10, 1
	s_and_b32 s10, s3, -4
	s_cbranch_vccnz .LBB91_5
; %bb.1:
	s_and_saveexec_b64 s[6:7], s[4:5]
	s_cbranch_execz .LBB91_4
; %bb.2:
	s_load_dword s3, s[0:1], 0x3c
	v_mov_b32_e32 v1, 0
	s_mov_b32 s5, 0
	v_lshlrev_b32_e32 v4, 1, v0
	s_mov_b64 s[14:15], 0
	s_waitcnt lgkmcnt(0)
	s_and_b32 s4, s3, 0xffff
	s_lshl_b32 s3, s4, 1
	s_mov_b32 s11, 0x20000
	v_mov_b64_e32 v[2:3], v[0:1]
.LBB91_3:                               ; =>This Inner Loop Header: Depth=1
	v_lshl_add_u64 v[2:3], v[2:3], 0, s[4:5]
	v_cmp_le_i64_e32 vcc, s[20:21], v[2:3]
	buffer_store_short v1, v4, s[8:11], 0 offen
	s_or_b64 s[14:15], vcc, s[14:15]
	v_add_u32_e32 v4, s3, v4
	s_andn2_b64 exec, exec, s[14:15]
	s_cbranch_execnz .LBB91_3
.LBB91_4:
	s_or_b64 exec, exec, s[6:7]
	s_mov_b64 s[6:7], 0
.LBB91_5:
	s_andn2_b64 vcc, exec, s[6:7]
	s_cbranch_vccnz .LBB91_9
; %bb.6:
	v_cmp_gt_i32_e32 vcc, s20, v0
	s_and_saveexec_b64 s[4:5], vcc
	s_cbranch_execz .LBB91_9
; %bb.7:
	s_load_dwordx2 s[14:15], s[0:1], 0x8
	s_load_dwordx2 s[4:5], s[0:1], 0x18
	s_mul_hi_i32 s13, s20, s12
	s_mul_i32 s12, s20, s12
	s_lshl_b32 s6, s20, 2
	s_lshl_b64 s[12:13], s[12:13], 3
	s_load_dword s18, s[0:1], 0x3c
	s_waitcnt lgkmcnt(0)
	s_add_u32 s0, s4, s12
	s_addc_u32 s1, s5, s13
	s_lshl_b64 s[16:17], s[20:21], 2
	s_add_u32 s4, s0, s16
	s_addc_u32 s3, s1, s17
	s_and_b32 s5, s3, 0xffff
	s_mul_i32 s3, s2, s21
	s_mul_hi_u32 s12, s2, s20
	s_add_i32 s3, s12, s3
	s_mul_i32 s2, s2, s20
	s_and_b32 s1, s1, 0xffff
	s_lshl_b64 s[2:3], s[2:3], 3
	s_add_u32 s12, s14, s2
	s_addc_u32 s2, s15, s3
	s_add_u32 s16, s12, s16
	s_mov_b32 s11, 0x20000
	s_addc_u32 s3, s2, s17
	s_and_b32 s22, s18, 0xffff
	s_mov_b32 s7, s11
	s_and_b32 s13, s2, 0xffff
	s_and_b32 s17, s3, 0xffff
	s_mov_b32 s23, 0
	v_mov_b32_e32 v1, 0
	v_lshlrev_b32_e32 v2, 1, v0
	s_lshl_b32 s26, s22, 1
	v_lshlrev_b32_e32 v3, 2, v0
	s_lshl_b32 s27, s22, 2
	s_mov_b64 s[24:25], 0
	s_mov_b32 s14, s6
	s_mov_b32 s15, s11
	;; [unrolled: 1-line block ×5, first 2 shown]
	v_mov_b32_e32 v4, 0x7f800000
	s_mov_b32 s18, s6
	s_mov_b32 s19, s11
	;; [unrolled: 1-line block ×4, first 2 shown]
.LBB91_8:                               ; =>This Inner Loop Header: Depth=1
	buffer_load_dword v7, v3, s[12:15], 0 offen
	buffer_load_dword v6, v3, s[16:19], 0 offen
	;; [unrolled: 1-line block ×4, first 2 shown]
	v_lshl_add_u64 v[0:1], v[0:1], 0, s[22:23]
	v_add_u32_e32 v3, s27, v3
	s_waitcnt vmcnt(0)
	v_pk_add_f32 v[6:7], v[6:7], v[8:9]
	s_nop 0
	v_mul_f32_e32 v5, 0xbfb8aa3b, v7
	v_fma_f32 v8, v7, s28, -v5
	v_rndne_f32_e32 v9, v5
	v_fmac_f32_e32 v8, 0xb2a5705f, v7
	v_sub_f32_e32 v5, v5, v9
	v_add_f32_e32 v5, v5, v8
	v_cvt_i32_f32_e32 v9, v9
	v_exp_f32_e32 v5, v5
	v_cmp_nlt_f32_e32 vcc, s29, v7
	v_ldexp_f32 v5, v5, v9
	s_nop 0
	v_cndmask_b32_e32 v5, 0, v5, vcc
	v_cmp_ngt_f32_e32 vcc, s30, v7
	s_nop 1
	v_cndmask_b32_e32 v5, v4, v5, vcc
	v_add_f32_e32 v5, 1.0, v5
	v_rcp_f32_e32 v5, v5
	v_cmp_le_i64_e32 vcc, s[20:21], v[0:1]
	s_or_b64 s[24:25], vcc, s[24:25]
	v_mul_f32_e32 v5, v7, v5
	v_fma_mixlo_f16 v5, v6, v5, 0
	buffer_store_short v5, v2, s[8:11], 0 offen
	v_add_u32_e32 v2, s26, v2
	s_andn2_b64 exec, exec, s[24:25]
	s_cbranch_execnz .LBB91_8
.LBB91_9:
	s_endpgm
	.section	.rodata,"a",@progbits
	.p2align	6, 0x0
	.amdhsa_kernel _ZN5aiter23act_and_mul_bias_kernelIfDF16_hfTnPFfRKT2_EXadL_ZNS_11silu_kernelIfEEfRKT_EELi1EEEvPT0_PS8_PKT1_PS2_il
		.amdhsa_group_segment_fixed_size 0
		.amdhsa_private_segment_fixed_size 0
		.amdhsa_kernarg_size 304
		.amdhsa_user_sgpr_count 2
		.amdhsa_user_sgpr_dispatch_ptr 0
		.amdhsa_user_sgpr_queue_ptr 0
		.amdhsa_user_sgpr_kernarg_segment_ptr 1
		.amdhsa_user_sgpr_dispatch_id 0
		.amdhsa_user_sgpr_kernarg_preload_length 0
		.amdhsa_user_sgpr_kernarg_preload_offset 0
		.amdhsa_user_sgpr_private_segment_size 0
		.amdhsa_uses_dynamic_stack 0
		.amdhsa_enable_private_segment 0
		.amdhsa_system_sgpr_workgroup_id_x 1
		.amdhsa_system_sgpr_workgroup_id_y 0
		.amdhsa_system_sgpr_workgroup_id_z 0
		.amdhsa_system_sgpr_workgroup_info 0
		.amdhsa_system_vgpr_workitem_id 0
		.amdhsa_next_free_vgpr 10
		.amdhsa_next_free_sgpr 31
		.amdhsa_accum_offset 12
		.amdhsa_reserve_vcc 1
		.amdhsa_float_round_mode_32 0
		.amdhsa_float_round_mode_16_64 0
		.amdhsa_float_denorm_mode_32 3
		.amdhsa_float_denorm_mode_16_64 3
		.amdhsa_dx10_clamp 1
		.amdhsa_ieee_mode 1
		.amdhsa_fp16_overflow 0
		.amdhsa_tg_split 0
		.amdhsa_exception_fp_ieee_invalid_op 0
		.amdhsa_exception_fp_denorm_src 0
		.amdhsa_exception_fp_ieee_div_zero 0
		.amdhsa_exception_fp_ieee_overflow 0
		.amdhsa_exception_fp_ieee_underflow 0
		.amdhsa_exception_fp_ieee_inexact 0
		.amdhsa_exception_int_div_zero 0
	.end_amdhsa_kernel
	.section	.text._ZN5aiter23act_and_mul_bias_kernelIfDF16_hfTnPFfRKT2_EXadL_ZNS_11silu_kernelIfEEfRKT_EELi1EEEvPT0_PS8_PKT1_PS2_il,"axG",@progbits,_ZN5aiter23act_and_mul_bias_kernelIfDF16_hfTnPFfRKT2_EXadL_ZNS_11silu_kernelIfEEfRKT_EELi1EEEvPT0_PS8_PKT1_PS2_il,comdat
.Lfunc_end91:
	.size	_ZN5aiter23act_and_mul_bias_kernelIfDF16_hfTnPFfRKT2_EXadL_ZNS_11silu_kernelIfEEfRKT_EELi1EEEvPT0_PS8_PKT1_PS2_il, .Lfunc_end91-_ZN5aiter23act_and_mul_bias_kernelIfDF16_hfTnPFfRKT2_EXadL_ZNS_11silu_kernelIfEEfRKT_EELi1EEEvPT0_PS8_PKT1_PS2_il
                                        ; -- End function
	.section	.AMDGPU.csdata,"",@progbits
; Kernel info:
; codeLenInByte = 700
; NumSgprs: 37
; NumVgprs: 10
; NumAgprs: 0
; TotalNumVgprs: 10
; ScratchSize: 0
; MemoryBound: 0
; FloatMode: 240
; IeeeMode: 1
; LDSByteSize: 0 bytes/workgroup (compile time only)
; SGPRBlocks: 4
; VGPRBlocks: 1
; NumSGPRsForWavesPerEU: 37
; NumVGPRsForWavesPerEU: 10
; AccumOffset: 12
; Occupancy: 8
; WaveLimiterHint : 0
; COMPUTE_PGM_RSRC2:SCRATCH_EN: 0
; COMPUTE_PGM_RSRC2:USER_SGPR: 2
; COMPUTE_PGM_RSRC2:TRAP_HANDLER: 0
; COMPUTE_PGM_RSRC2:TGID_X_EN: 1
; COMPUTE_PGM_RSRC2:TGID_Y_EN: 0
; COMPUTE_PGM_RSRC2:TGID_Z_EN: 0
; COMPUTE_PGM_RSRC2:TIDIG_COMP_CNT: 0
; COMPUTE_PGM_RSRC3_GFX90A:ACCUM_OFFSET: 2
; COMPUTE_PGM_RSRC3_GFX90A:TG_SPLIT: 0
	.section	.text._ZN5aiter23act_and_mul_bias_kernelIffhfTnPFfRKT2_EXadL_ZNS_11silu_kernelIfEEfRKT_EELi16EEEvPT0_PS8_PKT1_PS2_il,"axG",@progbits,_ZN5aiter23act_and_mul_bias_kernelIffhfTnPFfRKT2_EXadL_ZNS_11silu_kernelIfEEfRKT_EELi16EEEvPT0_PS8_PKT1_PS2_il,comdat
	.protected	_ZN5aiter23act_and_mul_bias_kernelIffhfTnPFfRKT2_EXadL_ZNS_11silu_kernelIfEEfRKT_EELi16EEEvPT0_PS8_PKT1_PS2_il ; -- Begin function _ZN5aiter23act_and_mul_bias_kernelIffhfTnPFfRKT2_EXadL_ZNS_11silu_kernelIfEEfRKT_EELi16EEEvPT0_PS8_PKT1_PS2_il
	.globl	_ZN5aiter23act_and_mul_bias_kernelIffhfTnPFfRKT2_EXadL_ZNS_11silu_kernelIfEEfRKT_EELi16EEEvPT0_PS8_PKT1_PS2_il
	.p2align	8
	.type	_ZN5aiter23act_and_mul_bias_kernelIffhfTnPFfRKT2_EXadL_ZNS_11silu_kernelIfEEfRKT_EELi16EEEvPT0_PS8_PKT1_PS2_il,@function
_ZN5aiter23act_and_mul_bias_kernelIffhfTnPFfRKT2_EXadL_ZNS_11silu_kernelIfEEfRKT_EELi16EEEvPT0_PS8_PKT1_PS2_il: ; @_ZN5aiter23act_and_mul_bias_kernelIffhfTnPFfRKT2_EXadL_ZNS_11silu_kernelIfEEfRKT_EELi16EEEvPT0_PS8_PKT1_PS2_il
; %bb.0:
	s_load_dwordx2 s[4:5], s[0:1], 0x10
	s_load_dword s30, s[0:1], 0x20
	s_load_dwordx2 s[8:9], s[0:1], 0x28
	v_mov_b32_e32 v1, s2
	s_load_dwordx2 s[10:11], s[0:1], 0x0
	s_waitcnt lgkmcnt(0)
	global_load_ubyte v1, v1, s[4:5]
	s_ashr_i32 s31, s30, 31
	s_mul_hi_u32 s3, s30, s2
	s_mul_i32 s4, s31, s2
	s_mul_i32 s12, s30, s2
	s_add_i32 s13, s3, s4
	s_lshl_b32 s38, s30, 2
	v_mov_b64_e32 v[2:3], s[8:9]
	s_lshl_b64 s[8:9], s[12:13], 2
	s_mov_b32 s5, 0
	s_mov_b64 s[6:7], -1
	v_lshlrev_b32_e32 v56, 4, v0
	s_waitcnt vmcnt(0)
	v_readfirstlane_b32 s3, v1
	s_and_b32 s4, s3, 0xffff
	s_add_u32 s36, s10, s8
	v_cmp_lt_i64_e32 vcc, s[4:5], v[2:3]
	s_addc_u32 s3, s11, s9
	s_and_b32 s37, s3, 0xffff
	s_cbranch_vccnz .LBB92_5
; %bb.1:
	v_cmp_gt_i32_e32 vcc, s30, v56
	s_and_saveexec_b64 s[6:7], vcc
	s_cbranch_execz .LBB92_4
; %bb.2:
	s_load_dword s3, s[0:1], 0x3c
	s_mov_b32 s9, 0
	s_mov_b32 s12, s9
	;; [unrolled: 1-line block ×3, first 2 shown]
	v_mov_b32_e32 v57, 0
	v_lshlrev_b32_e32 v6, 6, v0
	s_waitcnt lgkmcnt(0)
	s_and_b32 s3, s3, 0xffff
	s_mov_b32 s14, s9
	s_mov_b32 s15, s9
	v_mov_b64_e32 v[0:1], s[12:13]
	s_lshl_b32 s8, s3, 4
	s_lshl_b32 s3, s3, 6
	s_mov_b64 s[10:11], 0
	s_mov_b32 s39, 0x20000
	v_mov_b64_e32 v[2:3], s[14:15]
	v_mov_b64_e32 v[4:5], v[56:57]
.LBB92_3:                               ; =>This Inner Loop Header: Depth=1
	v_lshl_add_u64 v[4:5], s[8:9], 0, v[4:5]
	v_cmp_le_i64_e32 vcc, s[30:31], v[4:5]
	buffer_store_dwordx4 v[0:3], v6, s[36:39], 0 offen
	buffer_store_dwordx4 v[0:3], v6, s[36:39], 16 offen
	;; [unrolled: 1-line block ×4, first 2 shown]
	s_or_b64 s[10:11], vcc, s[10:11]
	v_add_u32_e32 v6, s3, v6
	s_andn2_b64 exec, exec, s[10:11]
	s_cbranch_execnz .LBB92_3
.LBB92_4:
	s_or_b64 exec, exec, s[6:7]
	s_mov_b64 s[6:7], 0
.LBB92_5:
	s_andn2_b64 vcc, exec, s[6:7]
	s_cbranch_vccnz .LBB92_9
; %bb.6:
	v_cmp_gt_i32_e32 vcc, s30, v56
	s_and_saveexec_b64 s[6:7], vcc
	s_cbranch_execz .LBB92_9
; %bb.7:
	s_load_dwordx2 s[6:7], s[0:1], 0x18
	s_load_dwordx2 s[8:9], s[0:1], 0x8
	s_mul_hi_i32 s5, s30, s4
	s_mul_i32 s4, s30, s4
	s_lshl_b64 s[4:5], s[4:5], 3
	s_waitcnt lgkmcnt(0)
	s_add_u32 s40, s6, s4
	s_addc_u32 s3, s7, s5
	s_lshl_b64 s[4:5], s[30:31], 2
	s_add_u32 s44, s40, s4
	s_addc_u32 s6, s3, s5
	s_and_b32 s41, s3, 0xffff
	s_and_b32 s45, s6, 0xffff
	s_mul_i32 s3, s2, s31
	s_mul_hi_u32 s6, s2, s30
	s_add_i32 s3, s6, s3
	s_mul_i32 s2, s2, s30
	s_lshl_b64 s[2:3], s[2:3], 3
	s_add_u32 s48, s8, s2
	s_addc_u32 s2, s9, s3
	s_add_u32 s52, s48, s4
	s_addc_u32 s3, s2, s5
	s_and_b32 s49, s2, 0xffff
	s_and_b32 s53, s3, 0xffff
	s_mov_b32 s39, 0x20000
	s_add_u32 s34, s0, 48
	v_mov_b32_e32 v57, 0
	s_addc_u32 s35, s1, 0
	s_mov_b64 s[56:57], 0
	s_mov_b32 s50, s38
	s_mov_b32 s51, s39
	;; [unrolled: 1-line block ×6, first 2 shown]
	v_mov_b32_e32 v58, 0x7f800000
	s_mov_b32 s54, s38
	s_mov_b32 s55, s39
	s_mov_b32 s42, s38
	s_mov_b32 s43, s39
	s_mov_b32 s46, s38
	s_mov_b32 s47, s39
.LBB92_8:                               ; =>This Inner Loop Header: Depth=1
	v_lshlrev_b32_e32 v59, 2, v56
	buffer_load_dwordx4 v[48:51], v59, s[44:47], 0 offen
	buffer_load_dwordx4 v[52:55], v59, s[52:55], 0 offen
	;; [unrolled: 1-line block ×15, first 2 shown]
	s_waitcnt vmcnt(13)
	v_pk_add_f32 v[50:51], v[54:55], v[50:51]
	v_pk_add_f32 v[48:49], v[52:53], v[48:49]
	buffer_load_dwordx4 v[52:55], v59, s[40:43], 48 offen
	s_waitcnt vmcnt(11)
	v_pk_add_f32 v[10:11], v[10:11], v[22:23]
	s_waitcnt vmcnt(10)
	v_pk_add_f32 v[26:27], v[26:27], v[14:15]
	v_pk_add_f32 v[24:25], v[24:25], v[12:13]
	s_waitcnt vmcnt(8)
	v_pk_add_f32 v[18:19], v[18:19], v[30:31]
	v_pk_add_f32 v[16:17], v[16:17], v[28:29]
	;; [unrolled: 1-line block ×3, first 2 shown]
	v_mul_f32_e32 v28, 0xbfb8aa3b, v24
	v_mul_f32_e32 v29, 0xbfb8aa3b, v25
	;; [unrolled: 1-line block ×3, first 2 shown]
	s_waitcnt vmcnt(2)
	v_pk_add_f32 v[20:21], v[34:35], v[62:63]
	v_pk_add_f32 v[22:23], v[32:33], v[60:61]
	v_mul_f32_e32 v31, 0xbfb8aa3b, v27
	v_mul_f32_e32 v32, 0xbfb8aa3b, v16
	;; [unrolled: 1-line block ×5, first 2 shown]
	s_waitcnt vmcnt(1)
	v_pk_add_f32 v[6:7], v[6:7], v[46:47]
	v_pk_add_f32 v[4:5], v[4:5], v[44:45]
	v_fma_f32 v44, v24, s33, -v28
	v_rndne_f32_e32 v45, v28
	v_fma_f32 v46, v25, s33, -v29
	v_rndne_f32_e32 v47, v29
	;; [unrolled: 2-line block ×6, first 2 shown]
	v_pk_add_f32 v[12:13], v[42:43], v[38:39]
	v_pk_add_f32 v[14:15], v[40:41], v[36:37]
	v_mul_f32_e32 v36, 0xbfb8aa3b, v22
	v_mul_f32_e32 v37, 0xbfb8aa3b, v23
	;; [unrolled: 1-line block ×4, first 2 shown]
	v_fmac_f32_e32 v44, 0xb2a5705f, v24
	v_sub_f32_e32 v28, v28, v45
	v_fmac_f32_e32 v46, 0xb2a5705f, v25
	v_sub_f32_e32 v29, v29, v47
	;; [unrolled: 2-line block ×6, first 2 shown]
	v_add_f32_e32 v28, v28, v44
	v_fma_f32 v44, v22, s33, -v36
	v_add_f32_e32 v29, v29, v46
	v_rndne_f32_e32 v46, v36
	v_add_f32_e32 v32, v32, v60
	v_fma_f32 v60, v20, s33, -v38
	v_add_f32_e32 v33, v33, v62
	v_rndne_f32_e32 v62, v38
	v_add_f32_e32 v34, v34, v64
	v_fma_f32 v64, v21, s33, -v39
	v_add_f32_e32 v35, v35, v66
	v_rndne_f32_e32 v66, v39
	v_fmac_f32_e32 v44, 0xb2a5705f, v22
	v_sub_f32_e32 v36, v36, v46
	v_fmac_f32_e32 v60, 0xb2a5705f, v20
	v_sub_f32_e32 v38, v38, v62
	;; [unrolled: 2-line block ×3, first 2 shown]
	v_add_f32_e32 v36, v36, v44
	v_add_f32_e32 v38, v38, v60
	;; [unrolled: 1-line block ×3, first 2 shown]
	v_exp_f32_e32 v32, v32
	v_exp_f32_e32 v33, v33
	v_cvt_i32_f32_e32 v46, v46
	v_cvt_i32_f32_e32 v62, v62
	;; [unrolled: 1-line block ×3, first 2 shown]
	v_exp_f32_e32 v28, v28
	v_exp_f32_e32 v29, v29
	;; [unrolled: 1-line block ×5, first 2 shown]
	s_waitcnt vmcnt(0)
	v_pk_add_f32 v[2:3], v[2:3], v[54:55]
	v_pk_add_f32 v[0:1], v[0:1], v[52:53]
	v_fma_f32 v52, v26, s33, -v30
	v_rndne_f32_e32 v53, v30
	v_fma_f32 v54, v27, s33, -v31
	v_rndne_f32_e32 v55, v31
	v_fmac_f32_e32 v52, 0xb2a5705f, v26
	v_sub_f32_e32 v30, v30, v53
	v_fmac_f32_e32 v54, 0xb2a5705f, v27
	v_sub_f32_e32 v31, v31, v55
	v_add_f32_e32 v30, v30, v52
	v_fma_f32 v52, v23, s33, -v37
	v_add_f32_e32 v31, v31, v54
	v_rndne_f32_e32 v54, v37
	v_mul_f32_e32 v40, 0xbfb8aa3b, v0
	v_mul_f32_e32 v41, 0xbfb8aa3b, v1
	v_fmac_f32_e32 v52, 0xb2a5705f, v23
	v_sub_f32_e32 v37, v37, v54
	v_fma_f32 v44, v0, s33, -v40
	v_add_f32_e32 v37, v37, v52
	v_rndne_f32_e32 v52, v40
	v_fma_f32 v60, v1, s33, -v41
	v_rndne_f32_e32 v64, v41
	v_mul_f32_e32 v42, 0xbfb8aa3b, v2
	v_fmac_f32_e32 v44, 0xb2a5705f, v0
	v_sub_f32_e32 v40, v40, v52
	v_fmac_f32_e32 v60, 0xb2a5705f, v1
	v_sub_f32_e32 v41, v41, v64
	v_add_f32_e32 v40, v40, v44
	v_fma_f32 v44, v2, s33, -v42
	v_add_f32_e32 v41, v41, v60
	v_rndne_f32_e32 v60, v42
	v_mul_f32_e32 v43, 0xbfb8aa3b, v3
	v_fmac_f32_e32 v44, 0xb2a5705f, v2
	v_sub_f32_e32 v42, v42, v60
	v_add_f32_e32 v42, v42, v44
	v_fma_f32 v44, v3, s33, -v43
	v_rndne_f32_e32 v68, v43
	v_fmac_f32_e32 v44, 0xb2a5705f, v3
	v_sub_f32_e32 v43, v43, v68
	v_add_f32_e32 v43, v43, v44
	v_cvt_i32_f32_e32 v44, v45
	v_cvt_i32_f32_e32 v45, v47
	;; [unrolled: 1-line block ×13, first 2 shown]
	v_exp_f32_e32 v30, v30
	v_exp_f32_e32 v31, v31
	;; [unrolled: 1-line block ×9, first 2 shown]
	v_ldexp_f32 v32, v32, v55
	v_ldexp_f32 v33, v33, v61
	v_cmp_nlt_f32_e64 s[2:3], s60, v16
	v_cmp_nlt_f32_e64 s[4:5], s60, v17
	v_ldexp_f32 v28, v28, v44
	v_ldexp_f32 v29, v29, v45
	;; [unrolled: 1-line block ×13, first 2 shown]
	v_cmp_nlt_f32_e32 vcc, s60, v26
	v_cmp_nlt_f32_e64 s[0:1], s60, v27
	v_cmp_nlt_f32_e64 s[6:7], s60, v18
	;; [unrolled: 1-line block ×10, first 2 shown]
	v_ldexp_f32 v43, v43, v67
	v_cmp_nlt_f32_e64 s[24:25], s60, v3
	v_cmp_nlt_f32_e64 s[26:27], s60, v24
	;; [unrolled: 1-line block ×3, first 2 shown]
	v_cndmask_b32_e64 v32, 0, v32, s[2:3]
	v_cmp_ngt_f32_e64 s[2:3], s61, v16
	v_cndmask_b32_e64 v33, 0, v33, s[4:5]
	v_cmp_ngt_f32_e64 s[4:5], s61, v17
	;; [unrolled: 2-line block ×3, first 2 shown]
	v_cndmask_b32_e32 v30, 0, v30, vcc
	v_cmp_ngt_f32_e32 vcc, s61, v26
	v_cndmask_b32_e64 v31, 0, v31, s[0:1]
	v_cmp_ngt_f32_e64 s[0:1], s61, v27
	v_cndmask_b32_e64 v28, 0, v28, s[26:27]
	v_cndmask_b32_e64 v34, 0, v34, s[6:7]
	v_cmp_ngt_f32_e64 s[6:7], s61, v18
	v_cndmask_b32_e64 v35, 0, v35, s[8:9]
	v_cmp_ngt_f32_e64 s[8:9], s61, v19
	;; [unrolled: 2-line block ×10, first 2 shown]
	v_cmp_ngt_f32_e64 s[26:27], s61, v24
	v_cndmask_b32_e64 v32, v58, v32, s[2:3]
	v_cndmask_b32_e64 v33, v58, v33, s[4:5]
	;; [unrolled: 1-line block ×4, first 2 shown]
	v_cndmask_b32_e32 v30, v58, v30, vcc
	v_cndmask_b32_e64 v31, v58, v31, s[0:1]
	v_cndmask_b32_e64 v34, v58, v34, s[6:7]
	;; [unrolled: 1-line block ×11, first 2 shown]
	v_add_f32_e32 v32, 1.0, v32
	v_add_f32_e32 v33, 1.0, v33
	;; [unrolled: 1-line block ×16, first 2 shown]
	v_rcp_f32_e32 v32, v32
	v_rcp_f32_e32 v33, v33
	;; [unrolled: 1-line block ×16, first 2 shown]
	v_pk_mul_f32 v[16:17], v[16:17], v[32:33]
	v_pk_mul_f32 v[24:25], v[24:25], v[28:29]
	;; [unrolled: 1-line block ×8, first 2 shown]
	;;#ASMSTART
	v_pk_mul_f32 v[0:1], v[24:25], v[48:49]
	;;#ASMEND
	;;#ASMSTART
	v_pk_mul_f32 v[2:3], v[26:27], v[50:51]
	;;#ASMEND
	;; [unrolled: 3-line block ×7, first 2 shown]
	s_nop 0
	;;#ASMSTART
	v_pk_mul_f32 v[6:7], v[30:31], v[6:7]
	;;#ASMEND
	s_load_dword s0, s[34:35], 0xc
	buffer_store_dwordx4 v[0:3], v59, s[36:39], 0 offen
	buffer_store_dwordx4 v[8:11], v59, s[36:39], 16 offen
	;; [unrolled: 1-line block ×4, first 2 shown]
	s_waitcnt lgkmcnt(0)
	s_and_b32 s0, s0, 0xffff
	s_lshl_b32 s58, s0, 4
	v_lshl_add_u64 v[56:57], s[58:59], 0, v[56:57]
	v_cmp_le_i64_e32 vcc, s[30:31], v[56:57]
	s_or_b64 s[56:57], vcc, s[56:57]
	s_andn2_b64 exec, exec, s[56:57]
	s_cbranch_execnz .LBB92_8
.LBB92_9:
	s_endpgm
	.section	.rodata,"a",@progbits
	.p2align	6, 0x0
	.amdhsa_kernel _ZN5aiter23act_and_mul_bias_kernelIffhfTnPFfRKT2_EXadL_ZNS_11silu_kernelIfEEfRKT_EELi16EEEvPT0_PS8_PKT1_PS2_il
		.amdhsa_group_segment_fixed_size 0
		.amdhsa_private_segment_fixed_size 0
		.amdhsa_kernarg_size 304
		.amdhsa_user_sgpr_count 2
		.amdhsa_user_sgpr_dispatch_ptr 0
		.amdhsa_user_sgpr_queue_ptr 0
		.amdhsa_user_sgpr_kernarg_segment_ptr 1
		.amdhsa_user_sgpr_dispatch_id 0
		.amdhsa_user_sgpr_kernarg_preload_length 0
		.amdhsa_user_sgpr_kernarg_preload_offset 0
		.amdhsa_user_sgpr_private_segment_size 0
		.amdhsa_uses_dynamic_stack 0
		.amdhsa_enable_private_segment 0
		.amdhsa_system_sgpr_workgroup_id_x 1
		.amdhsa_system_sgpr_workgroup_id_y 0
		.amdhsa_system_sgpr_workgroup_id_z 0
		.amdhsa_system_sgpr_workgroup_info 0
		.amdhsa_system_vgpr_workitem_id 0
		.amdhsa_next_free_vgpr 69
		.amdhsa_next_free_sgpr 62
		.amdhsa_accum_offset 72
		.amdhsa_reserve_vcc 1
		.amdhsa_float_round_mode_32 0
		.amdhsa_float_round_mode_16_64 0
		.amdhsa_float_denorm_mode_32 3
		.amdhsa_float_denorm_mode_16_64 3
		.amdhsa_dx10_clamp 1
		.amdhsa_ieee_mode 1
		.amdhsa_fp16_overflow 0
		.amdhsa_tg_split 0
		.amdhsa_exception_fp_ieee_invalid_op 0
		.amdhsa_exception_fp_denorm_src 0
		.amdhsa_exception_fp_ieee_div_zero 0
		.amdhsa_exception_fp_ieee_overflow 0
		.amdhsa_exception_fp_ieee_underflow 0
		.amdhsa_exception_fp_ieee_inexact 0
		.amdhsa_exception_int_div_zero 0
	.end_amdhsa_kernel
	.section	.text._ZN5aiter23act_and_mul_bias_kernelIffhfTnPFfRKT2_EXadL_ZNS_11silu_kernelIfEEfRKT_EELi16EEEvPT0_PS8_PKT1_PS2_il,"axG",@progbits,_ZN5aiter23act_and_mul_bias_kernelIffhfTnPFfRKT2_EXadL_ZNS_11silu_kernelIfEEfRKT_EELi16EEEvPT0_PS8_PKT1_PS2_il,comdat
.Lfunc_end92:
	.size	_ZN5aiter23act_and_mul_bias_kernelIffhfTnPFfRKT2_EXadL_ZNS_11silu_kernelIfEEfRKT_EELi16EEEvPT0_PS8_PKT1_PS2_il, .Lfunc_end92-_ZN5aiter23act_and_mul_bias_kernelIffhfTnPFfRKT2_EXadL_ZNS_11silu_kernelIfEEfRKT_EELi16EEEvPT0_PS8_PKT1_PS2_il
                                        ; -- End function
	.section	.AMDGPU.csdata,"",@progbits
; Kernel info:
; codeLenInByte = 2484
; NumSgprs: 68
; NumVgprs: 69
; NumAgprs: 0
; TotalNumVgprs: 69
; ScratchSize: 0
; MemoryBound: 0
; FloatMode: 240
; IeeeMode: 1
; LDSByteSize: 0 bytes/workgroup (compile time only)
; SGPRBlocks: 8
; VGPRBlocks: 8
; NumSGPRsForWavesPerEU: 68
; NumVGPRsForWavesPerEU: 69
; AccumOffset: 72
; Occupancy: 7
; WaveLimiterHint : 0
; COMPUTE_PGM_RSRC2:SCRATCH_EN: 0
; COMPUTE_PGM_RSRC2:USER_SGPR: 2
; COMPUTE_PGM_RSRC2:TRAP_HANDLER: 0
; COMPUTE_PGM_RSRC2:TGID_X_EN: 1
; COMPUTE_PGM_RSRC2:TGID_Y_EN: 0
; COMPUTE_PGM_RSRC2:TGID_Z_EN: 0
; COMPUTE_PGM_RSRC2:TIDIG_COMP_CNT: 0
; COMPUTE_PGM_RSRC3_GFX90A:ACCUM_OFFSET: 17
; COMPUTE_PGM_RSRC3_GFX90A:TG_SPLIT: 0
	.section	.text._ZN5aiter23act_and_mul_bias_kernelIffhfTnPFfRKT2_EXadL_ZNS_11silu_kernelIfEEfRKT_EELi8EEEvPT0_PS8_PKT1_PS2_il,"axG",@progbits,_ZN5aiter23act_and_mul_bias_kernelIffhfTnPFfRKT2_EXadL_ZNS_11silu_kernelIfEEfRKT_EELi8EEEvPT0_PS8_PKT1_PS2_il,comdat
	.protected	_ZN5aiter23act_and_mul_bias_kernelIffhfTnPFfRKT2_EXadL_ZNS_11silu_kernelIfEEfRKT_EELi8EEEvPT0_PS8_PKT1_PS2_il ; -- Begin function _ZN5aiter23act_and_mul_bias_kernelIffhfTnPFfRKT2_EXadL_ZNS_11silu_kernelIfEEfRKT_EELi8EEEvPT0_PS8_PKT1_PS2_il
	.globl	_ZN5aiter23act_and_mul_bias_kernelIffhfTnPFfRKT2_EXadL_ZNS_11silu_kernelIfEEfRKT_EELi8EEEvPT0_PS8_PKT1_PS2_il
	.p2align	8
	.type	_ZN5aiter23act_and_mul_bias_kernelIffhfTnPFfRKT2_EXadL_ZNS_11silu_kernelIfEEfRKT_EELi8EEEvPT0_PS8_PKT1_PS2_il,@function
_ZN5aiter23act_and_mul_bias_kernelIffhfTnPFfRKT2_EXadL_ZNS_11silu_kernelIfEEfRKT_EELi8EEEvPT0_PS8_PKT1_PS2_il: ; @_ZN5aiter23act_and_mul_bias_kernelIffhfTnPFfRKT2_EXadL_ZNS_11silu_kernelIfEEfRKT_EELi8EEEvPT0_PS8_PKT1_PS2_il
; %bb.0:
	s_load_dwordx2 s[4:5], s[0:1], 0x10
	s_load_dword s14, s[0:1], 0x20
	s_load_dwordx2 s[8:9], s[0:1], 0x28
	v_mov_b32_e32 v1, s2
	s_load_dwordx2 s[10:11], s[0:1], 0x0
	s_waitcnt lgkmcnt(0)
	global_load_ubyte v1, v1, s[4:5]
	s_ashr_i32 s15, s14, 31
	s_mul_hi_u32 s3, s14, s2
	s_mul_i32 s4, s15, s2
	s_mul_i32 s12, s14, s2
	s_add_i32 s13, s3, s4
	s_lshl_b32 s18, s14, 2
	v_mov_b64_e32 v[2:3], s[8:9]
	s_lshl_b64 s[8:9], s[12:13], 2
	s_mov_b32 s5, 0
	s_mov_b64 s[6:7], -1
	v_lshlrev_b32_e32 v4, 3, v0
	s_waitcnt vmcnt(0)
	v_readfirstlane_b32 s3, v1
	s_and_b32 s4, s3, 0xffff
	s_add_u32 s16, s10, s8
	v_cmp_lt_i64_e32 vcc, s[4:5], v[2:3]
	s_addc_u32 s3, s11, s9
	s_and_b32 s17, s3, 0xffff
	s_cbranch_vccnz .LBB93_5
; %bb.1:
	v_cmp_gt_i32_e32 vcc, s14, v4
	s_and_saveexec_b64 s[6:7], vcc
	s_cbranch_execz .LBB93_4
; %bb.2:
	s_load_dword s3, s[0:1], 0x3c
	s_mov_b32 s9, 0
	s_mov_b32 s20, s9
	;; [unrolled: 1-line block ×3, first 2 shown]
	v_mov_b32_e32 v5, 0
	v_lshlrev_b32_e32 v8, 5, v0
	s_waitcnt lgkmcnt(0)
	s_and_b32 s3, s3, 0xffff
	s_mov_b32 s22, s9
	s_mov_b32 s23, s9
	v_mov_b64_e32 v[0:1], s[20:21]
	s_lshl_b32 s8, s3, 3
	s_lshl_b32 s3, s3, 5
	s_mov_b64 s[10:11], 0
	s_mov_b32 s19, 0x20000
	v_mov_b64_e32 v[2:3], s[22:23]
	v_mov_b64_e32 v[6:7], v[4:5]
.LBB93_3:                               ; =>This Inner Loop Header: Depth=1
	v_lshl_add_u64 v[6:7], s[8:9], 0, v[6:7]
	v_cmp_le_i64_e32 vcc, s[14:15], v[6:7]
	buffer_store_dwordx4 v[0:3], v8, s[16:19], 0 offen
	buffer_store_dwordx4 v[0:3], v8, s[16:19], 16 offen
	s_or_b64 s[10:11], vcc, s[10:11]
	v_add_u32_e32 v8, s3, v8
	s_andn2_b64 exec, exec, s[10:11]
	s_cbranch_execnz .LBB93_3
.LBB93_4:
	s_or_b64 exec, exec, s[6:7]
	s_mov_b64 s[6:7], 0
.LBB93_5:
	s_andn2_b64 vcc, exec, s[6:7]
	s_cbranch_vccnz .LBB93_9
; %bb.6:
	v_cmp_gt_i32_e32 vcc, s14, v4
	s_and_saveexec_b64 s[6:7], vcc
	s_cbranch_execz .LBB93_9
; %bb.7:
	s_load_dwordx2 s[6:7], s[0:1], 0x18
	s_load_dwordx2 s[8:9], s[0:1], 0x8
	s_mul_hi_i32 s5, s14, s4
	s_mul_i32 s4, s14, s4
	s_lshl_b64 s[4:5], s[4:5], 3
	s_waitcnt lgkmcnt(0)
	s_add_u32 s20, s6, s4
	s_addc_u32 s3, s7, s5
	s_lshl_b64 s[4:5], s[14:15], 2
	s_add_u32 s24, s20, s4
	s_addc_u32 s6, s3, s5
	s_and_b32 s21, s3, 0xffff
	s_and_b32 s25, s6, 0xffff
	s_mul_i32 s3, s2, s15
	s_mul_hi_u32 s6, s2, s14
	s_add_i32 s3, s6, s3
	s_mul_i32 s2, s2, s14
	s_lshl_b64 s[2:3], s[2:3], 3
	s_add_u32 s28, s8, s2
	s_addc_u32 s2, s9, s3
	s_add_u32 s36, s28, s4
	s_addc_u32 s3, s2, s5
	s_and_b32 s29, s2, 0xffff
	s_and_b32 s37, s3, 0xffff
	s_mov_b32 s19, 0x20000
	s_add_u32 s34, s0, 48
	v_mov_b32_e32 v5, 0
	s_addc_u32 s35, s1, 0
	s_mov_b64 s[40:41], 0
	s_mov_b32 s30, s18
	s_mov_b32 s31, s19
	;; [unrolled: 1-line block ×6, first 2 shown]
	v_mov_b32_e32 v18, 0x7f800000
	s_mov_b32 s38, s18
	s_mov_b32 s39, s19
	;; [unrolled: 1-line block ×6, first 2 shown]
.LBB93_8:                               ; =>This Inner Loop Header: Depth=1
	v_lshlrev_b32_e32 v19, 2, v4
	buffer_load_dwordx4 v[6:9], v19, s[24:27], 0 offen
	buffer_load_dwordx4 v[10:13], v19, s[36:39], 0 offen
	;; [unrolled: 1-line block ×8, first 2 shown]
	s_waitcnt vmcnt(6)
	v_pk_add_f32 v[0:1], v[12:13], v[8:9]
	v_pk_add_f32 v[2:3], v[10:11], v[6:7]
	s_waitcnt vmcnt(4)
	v_pk_add_f32 v[8:9], v[14:15], v[20:21]
	v_pk_add_f32 v[6:7], v[16:17], v[22:23]
	v_mul_f32_e32 v20, 0xbfb8aa3b, v8
	v_mul_f32_e32 v21, 0xbfb8aa3b, v9
	s_waitcnt vmcnt(0)
	v_pk_add_f32 v[14:15], v[34:35], v[38:39]
	v_pk_add_f32 v[16:17], v[32:33], v[36:37]
	v_pk_add_f32 v[10:11], v[26:27], v[30:31]
	v_pk_add_f32 v[12:13], v[24:25], v[28:29]
	v_mul_f32_e32 v22, 0xbfb8aa3b, v6
	v_mul_f32_e32 v23, 0xbfb8aa3b, v7
	;; [unrolled: 1-line block ×6, first 2 shown]
	v_fma_f32 v28, v8, s33, -v20
	v_rndne_f32_e32 v29, v20
	v_fma_f32 v30, v9, s33, -v21
	v_rndne_f32_e32 v31, v21
	;; [unrolled: 2-line block ×8, first 2 shown]
	v_fmac_f32_e32 v28, 0xb2a5705f, v8
	v_sub_f32_e32 v20, v20, v29
	v_fmac_f32_e32 v30, 0xb2a5705f, v9
	v_sub_f32_e32 v21, v21, v31
	;; [unrolled: 2-line block ×8, first 2 shown]
	v_add_f32_e32 v20, v20, v28
	v_add_f32_e32 v21, v21, v30
	v_cvt_i32_f32_e32 v29, v29
	v_cvt_i32_f32_e32 v31, v31
	v_add_f32_e32 v22, v22, v32
	v_add_f32_e32 v23, v23, v34
	;; [unrolled: 1-line block ×6, first 2 shown]
	v_exp_f32_e32 v20, v20
	v_exp_f32_e32 v21, v21
	v_cvt_i32_f32_e32 v33, v33
	v_cvt_i32_f32_e32 v35, v35
	;; [unrolled: 1-line block ×6, first 2 shown]
	v_exp_f32_e32 v22, v22
	v_exp_f32_e32 v23, v23
	v_exp_f32_e32 v24, v24
	v_exp_f32_e32 v25, v25
	v_exp_f32_e32 v26, v26
	v_exp_f32_e32 v27, v27
	v_ldexp_f32 v20, v20, v29
	v_ldexp_f32 v21, v21, v31
	v_cmp_nlt_f32_e32 vcc, s44, v9
	v_cmp_nlt_f32_e64 s[12:13], s44, v8
	v_ldexp_f32 v22, v22, v33
	v_cmp_nlt_f32_e64 s[0:1], s44, v6
	v_ldexp_f32 v23, v23, v35
	;; [unrolled: 2-line block ×6, first 2 shown]
	v_cmp_nlt_f32_e64 s[10:11], s44, v15
	v_cndmask_b32_e64 v20, 0, v20, s[12:13]
	v_cndmask_b32_e32 v21, 0, v21, vcc
	v_cmp_ngt_f32_e32 vcc, s45, v9
	v_cmp_ngt_f32_e64 s[12:13], s45, v8
	v_cndmask_b32_e64 v22, 0, v22, s[0:1]
	v_cmp_ngt_f32_e64 s[0:1], s45, v6
	v_cndmask_b32_e64 v23, 0, v23, s[2:3]
	;; [unrolled: 2-line block ×7, first 2 shown]
	v_cndmask_b32_e32 v21, v18, v21, vcc
	v_cndmask_b32_e64 v22, v18, v22, s[0:1]
	v_cndmask_b32_e64 v23, v18, v23, s[2:3]
	;; [unrolled: 1-line block ×6, first 2 shown]
	v_add_f32_e32 v20, 1.0, v20
	v_add_f32_e32 v21, 1.0, v21
	;; [unrolled: 1-line block ×8, first 2 shown]
	v_rcp_f32_e32 v20, v20
	v_rcp_f32_e32 v21, v21
	v_rcp_f32_e32 v22, v22
	v_rcp_f32_e32 v23, v23
	v_rcp_f32_e32 v24, v24
	v_rcp_f32_e32 v25, v25
	v_rcp_f32_e32 v26, v26
	v_rcp_f32_e32 v27, v27
	v_pk_mul_f32 v[8:9], v[8:9], v[20:21]
	v_pk_mul_f32 v[20:21], v[6:7], v[22:23]
	;; [unrolled: 1-line block ×4, first 2 shown]
	;;#ASMSTART
	v_pk_mul_f32 v[6:7], v[8:9], v[2:3]
	;;#ASMEND
	;;#ASMSTART
	v_pk_mul_f32 v[8:9], v[20:21], v[0:1]
	;;#ASMEND
	;; [unrolled: 3-line block ×3, first 2 shown]
	s_nop 0
	;;#ASMSTART
	v_pk_mul_f32 v[2:3], v[14:15], v[10:11]
	;;#ASMEND
	s_load_dword s0, s[34:35], 0xc
	buffer_store_dwordx4 v[6:9], v19, s[16:19], 0 offen
	buffer_store_dwordx4 v[0:3], v19, s[16:19], 16 offen
	s_waitcnt lgkmcnt(0)
	s_and_b32 s0, s0, 0xffff
	s_lshl_b32 s42, s0, 3
	v_lshl_add_u64 v[4:5], s[42:43], 0, v[4:5]
	v_cmp_le_i64_e32 vcc, s[14:15], v[4:5]
	s_or_b64 s[40:41], vcc, s[40:41]
	s_andn2_b64 exec, exec, s[40:41]
	s_cbranch_execnz .LBB93_8
.LBB93_9:
	s_endpgm
	.section	.rodata,"a",@progbits
	.p2align	6, 0x0
	.amdhsa_kernel _ZN5aiter23act_and_mul_bias_kernelIffhfTnPFfRKT2_EXadL_ZNS_11silu_kernelIfEEfRKT_EELi8EEEvPT0_PS8_PKT1_PS2_il
		.amdhsa_group_segment_fixed_size 0
		.amdhsa_private_segment_fixed_size 0
		.amdhsa_kernarg_size 304
		.amdhsa_user_sgpr_count 2
		.amdhsa_user_sgpr_dispatch_ptr 0
		.amdhsa_user_sgpr_queue_ptr 0
		.amdhsa_user_sgpr_kernarg_segment_ptr 1
		.amdhsa_user_sgpr_dispatch_id 0
		.amdhsa_user_sgpr_kernarg_preload_length 0
		.amdhsa_user_sgpr_kernarg_preload_offset 0
		.amdhsa_user_sgpr_private_segment_size 0
		.amdhsa_uses_dynamic_stack 0
		.amdhsa_enable_private_segment 0
		.amdhsa_system_sgpr_workgroup_id_x 1
		.amdhsa_system_sgpr_workgroup_id_y 0
		.amdhsa_system_sgpr_workgroup_id_z 0
		.amdhsa_system_sgpr_workgroup_info 0
		.amdhsa_system_vgpr_workitem_id 0
		.amdhsa_next_free_vgpr 44
		.amdhsa_next_free_sgpr 46
		.amdhsa_accum_offset 44
		.amdhsa_reserve_vcc 1
		.amdhsa_float_round_mode_32 0
		.amdhsa_float_round_mode_16_64 0
		.amdhsa_float_denorm_mode_32 3
		.amdhsa_float_denorm_mode_16_64 3
		.amdhsa_dx10_clamp 1
		.amdhsa_ieee_mode 1
		.amdhsa_fp16_overflow 0
		.amdhsa_tg_split 0
		.amdhsa_exception_fp_ieee_invalid_op 0
		.amdhsa_exception_fp_denorm_src 0
		.amdhsa_exception_fp_ieee_div_zero 0
		.amdhsa_exception_fp_ieee_overflow 0
		.amdhsa_exception_fp_ieee_underflow 0
		.amdhsa_exception_fp_ieee_inexact 0
		.amdhsa_exception_int_div_zero 0
	.end_amdhsa_kernel
	.section	.text._ZN5aiter23act_and_mul_bias_kernelIffhfTnPFfRKT2_EXadL_ZNS_11silu_kernelIfEEfRKT_EELi8EEEvPT0_PS8_PKT1_PS2_il,"axG",@progbits,_ZN5aiter23act_and_mul_bias_kernelIffhfTnPFfRKT2_EXadL_ZNS_11silu_kernelIfEEfRKT_EELi8EEEvPT0_PS8_PKT1_PS2_il,comdat
.Lfunc_end93:
	.size	_ZN5aiter23act_and_mul_bias_kernelIffhfTnPFfRKT2_EXadL_ZNS_11silu_kernelIfEEfRKT_EELi8EEEvPT0_PS8_PKT1_PS2_il, .Lfunc_end93-_ZN5aiter23act_and_mul_bias_kernelIffhfTnPFfRKT2_EXadL_ZNS_11silu_kernelIfEEfRKT_EELi8EEEvPT0_PS8_PKT1_PS2_il
                                        ; -- End function
	.section	.AMDGPU.csdata,"",@progbits
; Kernel info:
; codeLenInByte = 1508
; NumSgprs: 52
; NumVgprs: 44
; NumAgprs: 0
; TotalNumVgprs: 44
; ScratchSize: 0
; MemoryBound: 0
; FloatMode: 240
; IeeeMode: 1
; LDSByteSize: 0 bytes/workgroup (compile time only)
; SGPRBlocks: 6
; VGPRBlocks: 5
; NumSGPRsForWavesPerEU: 52
; NumVGPRsForWavesPerEU: 44
; AccumOffset: 44
; Occupancy: 8
; WaveLimiterHint : 0
; COMPUTE_PGM_RSRC2:SCRATCH_EN: 0
; COMPUTE_PGM_RSRC2:USER_SGPR: 2
; COMPUTE_PGM_RSRC2:TRAP_HANDLER: 0
; COMPUTE_PGM_RSRC2:TGID_X_EN: 1
; COMPUTE_PGM_RSRC2:TGID_Y_EN: 0
; COMPUTE_PGM_RSRC2:TGID_Z_EN: 0
; COMPUTE_PGM_RSRC2:TIDIG_COMP_CNT: 0
; COMPUTE_PGM_RSRC3_GFX90A:ACCUM_OFFSET: 10
; COMPUTE_PGM_RSRC3_GFX90A:TG_SPLIT: 0
	.section	.text._ZN5aiter23act_and_mul_bias_kernelIffhfTnPFfRKT2_EXadL_ZNS_11silu_kernelIfEEfRKT_EELi4EEEvPT0_PS8_PKT1_PS2_il,"axG",@progbits,_ZN5aiter23act_and_mul_bias_kernelIffhfTnPFfRKT2_EXadL_ZNS_11silu_kernelIfEEfRKT_EELi4EEEvPT0_PS8_PKT1_PS2_il,comdat
	.protected	_ZN5aiter23act_and_mul_bias_kernelIffhfTnPFfRKT2_EXadL_ZNS_11silu_kernelIfEEfRKT_EELi4EEEvPT0_PS8_PKT1_PS2_il ; -- Begin function _ZN5aiter23act_and_mul_bias_kernelIffhfTnPFfRKT2_EXadL_ZNS_11silu_kernelIfEEfRKT_EELi4EEEvPT0_PS8_PKT1_PS2_il
	.globl	_ZN5aiter23act_and_mul_bias_kernelIffhfTnPFfRKT2_EXadL_ZNS_11silu_kernelIfEEfRKT_EELi4EEEvPT0_PS8_PKT1_PS2_il
	.p2align	8
	.type	_ZN5aiter23act_and_mul_bias_kernelIffhfTnPFfRKT2_EXadL_ZNS_11silu_kernelIfEEfRKT_EELi4EEEvPT0_PS8_PKT1_PS2_il,@function
_ZN5aiter23act_and_mul_bias_kernelIffhfTnPFfRKT2_EXadL_ZNS_11silu_kernelIfEEfRKT_EELi4EEEvPT0_PS8_PKT1_PS2_il: ; @_ZN5aiter23act_and_mul_bias_kernelIffhfTnPFfRKT2_EXadL_ZNS_11silu_kernelIfEEfRKT_EELi4EEEvPT0_PS8_PKT1_PS2_il
; %bb.0:
	s_load_dwordx2 s[4:5], s[0:1], 0x10
	s_load_dword s6, s[0:1], 0x20
	s_load_dwordx2 s[8:9], s[0:1], 0x28
	v_mov_b32_e32 v1, s2
	s_load_dwordx2 s[14:15], s[0:1], 0x0
	s_waitcnt lgkmcnt(0)
	global_load_ubyte v1, v1, s[4:5]
	s_ashr_i32 s7, s6, 31
	s_mul_hi_u32 s3, s6, s2
	s_mul_i32 s4, s7, s2
	s_mul_i32 s16, s6, s2
	s_add_i32 s17, s3, s4
	s_lshl_b32 s10, s6, 2
	v_mov_b64_e32 v[2:3], s[8:9]
	s_lshl_b64 s[8:9], s[16:17], 2
	s_mov_b32 s5, 0
	s_mov_b64 s[12:13], -1
	v_lshlrev_b32_e32 v4, 2, v0
	s_waitcnt vmcnt(0)
	v_readfirstlane_b32 s3, v1
	s_and_b32 s4, s3, 0xffff
	s_add_u32 s8, s14, s8
	v_cmp_lt_i64_e32 vcc, s[4:5], v[2:3]
	s_addc_u32 s3, s15, s9
	s_and_b32 s9, s3, 0xffff
	s_cbranch_vccnz .LBB94_5
; %bb.1:
	v_cmp_gt_i32_e32 vcc, s6, v4
	s_and_saveexec_b64 s[12:13], vcc
	s_cbranch_execz .LBB94_4
; %bb.2:
	s_load_dword s3, s[0:1], 0x3c
	v_mov_b32_e32 v5, 0
	s_mov_b32 s15, 0
	v_lshlrev_b32_e32 v8, 4, v0
	s_mov_b64 s[16:17], 0
	s_waitcnt lgkmcnt(0)
	s_and_b32 s3, s3, 0xffff
	s_lshl_b32 s14, s3, 2
	s_lshl_b32 s3, s3, 4
	s_mov_b32 s11, 0x20000
	v_mov_b32_e32 v0, v5
	v_mov_b32_e32 v1, v5
	;; [unrolled: 1-line block ×4, first 2 shown]
	v_mov_b64_e32 v[6:7], v[4:5]
.LBB94_3:                               ; =>This Inner Loop Header: Depth=1
	v_lshl_add_u64 v[6:7], s[14:15], 0, v[6:7]
	v_cmp_le_i64_e32 vcc, s[6:7], v[6:7]
	buffer_store_dwordx4 v[0:3], v8, s[8:11], 0 offen
	s_or_b64 s[16:17], vcc, s[16:17]
	v_add_u32_e32 v8, s3, v8
	s_andn2_b64 exec, exec, s[16:17]
	s_cbranch_execnz .LBB94_3
.LBB94_4:
	s_or_b64 exec, exec, s[12:13]
	s_mov_b64 s[12:13], 0
.LBB94_5:
	s_andn2_b64 vcc, exec, s[12:13]
	s_cbranch_vccnz .LBB94_9
; %bb.6:
	v_cmp_gt_i32_e32 vcc, s6, v4
	s_and_saveexec_b64 s[12:13], vcc
	s_cbranch_execz .LBB94_9
; %bb.7:
	s_load_dwordx2 s[12:13], s[0:1], 0x18
	s_load_dwordx2 s[14:15], s[0:1], 0x8
	s_mul_hi_i32 s5, s6, s4
	s_mul_i32 s4, s6, s4
	s_lshl_b64 s[4:5], s[4:5], 3
	s_waitcnt lgkmcnt(0)
	s_add_u32 s12, s12, s4
	s_addc_u32 s3, s13, s5
	s_lshl_b64 s[4:5], s[6:7], 2
	s_add_u32 s16, s12, s4
	s_addc_u32 s17, s3, s5
	s_and_b32 s13, s3, 0xffff
	s_mul_i32 s3, s2, s7
	s_mul_hi_u32 s18, s2, s6
	s_add_i32 s3, s18, s3
	s_mul_i32 s2, s2, s6
	s_and_b32 s17, s17, 0xffff
	s_lshl_b64 s[2:3], s[2:3], 3
	s_add_u32 s20, s14, s2
	s_addc_u32 s2, s15, s3
	s_add_u32 s24, s20, s4
	s_addc_u32 s3, s2, s5
	s_and_b32 s21, s2, 0xffff
	s_and_b32 s25, s3, 0xffff
	s_mov_b32 s11, 0x20000
	s_add_u32 s28, s0, 48
	v_mov_b32_e32 v5, 0
	s_addc_u32 s29, s1, 0
	s_mov_b64 s[30:31], 0
	s_mov_b32 s22, s10
	s_mov_b32 s23, s11
	;; [unrolled: 1-line block ×6, first 2 shown]
	v_mov_b32_e32 v0, 0x7f800000
	s_mov_b32 s26, s10
	s_mov_b32 s27, s11
	;; [unrolled: 1-line block ×6, first 2 shown]
.LBB94_8:                               ; =>This Inner Loop Header: Depth=1
	v_lshlrev_b32_e32 v1, 2, v4
	buffer_load_dwordx4 v[6:9], v1, s[20:23], 0 offen
	buffer_load_dwordx4 v[10:13], v1, s[24:27], 0 offen
	;; [unrolled: 1-line block ×4, first 2 shown]
	s_waitcnt vmcnt(1)
	v_pk_add_f32 v[8:9], v[8:9], v[16:17]
	v_pk_add_f32 v[6:7], v[6:7], v[14:15]
	s_waitcnt vmcnt(0)
	v_pk_add_f32 v[2:3], v[12:13], v[20:21]
	v_mul_f32_e32 v12, 0xbfb8aa3b, v6
	v_mul_f32_e32 v13, 0xbfb8aa3b, v7
	;; [unrolled: 1-line block ×4, first 2 shown]
	v_pk_add_f32 v[10:11], v[10:11], v[18:19]
	v_fma_f32 v16, v6, s33, -v12
	v_rndne_f32_e32 v17, v12
	v_fma_f32 v18, v7, s33, -v13
	v_rndne_f32_e32 v19, v13
	;; [unrolled: 2-line block ×4, first 2 shown]
	v_fmac_f32_e32 v16, 0xb2a5705f, v6
	v_sub_f32_e32 v12, v12, v17
	v_fmac_f32_e32 v18, 0xb2a5705f, v7
	v_sub_f32_e32 v13, v13, v19
	;; [unrolled: 2-line block ×4, first 2 shown]
	v_add_f32_e32 v12, v12, v16
	v_add_f32_e32 v13, v13, v18
	;; [unrolled: 1-line block ×4, first 2 shown]
	v_cvt_i32_f32_e32 v17, v17
	v_cvt_i32_f32_e32 v19, v19
	;; [unrolled: 1-line block ×4, first 2 shown]
	v_exp_f32_e32 v12, v12
	v_exp_f32_e32 v13, v13
	;; [unrolled: 1-line block ×4, first 2 shown]
	v_ldexp_f32 v12, v12, v17
	v_ldexp_f32 v13, v13, v19
	v_cmp_nlt_f32_e32 vcc, s36, v7
	v_ldexp_f32 v14, v14, v21
	v_cmp_nlt_f32_e64 s[0:1], s36, v8
	v_ldexp_f32 v15, v15, v23
	v_cmp_nlt_f32_e64 s[2:3], s36, v9
	v_cmp_nlt_f32_e64 s[4:5], s36, v6
	v_cndmask_b32_e32 v13, 0, v13, vcc
	v_cmp_ngt_f32_e32 vcc, s37, v7
	v_cndmask_b32_e64 v12, 0, v12, s[4:5]
	v_cndmask_b32_e64 v14, 0, v14, s[0:1]
	v_cmp_ngt_f32_e64 s[0:1], s37, v8
	v_cndmask_b32_e64 v15, 0, v15, s[2:3]
	v_cmp_ngt_f32_e64 s[2:3], s37, v9
	v_cmp_ngt_f32_e64 s[4:5], s37, v6
	v_cndmask_b32_e32 v13, v0, v13, vcc
	v_cndmask_b32_e64 v14, v0, v14, s[0:1]
	v_cndmask_b32_e64 v12, v0, v12, s[4:5]
	;; [unrolled: 1-line block ×3, first 2 shown]
	v_add_f32_e32 v12, 1.0, v12
	v_add_f32_e32 v13, 1.0, v13
	;; [unrolled: 1-line block ×4, first 2 shown]
	v_rcp_f32_e32 v12, v12
	v_rcp_f32_e32 v13, v13
	;; [unrolled: 1-line block ×4, first 2 shown]
	v_pk_mul_f32 v[6:7], v[6:7], v[12:13]
	s_nop 0
	;;#ASMSTART
	v_pk_mul_f32 v[6:7], v[6:7], v[10:11]
	;;#ASMEND
	v_pk_mul_f32 v[8:9], v[8:9], v[14:15]
	s_nop 0
	;;#ASMSTART
	v_pk_mul_f32 v[8:9], v[8:9], v[2:3]
	;;#ASMEND
	s_load_dword s0, s[28:29], 0xc
	buffer_store_dwordx4 v[6:9], v1, s[8:11], 0 offen
	s_waitcnt lgkmcnt(0)
	s_and_b32 s0, s0, 0xffff
	s_lshl_b32 s34, s0, 2
	v_lshl_add_u64 v[4:5], s[34:35], 0, v[4:5]
	v_cmp_le_i64_e32 vcc, s[6:7], v[4:5]
	s_or_b64 s[30:31], vcc, s[30:31]
	s_andn2_b64 exec, exec, s[30:31]
	s_cbranch_execnz .LBB94_8
.LBB94_9:
	s_endpgm
	.section	.rodata,"a",@progbits
	.p2align	6, 0x0
	.amdhsa_kernel _ZN5aiter23act_and_mul_bias_kernelIffhfTnPFfRKT2_EXadL_ZNS_11silu_kernelIfEEfRKT_EELi4EEEvPT0_PS8_PKT1_PS2_il
		.amdhsa_group_segment_fixed_size 0
		.amdhsa_private_segment_fixed_size 0
		.amdhsa_kernarg_size 304
		.amdhsa_user_sgpr_count 2
		.amdhsa_user_sgpr_dispatch_ptr 0
		.amdhsa_user_sgpr_queue_ptr 0
		.amdhsa_user_sgpr_kernarg_segment_ptr 1
		.amdhsa_user_sgpr_dispatch_id 0
		.amdhsa_user_sgpr_kernarg_preload_length 0
		.amdhsa_user_sgpr_kernarg_preload_offset 0
		.amdhsa_user_sgpr_private_segment_size 0
		.amdhsa_uses_dynamic_stack 0
		.amdhsa_enable_private_segment 0
		.amdhsa_system_sgpr_workgroup_id_x 1
		.amdhsa_system_sgpr_workgroup_id_y 0
		.amdhsa_system_sgpr_workgroup_id_z 0
		.amdhsa_system_sgpr_workgroup_info 0
		.amdhsa_system_vgpr_workitem_id 0
		.amdhsa_next_free_vgpr 24
		.amdhsa_next_free_sgpr 38
		.amdhsa_accum_offset 24
		.amdhsa_reserve_vcc 1
		.amdhsa_float_round_mode_32 0
		.amdhsa_float_round_mode_16_64 0
		.amdhsa_float_denorm_mode_32 3
		.amdhsa_float_denorm_mode_16_64 3
		.amdhsa_dx10_clamp 1
		.amdhsa_ieee_mode 1
		.amdhsa_fp16_overflow 0
		.amdhsa_tg_split 0
		.amdhsa_exception_fp_ieee_invalid_op 0
		.amdhsa_exception_fp_denorm_src 0
		.amdhsa_exception_fp_ieee_div_zero 0
		.amdhsa_exception_fp_ieee_overflow 0
		.amdhsa_exception_fp_ieee_underflow 0
		.amdhsa_exception_fp_ieee_inexact 0
		.amdhsa_exception_int_div_zero 0
	.end_amdhsa_kernel
	.section	.text._ZN5aiter23act_and_mul_bias_kernelIffhfTnPFfRKT2_EXadL_ZNS_11silu_kernelIfEEfRKT_EELi4EEEvPT0_PS8_PKT1_PS2_il,"axG",@progbits,_ZN5aiter23act_and_mul_bias_kernelIffhfTnPFfRKT2_EXadL_ZNS_11silu_kernelIfEEfRKT_EELi4EEEvPT0_PS8_PKT1_PS2_il,comdat
.Lfunc_end94:
	.size	_ZN5aiter23act_and_mul_bias_kernelIffhfTnPFfRKT2_EXadL_ZNS_11silu_kernelIfEEfRKT_EELi4EEEvPT0_PS8_PKT1_PS2_il, .Lfunc_end94-_ZN5aiter23act_and_mul_bias_kernelIffhfTnPFfRKT2_EXadL_ZNS_11silu_kernelIfEEfRKT_EELi4EEEvPT0_PS8_PKT1_PS2_il
                                        ; -- End function
	.section	.AMDGPU.csdata,"",@progbits
; Kernel info:
; codeLenInByte = 1020
; NumSgprs: 44
; NumVgprs: 24
; NumAgprs: 0
; TotalNumVgprs: 24
; ScratchSize: 0
; MemoryBound: 0
; FloatMode: 240
; IeeeMode: 1
; LDSByteSize: 0 bytes/workgroup (compile time only)
; SGPRBlocks: 5
; VGPRBlocks: 2
; NumSGPRsForWavesPerEU: 44
; NumVGPRsForWavesPerEU: 24
; AccumOffset: 24
; Occupancy: 8
; WaveLimiterHint : 0
; COMPUTE_PGM_RSRC2:SCRATCH_EN: 0
; COMPUTE_PGM_RSRC2:USER_SGPR: 2
; COMPUTE_PGM_RSRC2:TRAP_HANDLER: 0
; COMPUTE_PGM_RSRC2:TGID_X_EN: 1
; COMPUTE_PGM_RSRC2:TGID_Y_EN: 0
; COMPUTE_PGM_RSRC2:TGID_Z_EN: 0
; COMPUTE_PGM_RSRC2:TIDIG_COMP_CNT: 0
; COMPUTE_PGM_RSRC3_GFX90A:ACCUM_OFFSET: 5
; COMPUTE_PGM_RSRC3_GFX90A:TG_SPLIT: 0
	.section	.text._ZN5aiter23act_and_mul_bias_kernelIffhfTnPFfRKT2_EXadL_ZNS_11silu_kernelIfEEfRKT_EELi2EEEvPT0_PS8_PKT1_PS2_il,"axG",@progbits,_ZN5aiter23act_and_mul_bias_kernelIffhfTnPFfRKT2_EXadL_ZNS_11silu_kernelIfEEfRKT_EELi2EEEvPT0_PS8_PKT1_PS2_il,comdat
	.protected	_ZN5aiter23act_and_mul_bias_kernelIffhfTnPFfRKT2_EXadL_ZNS_11silu_kernelIfEEfRKT_EELi2EEEvPT0_PS8_PKT1_PS2_il ; -- Begin function _ZN5aiter23act_and_mul_bias_kernelIffhfTnPFfRKT2_EXadL_ZNS_11silu_kernelIfEEfRKT_EELi2EEEvPT0_PS8_PKT1_PS2_il
	.globl	_ZN5aiter23act_and_mul_bias_kernelIffhfTnPFfRKT2_EXadL_ZNS_11silu_kernelIfEEfRKT_EELi2EEEvPT0_PS8_PKT1_PS2_il
	.p2align	8
	.type	_ZN5aiter23act_and_mul_bias_kernelIffhfTnPFfRKT2_EXadL_ZNS_11silu_kernelIfEEfRKT_EELi2EEEvPT0_PS8_PKT1_PS2_il,@function
_ZN5aiter23act_and_mul_bias_kernelIffhfTnPFfRKT2_EXadL_ZNS_11silu_kernelIfEEfRKT_EELi2EEEvPT0_PS8_PKT1_PS2_il: ; @_ZN5aiter23act_and_mul_bias_kernelIffhfTnPFfRKT2_EXadL_ZNS_11silu_kernelIfEEfRKT_EELi2EEEvPT0_PS8_PKT1_PS2_il
; %bb.0:
	s_load_dwordx2 s[4:5], s[0:1], 0x10
	s_load_dword s24, s[0:1], 0x20
	s_load_dwordx2 s[12:13], s[0:1], 0x28
	v_mov_b32_e32 v1, s2
	s_mov_b32 s9, 0
	s_waitcnt lgkmcnt(0)
	global_load_ubyte v1, v1, s[4:5]
	s_load_dwordx2 s[4:5], s[0:1], 0x0
	s_ashr_i32 s25, s24, 31
	s_mul_hi_u32 s3, s24, s2
	s_mul_i32 s7, s25, s2
	s_mul_i32 s14, s24, s2
	s_add_i32 s15, s3, s7
	s_lshl_b32 s6, s24, 2
	v_mov_b64_e32 v[4:5], s[12:13]
	s_lshl_b64 s[12:13], s[14:15], 2
	s_mov_b64 s[10:11], -1
	v_lshlrev_b32_e32 v2, 1, v0
	s_waitcnt vmcnt(0)
	v_readfirstlane_b32 s3, v1
	s_and_b32 s8, s3, 0xffff
	s_waitcnt lgkmcnt(0)
	s_add_u32 s4, s4, s12
	v_cmp_lt_i64_e32 vcc, s[8:9], v[4:5]
	s_addc_u32 s3, s5, s13
	s_and_b32 s5, s3, 0xffff
	s_cbranch_vccnz .LBB95_5
; %bb.1:
	v_cmp_gt_i32_e32 vcc, s24, v2
	s_and_saveexec_b64 s[10:11], vcc
	s_cbranch_execz .LBB95_4
; %bb.2:
	s_load_dword s3, s[0:1], 0x3c
	v_mov_b32_e32 v3, 0
	s_mov_b32 s13, 0
	v_lshlrev_b32_e32 v6, 3, v0
	s_mov_b64 s[14:15], 0
	s_waitcnt lgkmcnt(0)
	s_and_b32 s3, s3, 0xffff
	s_lshl_b32 s12, s3, 1
	s_lshl_b32 s3, s3, 3
	s_mov_b32 s7, 0x20000
	v_mov_b32_e32 v0, v3
	v_mov_b32_e32 v1, v3
	v_mov_b64_e32 v[4:5], v[2:3]
.LBB95_3:                               ; =>This Inner Loop Header: Depth=1
	v_lshl_add_u64 v[4:5], s[12:13], 0, v[4:5]
	v_cmp_le_i64_e32 vcc, s[24:25], v[4:5]
	buffer_store_dwordx2 v[0:1], v6, s[4:7], 0 offen
	s_or_b64 s[14:15], vcc, s[14:15]
	v_add_u32_e32 v6, s3, v6
	s_andn2_b64 exec, exec, s[14:15]
	s_cbranch_execnz .LBB95_3
.LBB95_4:
	s_or_b64 exec, exec, s[10:11]
	s_mov_b64 s[10:11], 0
.LBB95_5:
	s_andn2_b64 vcc, exec, s[10:11]
	s_cbranch_vccnz .LBB95_9
; %bb.6:
	v_cmp_gt_i32_e32 vcc, s24, v2
	s_and_saveexec_b64 s[10:11], vcc
	s_cbranch_execz .LBB95_9
; %bb.7:
	s_load_dwordx2 s[10:11], s[0:1], 0x18
	s_load_dwordx2 s[14:15], s[0:1], 0x8
	s_mul_hi_i32 s9, s24, s8
	s_mul_i32 s8, s24, s8
	s_lshl_b64 s[8:9], s[8:9], 3
	s_waitcnt lgkmcnt(0)
	s_add_u32 s8, s10, s8
	s_addc_u32 s3, s11, s9
	s_lshl_b64 s[10:11], s[24:25], 2
	s_add_u32 s12, s8, s10
	s_addc_u32 s13, s3, s11
	s_and_b32 s9, s3, 0xffff
	s_mul_i32 s3, s2, s25
	s_mul_hi_u32 s16, s2, s24
	s_add_i32 s3, s16, s3
	s_mul_i32 s2, s2, s24
	s_and_b32 s13, s13, 0xffff
	s_lshl_b64 s[2:3], s[2:3], 3
	s_add_u32 s16, s14, s2
	s_addc_u32 s2, s15, s3
	s_add_u32 s20, s16, s10
	s_addc_u32 s3, s2, s11
	s_and_b32 s17, s2, 0xffff
	s_and_b32 s21, s3, 0xffff
	s_mov_b32 s7, 0x20000
	s_add_u32 s2, s0, 48
	v_mov_b32_e32 v3, 0
	s_addc_u32 s3, s1, 0
	s_mov_b64 s[26:27], 0
	s_mov_b32 s18, s6
	s_mov_b32 s19, s7
	;; [unrolled: 1-line block ×6, first 2 shown]
	v_mov_b32_e32 v0, 0x7f800000
	s_mov_b32 s22, s6
	s_mov_b32 s23, s7
	;; [unrolled: 1-line block ×6, first 2 shown]
.LBB95_8:                               ; =>This Inner Loop Header: Depth=1
	v_lshlrev_b32_e32 v1, 2, v2
	buffer_load_dwordx2 v[4:5], v1, s[8:11], 0 offen
	buffer_load_dwordx2 v[6:7], v1, s[16:19], 0 offen
	;; [unrolled: 1-line block ×4, first 2 shown]
	s_waitcnt vmcnt(2)
	v_pk_add_f32 v[4:5], v[6:7], v[4:5]
	s_nop 0
	v_mul_f32_e32 v6, 0xbfb8aa3b, v5
	v_mul_f32_e32 v7, 0xbfb8aa3b, v4
	v_fma_f32 v12, v5, s30, -v6
	v_rndne_f32_e32 v13, v6
	v_fma_f32 v14, v4, s30, -v7
	v_rndne_f32_e32 v15, v7
	v_fmac_f32_e32 v12, 0xb2a5705f, v5
	v_sub_f32_e32 v6, v6, v13
	v_fmac_f32_e32 v14, 0xb2a5705f, v4
	v_sub_f32_e32 v7, v7, v15
	v_add_f32_e32 v6, v6, v12
	v_add_f32_e32 v7, v7, v14
	v_cvt_i32_f32_e32 v13, v13
	v_cvt_i32_f32_e32 v15, v15
	v_exp_f32_e32 v6, v6
	v_exp_f32_e32 v7, v7
	v_cmp_nlt_f32_e32 vcc, s31, v4
	v_cmp_nlt_f32_e64 s[0:1], s31, v5
	v_ldexp_f32 v6, v6, v13
	v_ldexp_f32 v7, v7, v15
	v_cndmask_b32_e64 v6, 0, v6, s[0:1]
	v_cndmask_b32_e32 v7, 0, v7, vcc
	v_cmp_ngt_f32_e32 vcc, s33, v4
	v_cmp_ngt_f32_e64 s[0:1], s33, v5
	s_waitcnt vmcnt(0)
	v_pk_add_f32 v[8:9], v[8:9], v[10:11]
	v_cndmask_b32_e32 v7, v0, v7, vcc
	v_cndmask_b32_e64 v6, v0, v6, s[0:1]
	v_add_f32_e32 v6, 1.0, v6
	v_add_f32_e32 v12, 1.0, v7
	v_rcp_f32_e32 v7, v6
	v_rcp_f32_e32 v6, v12
	s_nop 0
	v_pk_mul_f32 v[4:5], v[4:5], v[6:7]
	s_nop 0
	;;#ASMSTART
	v_pk_mul_f32 v[4:5], v[4:5], v[8:9]
	;;#ASMEND
	s_load_dword s0, s[2:3], 0xc
	buffer_store_dwordx2 v[4:5], v1, s[4:7], 0 offen
	s_waitcnt lgkmcnt(0)
	s_and_b32 s0, s0, 0xffff
	s_lshl_b32 s28, s0, 1
	v_lshl_add_u64 v[2:3], s[28:29], 0, v[2:3]
	v_cmp_le_i64_e32 vcc, s[24:25], v[2:3]
	s_or_b64 s[26:27], vcc, s[26:27]
	s_andn2_b64 exec, exec, s[26:27]
	s_cbranch_execnz .LBB95_8
.LBB95_9:
	s_endpgm
	.section	.rodata,"a",@progbits
	.p2align	6, 0x0
	.amdhsa_kernel _ZN5aiter23act_and_mul_bias_kernelIffhfTnPFfRKT2_EXadL_ZNS_11silu_kernelIfEEfRKT_EELi2EEEvPT0_PS8_PKT1_PS2_il
		.amdhsa_group_segment_fixed_size 0
		.amdhsa_private_segment_fixed_size 0
		.amdhsa_kernarg_size 304
		.amdhsa_user_sgpr_count 2
		.amdhsa_user_sgpr_dispatch_ptr 0
		.amdhsa_user_sgpr_queue_ptr 0
		.amdhsa_user_sgpr_kernarg_segment_ptr 1
		.amdhsa_user_sgpr_dispatch_id 0
		.amdhsa_user_sgpr_kernarg_preload_length 0
		.amdhsa_user_sgpr_kernarg_preload_offset 0
		.amdhsa_user_sgpr_private_segment_size 0
		.amdhsa_uses_dynamic_stack 0
		.amdhsa_enable_private_segment 0
		.amdhsa_system_sgpr_workgroup_id_x 1
		.amdhsa_system_sgpr_workgroup_id_y 0
		.amdhsa_system_sgpr_workgroup_id_z 0
		.amdhsa_system_sgpr_workgroup_info 0
		.amdhsa_system_vgpr_workitem_id 0
		.amdhsa_next_free_vgpr 16
		.amdhsa_next_free_sgpr 34
		.amdhsa_accum_offset 16
		.amdhsa_reserve_vcc 1
		.amdhsa_float_round_mode_32 0
		.amdhsa_float_round_mode_16_64 0
		.amdhsa_float_denorm_mode_32 3
		.amdhsa_float_denorm_mode_16_64 3
		.amdhsa_dx10_clamp 1
		.amdhsa_ieee_mode 1
		.amdhsa_fp16_overflow 0
		.amdhsa_tg_split 0
		.amdhsa_exception_fp_ieee_invalid_op 0
		.amdhsa_exception_fp_denorm_src 0
		.amdhsa_exception_fp_ieee_div_zero 0
		.amdhsa_exception_fp_ieee_overflow 0
		.amdhsa_exception_fp_ieee_underflow 0
		.amdhsa_exception_fp_ieee_inexact 0
		.amdhsa_exception_int_div_zero 0
	.end_amdhsa_kernel
	.section	.text._ZN5aiter23act_and_mul_bias_kernelIffhfTnPFfRKT2_EXadL_ZNS_11silu_kernelIfEEfRKT_EELi2EEEvPT0_PS8_PKT1_PS2_il,"axG",@progbits,_ZN5aiter23act_and_mul_bias_kernelIffhfTnPFfRKT2_EXadL_ZNS_11silu_kernelIfEEfRKT_EELi2EEEvPT0_PS8_PKT1_PS2_il,comdat
.Lfunc_end95:
	.size	_ZN5aiter23act_and_mul_bias_kernelIffhfTnPFfRKT2_EXadL_ZNS_11silu_kernelIfEEfRKT_EELi2EEEvPT0_PS8_PKT1_PS2_il, .Lfunc_end95-_ZN5aiter23act_and_mul_bias_kernelIffhfTnPFfRKT2_EXadL_ZNS_11silu_kernelIfEEfRKT_EELi2EEEvPT0_PS8_PKT1_PS2_il
                                        ; -- End function
	.section	.AMDGPU.csdata,"",@progbits
; Kernel info:
; codeLenInByte = 804
; NumSgprs: 40
; NumVgprs: 16
; NumAgprs: 0
; TotalNumVgprs: 16
; ScratchSize: 0
; MemoryBound: 0
; FloatMode: 240
; IeeeMode: 1
; LDSByteSize: 0 bytes/workgroup (compile time only)
; SGPRBlocks: 4
; VGPRBlocks: 1
; NumSGPRsForWavesPerEU: 40
; NumVGPRsForWavesPerEU: 16
; AccumOffset: 16
; Occupancy: 8
; WaveLimiterHint : 0
; COMPUTE_PGM_RSRC2:SCRATCH_EN: 0
; COMPUTE_PGM_RSRC2:USER_SGPR: 2
; COMPUTE_PGM_RSRC2:TRAP_HANDLER: 0
; COMPUTE_PGM_RSRC2:TGID_X_EN: 1
; COMPUTE_PGM_RSRC2:TGID_Y_EN: 0
; COMPUTE_PGM_RSRC2:TGID_Z_EN: 0
; COMPUTE_PGM_RSRC2:TIDIG_COMP_CNT: 0
; COMPUTE_PGM_RSRC3_GFX90A:ACCUM_OFFSET: 3
; COMPUTE_PGM_RSRC3_GFX90A:TG_SPLIT: 0
	.section	.text._ZN5aiter23act_and_mul_bias_kernelIffhfTnPFfRKT2_EXadL_ZNS_11silu_kernelIfEEfRKT_EELi1EEEvPT0_PS8_PKT1_PS2_il,"axG",@progbits,_ZN5aiter23act_and_mul_bias_kernelIffhfTnPFfRKT2_EXadL_ZNS_11silu_kernelIfEEfRKT_EELi1EEEvPT0_PS8_PKT1_PS2_il,comdat
	.protected	_ZN5aiter23act_and_mul_bias_kernelIffhfTnPFfRKT2_EXadL_ZNS_11silu_kernelIfEEfRKT_EELi1EEEvPT0_PS8_PKT1_PS2_il ; -- Begin function _ZN5aiter23act_and_mul_bias_kernelIffhfTnPFfRKT2_EXadL_ZNS_11silu_kernelIfEEfRKT_EELi1EEEvPT0_PS8_PKT1_PS2_il
	.globl	_ZN5aiter23act_and_mul_bias_kernelIffhfTnPFfRKT2_EXadL_ZNS_11silu_kernelIfEEfRKT_EELi1EEEvPT0_PS8_PKT1_PS2_il
	.p2align	8
	.type	_ZN5aiter23act_and_mul_bias_kernelIffhfTnPFfRKT2_EXadL_ZNS_11silu_kernelIfEEfRKT_EELi1EEEvPT0_PS8_PKT1_PS2_il,@function
_ZN5aiter23act_and_mul_bias_kernelIffhfTnPFfRKT2_EXadL_ZNS_11silu_kernelIfEEfRKT_EELi1EEEvPT0_PS8_PKT1_PS2_il: ; @_ZN5aiter23act_and_mul_bias_kernelIffhfTnPFfRKT2_EXadL_ZNS_11silu_kernelIfEEfRKT_EELi1EEEvPT0_PS8_PKT1_PS2_il
; %bb.0:
	s_load_dwordx2 s[4:5], s[0:1], 0x10
	s_load_dword s20, s[0:1], 0x20
	s_load_dwordx2 s[8:9], s[0:1], 0x28
	v_mov_b32_e32 v1, s2
	s_load_dwordx2 s[14:15], s[0:1], 0x0
	s_waitcnt lgkmcnt(0)
	global_load_ubyte v1, v1, s[4:5]
	s_ashr_i32 s21, s20, 31
	s_mul_hi_u32 s3, s20, s2
	s_mul_i32 s6, s21, s2
	s_mul_i32 s16, s20, s2
	s_add_i32 s17, s3, s6
	s_lshl_b32 s10, s20, 2
	v_mov_b64_e32 v[2:3], s[8:9]
	s_lshl_b64 s[8:9], s[16:17], 2
	s_mov_b32 s7, 0
	s_mov_b64 s[12:13], -1
	v_cmp_gt_i32_e64 s[4:5], s20, v0
	s_waitcnt vmcnt(0)
	v_readfirstlane_b32 s3, v1
	s_and_b32 s6, s3, 0xffff
	s_add_u32 s8, s14, s8
	v_cmp_lt_i64_e32 vcc, s[6:7], v[2:3]
	s_addc_u32 s3, s15, s9
	s_and_b32 s9, s3, 0xffff
	s_cbranch_vccnz .LBB96_5
; %bb.1:
	s_and_saveexec_b64 s[12:13], s[4:5]
	s_cbranch_execz .LBB96_4
; %bb.2:
	s_load_dword s3, s[0:1], 0x3c
	v_mov_b32_e32 v1, 0
	s_mov_b32 s5, 0
	v_lshlrev_b32_e32 v4, 2, v0
	s_mov_b64 s[14:15], 0
	s_waitcnt lgkmcnt(0)
	s_and_b32 s4, s3, 0xffff
	s_lshl_b32 s3, s4, 2
	s_mov_b32 s11, 0x20000
	v_mov_b64_e32 v[2:3], v[0:1]
.LBB96_3:                               ; =>This Inner Loop Header: Depth=1
	v_lshl_add_u64 v[2:3], v[2:3], 0, s[4:5]
	v_cmp_le_i64_e32 vcc, s[20:21], v[2:3]
	buffer_store_dword v1, v4, s[8:11], 0 offen
	s_or_b64 s[14:15], vcc, s[14:15]
	v_add_u32_e32 v4, s3, v4
	s_andn2_b64 exec, exec, s[14:15]
	s_cbranch_execnz .LBB96_3
.LBB96_4:
	s_or_b64 exec, exec, s[12:13]
	s_mov_b64 s[12:13], 0
.LBB96_5:
	s_andn2_b64 vcc, exec, s[12:13]
	s_cbranch_vccnz .LBB96_9
; %bb.6:
	v_cmp_gt_i32_e32 vcc, s20, v0
	s_and_saveexec_b64 s[4:5], vcc
	s_cbranch_execz .LBB96_9
; %bb.7:
	s_load_dwordx2 s[12:13], s[0:1], 0x8
	s_load_dwordx2 s[4:5], s[0:1], 0x18
	s_mul_hi_i32 s7, s20, s6
	s_mul_i32 s6, s20, s6
	s_lshl_b64 s[6:7], s[6:7], 3
	s_load_dword s14, s[0:1], 0x3c
	s_waitcnt lgkmcnt(0)
	s_add_u32 s0, s4, s6
	s_addc_u32 s1, s5, s7
	s_lshl_b64 s[6:7], s[20:21], 2
	s_add_u32 s4, s0, s6
	s_addc_u32 s3, s1, s7
	s_and_b32 s5, s3, 0xffff
	s_mul_i32 s3, s2, s21
	s_mul_hi_u32 s15, s2, s20
	s_add_i32 s3, s15, s3
	s_mul_i32 s2, s2, s20
	s_and_b32 s1, s1, 0xffff
	s_lshl_b64 s[2:3], s[2:3], 3
	s_add_u32 s12, s12, s2
	s_addc_u32 s2, s13, s3
	s_add_u32 s16, s12, s6
	s_mov_b32 s11, 0x20000
	s_addc_u32 s3, s2, s7
	s_and_b32 s22, s14, 0xffff
	s_and_b32 s13, s2, 0xffff
	;; [unrolled: 1-line block ×3, first 2 shown]
	s_mov_b32 s23, 0
	v_mov_b32_e32 v1, 0
	v_lshlrev_b32_e32 v2, 2, v0
	s_lshl_b32 s26, s22, 2
	s_mov_b64 s[24:25], 0
	s_mov_b32 s7, s11
	s_mov_b32 s6, s10
	;; [unrolled: 1-line block ×7, first 2 shown]
	v_mov_b32_e32 v3, 0x7f800000
	s_mov_b32 s18, s10
	s_mov_b32 s19, s11
	;; [unrolled: 1-line block ×4, first 2 shown]
.LBB96_8:                               ; =>This Inner Loop Header: Depth=1
	buffer_load_dword v5, v2, s[12:15], 0 offen
	buffer_load_dword v4, v2, s[16:19], 0 offen
	;; [unrolled: 1-line block ×4, first 2 shown]
	v_lshl_add_u64 v[0:1], v[0:1], 0, s[22:23]
	s_waitcnt vmcnt(0)
	v_pk_add_f32 v[4:5], v[4:5], v[6:7]
	s_nop 0
	v_mul_f32_e32 v6, 0xbfb8aa3b, v5
	v_fma_f32 v7, v5, s27, -v6
	v_rndne_f32_e32 v8, v6
	v_fmac_f32_e32 v7, 0xb2a5705f, v5
	v_sub_f32_e32 v6, v6, v8
	v_add_f32_e32 v6, v6, v7
	v_cvt_i32_f32_e32 v8, v8
	v_exp_f32_e32 v6, v6
	v_cmp_nlt_f32_e32 vcc, s28, v5
	v_ldexp_f32 v6, v6, v8
	s_nop 0
	v_cndmask_b32_e32 v6, 0, v6, vcc
	v_cmp_ngt_f32_e32 vcc, s29, v5
	s_nop 1
	v_cndmask_b32_e32 v6, v3, v6, vcc
	v_add_f32_e32 v6, 1.0, v6
	v_rcp_f32_e32 v6, v6
	v_cmp_le_i64_e32 vcc, s[20:21], v[0:1]
	s_or_b64 s[24:25], vcc, s[24:25]
	v_mul_f32_e32 v5, v5, v6
	v_mul_f32_e32 v4, v4, v5
	buffer_store_dword v4, v2, s[8:11], 0 offen
	v_add_u32_e32 v2, s26, v2
	s_andn2_b64 exec, exec, s[24:25]
	s_cbranch_execnz .LBB96_8
.LBB96_9:
	s_endpgm
	.section	.rodata,"a",@progbits
	.p2align	6, 0x0
	.amdhsa_kernel _ZN5aiter23act_and_mul_bias_kernelIffhfTnPFfRKT2_EXadL_ZNS_11silu_kernelIfEEfRKT_EELi1EEEvPT0_PS8_PKT1_PS2_il
		.amdhsa_group_segment_fixed_size 0
		.amdhsa_private_segment_fixed_size 0
		.amdhsa_kernarg_size 304
		.amdhsa_user_sgpr_count 2
		.amdhsa_user_sgpr_dispatch_ptr 0
		.amdhsa_user_sgpr_queue_ptr 0
		.amdhsa_user_sgpr_kernarg_segment_ptr 1
		.amdhsa_user_sgpr_dispatch_id 0
		.amdhsa_user_sgpr_kernarg_preload_length 0
		.amdhsa_user_sgpr_kernarg_preload_offset 0
		.amdhsa_user_sgpr_private_segment_size 0
		.amdhsa_uses_dynamic_stack 0
		.amdhsa_enable_private_segment 0
		.amdhsa_system_sgpr_workgroup_id_x 1
		.amdhsa_system_sgpr_workgroup_id_y 0
		.amdhsa_system_sgpr_workgroup_id_z 0
		.amdhsa_system_sgpr_workgroup_info 0
		.amdhsa_system_vgpr_workitem_id 0
		.amdhsa_next_free_vgpr 9
		.amdhsa_next_free_sgpr 30
		.amdhsa_accum_offset 12
		.amdhsa_reserve_vcc 1
		.amdhsa_float_round_mode_32 0
		.amdhsa_float_round_mode_16_64 0
		.amdhsa_float_denorm_mode_32 3
		.amdhsa_float_denorm_mode_16_64 3
		.amdhsa_dx10_clamp 1
		.amdhsa_ieee_mode 1
		.amdhsa_fp16_overflow 0
		.amdhsa_tg_split 0
		.amdhsa_exception_fp_ieee_invalid_op 0
		.amdhsa_exception_fp_denorm_src 0
		.amdhsa_exception_fp_ieee_div_zero 0
		.amdhsa_exception_fp_ieee_overflow 0
		.amdhsa_exception_fp_ieee_underflow 0
		.amdhsa_exception_fp_ieee_inexact 0
		.amdhsa_exception_int_div_zero 0
	.end_amdhsa_kernel
	.section	.text._ZN5aiter23act_and_mul_bias_kernelIffhfTnPFfRKT2_EXadL_ZNS_11silu_kernelIfEEfRKT_EELi1EEEvPT0_PS8_PKT1_PS2_il,"axG",@progbits,_ZN5aiter23act_and_mul_bias_kernelIffhfTnPFfRKT2_EXadL_ZNS_11silu_kernelIfEEfRKT_EELi1EEEvPT0_PS8_PKT1_PS2_il,comdat
.Lfunc_end96:
	.size	_ZN5aiter23act_and_mul_bias_kernelIffhfTnPFfRKT2_EXadL_ZNS_11silu_kernelIfEEfRKT_EELi1EEEvPT0_PS8_PKT1_PS2_il, .Lfunc_end96-_ZN5aiter23act_and_mul_bias_kernelIffhfTnPFfRKT2_EXadL_ZNS_11silu_kernelIfEEfRKT_EELi1EEEvPT0_PS8_PKT1_PS2_il
                                        ; -- End function
	.section	.AMDGPU.csdata,"",@progbits
; Kernel info:
; codeLenInByte = 668
; NumSgprs: 36
; NumVgprs: 9
; NumAgprs: 0
; TotalNumVgprs: 9
; ScratchSize: 0
; MemoryBound: 0
; FloatMode: 240
; IeeeMode: 1
; LDSByteSize: 0 bytes/workgroup (compile time only)
; SGPRBlocks: 4
; VGPRBlocks: 1
; NumSGPRsForWavesPerEU: 36
; NumVGPRsForWavesPerEU: 9
; AccumOffset: 12
; Occupancy: 8
; WaveLimiterHint : 0
; COMPUTE_PGM_RSRC2:SCRATCH_EN: 0
; COMPUTE_PGM_RSRC2:USER_SGPR: 2
; COMPUTE_PGM_RSRC2:TRAP_HANDLER: 0
; COMPUTE_PGM_RSRC2:TGID_X_EN: 1
; COMPUTE_PGM_RSRC2:TGID_Y_EN: 0
; COMPUTE_PGM_RSRC2:TGID_Z_EN: 0
; COMPUTE_PGM_RSRC2:TIDIG_COMP_CNT: 0
; COMPUTE_PGM_RSRC3_GFX90A:ACCUM_OFFSET: 2
; COMPUTE_PGM_RSRC3_GFX90A:TG_SPLIT: 0
	.section	.text._ZN5aiter23act_and_mul_bias_kernelIDF16_DF16_hfTnPFfRKT2_EXadL_ZNS_11silu_kernelIfEEfRKT_EELi32EEEvPT0_PS8_PKT1_PS2_il,"axG",@progbits,_ZN5aiter23act_and_mul_bias_kernelIDF16_DF16_hfTnPFfRKT2_EXadL_ZNS_11silu_kernelIfEEfRKT_EELi32EEEvPT0_PS8_PKT1_PS2_il,comdat
	.protected	_ZN5aiter23act_and_mul_bias_kernelIDF16_DF16_hfTnPFfRKT2_EXadL_ZNS_11silu_kernelIfEEfRKT_EELi32EEEvPT0_PS8_PKT1_PS2_il ; -- Begin function _ZN5aiter23act_and_mul_bias_kernelIDF16_DF16_hfTnPFfRKT2_EXadL_ZNS_11silu_kernelIfEEfRKT_EELi32EEEvPT0_PS8_PKT1_PS2_il
	.globl	_ZN5aiter23act_and_mul_bias_kernelIDF16_DF16_hfTnPFfRKT2_EXadL_ZNS_11silu_kernelIfEEfRKT_EELi32EEEvPT0_PS8_PKT1_PS2_il
	.p2align	8
	.type	_ZN5aiter23act_and_mul_bias_kernelIDF16_DF16_hfTnPFfRKT2_EXadL_ZNS_11silu_kernelIfEEfRKT_EELi32EEEvPT0_PS8_PKT1_PS2_il,@function
_ZN5aiter23act_and_mul_bias_kernelIDF16_DF16_hfTnPFfRKT2_EXadL_ZNS_11silu_kernelIfEEfRKT_EELi32EEEvPT0_PS8_PKT1_PS2_il: ; @_ZN5aiter23act_and_mul_bias_kernelIDF16_DF16_hfTnPFfRKT2_EXadL_ZNS_11silu_kernelIfEEfRKT_EELi32EEEvPT0_PS8_PKT1_PS2_il
; %bb.0:
	s_load_dwordx2 s[4:5], s[0:1], 0x10
	s_load_dword s6, s[0:1], 0x20
	s_load_dwordx2 s[8:9], s[0:1], 0x28
	v_mov_b32_e32 v1, s2
	s_load_dwordx2 s[14:15], s[0:1], 0x0
	s_waitcnt lgkmcnt(0)
	global_load_ubyte v1, v1, s[4:5]
	s_add_i32 s3, s6, 1
	s_ashr_i32 s7, s6, 31
	v_mov_b64_e32 v[2:3], s[8:9]
	s_lshr_b32 s8, s3, 31
	s_mul_hi_u32 s4, s6, s2
	s_mul_i32 s9, s7, s2
	s_add_i32 s3, s3, s8
	s_mul_i32 s10, s6, s2
	s_add_i32 s11, s4, s9
	s_lshl_b32 s3, s3, 1
	s_lshl_b64 s[8:9], s[10:11], 1
	s_and_b32 s10, s3, -4
	s_mov_b32 s5, 0
	s_mov_b64 s[12:13], -1
	v_lshlrev_b32_e32 v4, 5, v0
	s_waitcnt vmcnt(0)
	v_readfirstlane_b32 s3, v1
	s_and_b32 s4, s3, 0xffff
	s_add_u32 s8, s14, s8
	v_cmp_lt_i64_e32 vcc, s[4:5], v[2:3]
	s_addc_u32 s3, s15, s9
	s_and_b32 s9, s3, 0xffff
	s_cbranch_vccnz .LBB97_5
; %bb.1:
	v_cmp_gt_i32_e32 vcc, s6, v4
	s_and_saveexec_b64 s[12:13], vcc
	s_cbranch_execz .LBB97_4
; %bb.2:
	s_load_dword s3, s[0:1], 0x3c
	s_mov_b32 s15, 0
	s_mov_b32 s20, s15
	;; [unrolled: 1-line block ×3, first 2 shown]
	v_mov_b32_e32 v5, 0
	v_lshlrev_b32_e32 v8, 6, v0
	s_waitcnt lgkmcnt(0)
	s_and_b32 s3, s3, 0xffff
	s_mov_b32 s22, s15
	s_mov_b32 s23, s15
	v_mov_b64_e32 v[0:1], s[20:21]
	s_lshl_b32 s14, s3, 5
	s_lshl_b32 s3, s3, 6
	s_mov_b64 s[16:17], 0
	s_mov_b32 s11, 0x20000
	v_mov_b64_e32 v[2:3], s[22:23]
	v_mov_b64_e32 v[6:7], v[4:5]
.LBB97_3:                               ; =>This Inner Loop Header: Depth=1
	v_lshl_add_u64 v[6:7], s[14:15], 0, v[6:7]
	v_cmp_le_i64_e32 vcc, s[6:7], v[6:7]
	buffer_store_dwordx4 v[0:3], v8, s[8:11], 0 offen
	buffer_store_dwordx4 v[0:3], v8, s[8:11], 16 offen
	;; [unrolled: 1-line block ×4, first 2 shown]
	s_or_b64 s[16:17], vcc, s[16:17]
	v_add_u32_e32 v8, s3, v8
	s_andn2_b64 exec, exec, s[16:17]
	s_cbranch_execnz .LBB97_3
.LBB97_4:
	s_or_b64 exec, exec, s[12:13]
	s_mov_b64 s[12:13], 0
.LBB97_5:
	s_andn2_b64 vcc, exec, s[12:13]
	s_cbranch_vccnz .LBB97_9
; %bb.6:
	v_cmp_gt_i32_e32 vcc, s6, v4
	s_and_saveexec_b64 s[12:13], vcc
	s_cbranch_execz .LBB97_9
; %bb.7:
	s_load_dwordx2 s[12:13], s[0:1], 0x18
	s_load_dwordx2 s[18:19], s[0:1], 0x8
	s_mul_hi_i32 s5, s6, s4
	s_mul_i32 s4, s6, s4
	s_lshl_b64 s[4:5], s[4:5], 3
	s_waitcnt lgkmcnt(0)
	s_add_u32 s12, s12, s4
	s_addc_u32 s3, s13, s5
	s_lshl_b64 s[4:5], s[6:7], 2
	s_add_u32 s16, s12, s4
	s_addc_u32 s4, s3, s5
	s_and_b32 s13, s3, 0xffff
	s_and_b32 s17, s4, 0xffff
	s_mul_i32 s3, s2, s7
	s_mul_hi_u32 s4, s2, s6
	s_add_i32 s3, s4, s3
	s_mul_i32 s2, s2, s6
	s_lshl_b32 s14, s6, 2
	s_lshl_b64 s[2:3], s[2:3], 2
	s_add_u32 s20, s18, s2
	s_addc_u32 s4, s19, s3
	s_lshl_b64 s[2:3], s[6:7], 1
	s_add_u32 s24, s20, s2
	s_addc_u32 s2, s4, s3
	s_and_b32 s21, s4, 0xffff
	s_and_b32 s25, s2, 0xffff
	s_mov_b32 s11, 0x20000
	s_add_u32 s28, s0, 48
	s_mov_b32 s15, s11
	v_mov_b32_e32 v5, 0
	s_addc_u32 s29, s1, 0
	s_mov_b64 s[30:31], 0
	s_mov_b32 s22, s10
	s_mov_b32 s23, s11
	;; [unrolled: 1-line block ×3, first 2 shown]
	s_movk_i32 s33, 0x50
	s_movk_i32 s36, 0x60
	;; [unrolled: 1-line block ×3, first 2 shown]
	s_mov_b32 s38, 0xbfb8aa3b
	s_mov_b32 s39, 0x42ce8ed0
	;; [unrolled: 1-line block ×3, first 2 shown]
	v_mov_b32_e32 v76, 0x7f800000
	s_mov_b32 s26, s10
	s_mov_b32 s27, s11
.LBB97_8:                               ; =>This Inner Loop Header: Depth=1
	v_lshlrev_b32_e32 v77, 1, v4
	buffer_load_dwordx4 v[6:9], v77, s[24:27], 0 offen
	buffer_load_dwordx4 v[10:13], v77, s[20:23], 0 offen
	;; [unrolled: 1-line block ×8, first 2 shown]
	s_mov_b32 s18, s14
	s_mov_b32 s19, s15
	v_lshlrev_b32_e32 v82, 2, v4
	buffer_load_dwordx4 v[78:81], v82, s[16:19], 64 offen
	s_waitcnt vmcnt(8)
	v_cvt_f32_f16_e32 v0, v6
	v_cvt_f32_f16_sdwa v1, v6 dst_sel:DWORD dst_unused:UNUSED_PAD src0_sel:WORD_1
	v_cvt_f32_f16_e32 v2, v7
	v_cvt_f32_f16_sdwa v3, v7 dst_sel:DWORD dst_unused:UNUSED_PAD src0_sel:WORD_1
	s_waitcnt vmcnt(7)
	v_cvt_f32_f16_e32 v62, v10
	v_cvt_f32_f16_sdwa v63, v10 dst_sel:DWORD dst_unused:UNUSED_PAD src0_sel:WORD_1
	v_cvt_f32_f16_e32 v64, v11
	s_waitcnt vmcnt(1)
	v_cvt_f32_f16_e32 v42, v66
	v_cvt_f32_f16_sdwa v43, v66 dst_sel:DWORD dst_unused:UNUSED_PAD src0_sel:WORD_1
	v_cvt_f32_f16_e32 v44, v67
	v_cvt_f32_f16_sdwa v45, v67 dst_sel:DWORD dst_unused:UNUSED_PAD src0_sel:WORD_1
	;; [unrolled: 2-line block ×4, first 2 shown]
	buffer_load_dwordx4 v[66:69], v82, s[16:19], 0 offen
	v_cvt_f32_f16_sdwa v65, v11 dst_sel:DWORD dst_unused:UNUSED_PAD src0_sel:WORD_1
	v_cvt_f32_f16_e32 v6, v8
	v_cvt_f32_f16_sdwa v7, v8 dst_sel:DWORD dst_unused:UNUSED_PAD src0_sel:WORD_1
	v_cvt_f32_f16_e32 v8, v9
	;; [unrolled: 2-line block ×24, first 2 shown]
	v_cvt_f32_f16_sdwa v33, v33 dst_sel:DWORD dst_unused:UNUSED_PAD src0_sel:WORD_1
	s_waitcnt vmcnt(0)
	v_pk_add_f32 v[0:1], v[66:67], v[0:1]
	v_pk_add_f32 v[2:3], v[68:69], v[2:3]
	buffer_load_dwordx4 v[66:69], v82, s[12:15], 0 offen
	s_waitcnt vmcnt(0)
	v_pk_add_f32 v[74:75], v[66:67], v[62:63]
	v_pk_add_f32 v[72:73], v[68:69], v[64:65]
	buffer_load_dwordx4 v[62:65], v82, s[16:19], 16 offen
	v_cmp_nlt_f32_e32 vcc, s39, v75
	v_cmp_nlt_f32_e64 s[0:1], s39, v74
	v_cmp_ngt_f32_e64 s[2:3], s40, v75
	v_cmp_ngt_f32_e64 s[4:5], s40, v74
	s_waitcnt vmcnt(0)
	v_pk_add_f32 v[6:7], v[62:63], v[6:7]
	v_pk_add_f32 v[8:9], v[64:65], v[8:9]
	buffer_load_dwordx4 v[62:65], v82, s[12:15], 16 offen
	s_waitcnt vmcnt(0)
	v_pk_add_f32 v[70:71], v[62:63], v[10:11]
	v_pk_add_f32 v[68:69], v[64:65], v[56:57]
	buffer_load_dwordx4 v[62:65], v82, s[16:19], 32 offen
	;; [unrolled: 4-line block ×4, first 2 shown]
	s_waitcnt vmcnt(0)
	v_pk_add_f32 v[16:17], v[58:59], v[16:17]
	buffer_load_dwordx4 v[58:61], v82, s[12:15], 48 offen
	v_pk_add_f32 v[14:15], v[56:57], v[14:15]
	s_waitcnt vmcnt(0)
	v_pk_add_f32 v[58:59], v[58:59], v[18:19]
	v_pk_add_f32 v[62:63], v[60:61], v[46:47]
	;; [unrolled: 1-line block ×4, first 2 shown]
	buffer_load_dwordx4 v[46:49], v82, s[12:15], 64 offen
	s_waitcnt vmcnt(0)
	v_pk_add_f32 v[64:65], v[46:47], v[50:51]
	v_pk_add_f32 v[60:61], v[48:49], v[52:53]
	buffer_load_dwordx4 v[46:49], v82, s[16:19], s33 offen
	s_waitcnt vmcnt(0)
	v_pk_add_f32 v[22:23], v[46:47], v[22:23]
	v_pk_add_f32 v[24:25], v[48:49], v[24:25]
	;; [unrolled: 4-line block ×5, first 2 shown]
	buffer_load_dwordx4 v[38:41], v82, s[16:19], s37 offen
	buffer_load_dwordx4 v[44:47], v82, s[12:15], s37 offen
	s_waitcnt vmcnt(1)
	v_pk_add_f32 v[32:33], v[40:41], v[32:33]
	s_waitcnt vmcnt(0)
	v_pk_add_f32 v[40:41], v[44:45], v[36:37]
	v_mul_f32_e32 v36, 0xbfb8aa3b, v74
	v_pk_add_f32 v[30:31], v[38:39], v[30:31]
	v_fma_f32 v37, v74, s38, -v36
	v_rndne_f32_e32 v38, v36
	v_fmac_f32_e32 v37, 0xb2a5705f, v74
	v_sub_f32_e32 v36, v36, v38
	v_add_f32_e32 v36, v36, v37
	v_mul_f32_e32 v37, 0xbfb8aa3b, v75
	v_cvt_i32_f32_e32 v38, v38
	v_exp_f32_e32 v36, v36
	v_fma_f32 v39, v75, s38, -v37
	v_rndne_f32_e32 v44, v37
	v_fmac_f32_e32 v39, 0xb2a5705f, v75
	v_sub_f32_e32 v37, v37, v44
	v_add_f32_e32 v37, v37, v39
	v_ldexp_f32 v36, v36, v38
	v_cvt_i32_f32_e32 v38, v44
	v_exp_f32_e32 v37, v37
	v_pk_add_f32 v[34:35], v[46:47], v[34:35]
	v_cndmask_b32_e64 v36, 0, v36, s[0:1]
	v_cmp_nlt_f32_e64 s[0:1], s39, v72
	v_ldexp_f32 v37, v37, v38
	v_mul_f32_e32 v38, 0xbfb8aa3b, v72
	v_fma_f32 v39, v72, s38, -v38
	v_rndne_f32_e32 v44, v38
	v_fmac_f32_e32 v39, 0xb2a5705f, v72
	v_sub_f32_e32 v38, v38, v44
	v_add_f32_e32 v38, v38, v39
	v_mul_f32_e32 v39, 0xbfb8aa3b, v73
	v_cvt_i32_f32_e32 v44, v44
	v_exp_f32_e32 v38, v38
	v_fma_f32 v45, v73, s38, -v39
	v_rndne_f32_e32 v46, v39
	v_fmac_f32_e32 v45, 0xb2a5705f, v73
	v_sub_f32_e32 v39, v39, v46
	v_add_f32_e32 v39, v39, v45
	v_ldexp_f32 v38, v38, v44
	v_cvt_i32_f32_e32 v44, v46
	v_exp_f32_e32 v39, v39
	v_cndmask_b32_e32 v37, 0, v37, vcc
	v_cmp_nlt_f32_e32 vcc, s39, v73
	v_cndmask_b32_e64 v36, v76, v36, s[4:5]
	v_ldexp_f32 v39, v39, v44
	v_mul_f32_e32 v44, 0xbfb8aa3b, v70
	v_fma_f32 v45, v70, s38, -v44
	v_rndne_f32_e32 v46, v44
	v_fmac_f32_e32 v45, 0xb2a5705f, v70
	v_sub_f32_e32 v44, v44, v46
	v_add_f32_e32 v44, v44, v45
	v_mul_f32_e32 v45, 0xbfb8aa3b, v71
	v_cvt_i32_f32_e32 v46, v46
	v_exp_f32_e32 v44, v44
	v_fma_f32 v47, v71, s38, -v45
	v_rndne_f32_e32 v50, v45
	v_fmac_f32_e32 v47, 0xb2a5705f, v71
	v_sub_f32_e32 v45, v45, v50
	v_add_f32_e32 v45, v45, v47
	v_ldexp_f32 v44, v44, v46
	v_cvt_i32_f32_e32 v46, v50
	v_exp_f32_e32 v45, v45
	v_cndmask_b32_e64 v37, v76, v37, s[2:3]
	v_cmp_ngt_f32_e64 s[2:3], s40, v73
	v_cmp_ngt_f32_e64 s[4:5], s40, v72
	v_cndmask_b32_e64 v38, 0, v38, s[0:1]
	v_cndmask_b32_e32 v39, 0, v39, vcc
	v_ldexp_f32 v45, v45, v46
	v_cmp_nlt_f32_e32 vcc, s39, v71
	v_cmp_nlt_f32_e64 s[0:1], s39, v70
	v_cndmask_b32_e64 v38, v76, v38, s[4:5]
	v_cndmask_b32_e64 v39, v76, v39, s[2:3]
	v_cmp_ngt_f32_e64 s[2:3], s40, v71
	v_cmp_ngt_f32_e64 s[4:5], s40, v70
	v_cndmask_b32_e64 v44, 0, v44, s[0:1]
	v_cndmask_b32_e32 v45, 0, v45, vcc
	v_cndmask_b32_e64 v44, v76, v44, s[4:5]
	v_cndmask_b32_e64 v45, v76, v45, s[2:3]
	v_add_f32_e32 v44, 1.0, v44
	v_add_f32_e32 v45, 1.0, v45
	v_mul_f32_e32 v46, 0xbfb8aa3b, v68
	v_rcp_f32_e32 v44, v44
	v_rcp_f32_e32 v45, v45
	v_fma_f32 v47, v68, s38, -v46
	v_rndne_f32_e32 v50, v46
	v_fmac_f32_e32 v47, 0xb2a5705f, v68
	v_sub_f32_e32 v46, v46, v50
	v_add_f32_e32 v46, v46, v47
	v_mul_f32_e32 v47, 0xbfb8aa3b, v69
	v_cvt_i32_f32_e32 v50, v50
	v_exp_f32_e32 v46, v46
	v_pk_mul_f32 v[44:45], v[70:71], v[44:45]
	v_fma_f32 v51, v69, s38, -v47
	v_rndne_f32_e32 v70, v47
	v_fmac_f32_e32 v51, 0xb2a5705f, v69
	v_sub_f32_e32 v47, v47, v70
	v_add_f32_e32 v47, v47, v51
	v_ldexp_f32 v46, v46, v50
	v_cvt_i32_f32_e32 v50, v70
	v_exp_f32_e32 v47, v47
	v_cmp_nlt_f32_e32 vcc, s39, v69
	v_cmp_nlt_f32_e64 s[0:1], s39, v68
	v_cmp_ngt_f32_e64 s[2:3], s40, v69
	v_ldexp_f32 v47, v47, v50
	v_cmp_ngt_f32_e64 s[4:5], s40, v68
	v_cndmask_b32_e64 v46, 0, v46, s[0:1]
	v_cndmask_b32_e32 v47, 0, v47, vcc
	v_cndmask_b32_e64 v46, v76, v46, s[4:5]
	v_cndmask_b32_e64 v47, v76, v47, s[2:3]
	v_add_f32_e32 v46, 1.0, v46
	v_add_f32_e32 v47, 1.0, v47
	v_rcp_f32_e32 v46, v46
	v_rcp_f32_e32 v47, v47
	v_mul_f32_e32 v50, 0xbfb8aa3b, v66
	v_fma_f32 v51, v66, s38, -v50
	v_fmac_f32_e32 v51, 0xb2a5705f, v66
	v_pk_mul_f32 v[46:47], v[68:69], v[46:47]
	v_rndne_f32_e32 v68, v50
	v_sub_f32_e32 v50, v50, v68
	v_add_f32_e32 v50, v50, v51
	v_mul_f32_e32 v51, 0xbfb8aa3b, v67
	v_cvt_i32_f32_e32 v68, v68
	v_exp_f32_e32 v50, v50
	v_fma_f32 v69, v67, s38, -v51
	v_rndne_f32_e32 v70, v51
	v_fmac_f32_e32 v69, 0xb2a5705f, v67
	v_sub_f32_e32 v51, v51, v70
	v_add_f32_e32 v51, v51, v69
	v_ldexp_f32 v50, v50, v68
	v_cvt_i32_f32_e32 v68, v70
	v_exp_f32_e32 v51, v51
	v_cmp_nlt_f32_e32 vcc, s39, v67
	v_cmp_nlt_f32_e64 s[0:1], s39, v66
	v_cmp_ngt_f32_e64 s[2:3], s40, v67
	v_ldexp_f32 v51, v51, v68
	v_cmp_ngt_f32_e64 s[4:5], s40, v66
	v_cndmask_b32_e64 v50, 0, v50, s[0:1]
	v_cndmask_b32_e32 v51, 0, v51, vcc
	v_cndmask_b32_e64 v50, v76, v50, s[4:5]
	v_cndmask_b32_e64 v51, v76, v51, s[2:3]
	v_add_f32_e32 v50, 1.0, v50
	v_add_f32_e32 v51, 1.0, v51
	v_rcp_f32_e32 v50, v50
	v_rcp_f32_e32 v51, v51
	v_cmp_nlt_f32_e32 vcc, s39, v55
	v_cmp_nlt_f32_e64 s[0:1], s39, v54
	v_cmp_ngt_f32_e64 s[2:3], s40, v55
	v_pk_mul_f32 v[50:51], v[66:67], v[50:51]
	v_mul_f32_e32 v66, 0xbfb8aa3b, v54
	v_fma_f32 v67, v54, s38, -v66
	v_rndne_f32_e32 v68, v66
	v_fmac_f32_e32 v67, 0xb2a5705f, v54
	v_sub_f32_e32 v66, v66, v68
	v_add_f32_e32 v66, v66, v67
	v_mul_f32_e32 v67, 0xbfb8aa3b, v55
	v_cvt_i32_f32_e32 v68, v68
	v_exp_f32_e32 v66, v66
	v_fma_f32 v69, v55, s38, -v67
	v_rndne_f32_e32 v70, v67
	v_fmac_f32_e32 v69, 0xb2a5705f, v55
	v_sub_f32_e32 v67, v67, v70
	v_add_f32_e32 v67, v67, v69
	v_ldexp_f32 v66, v66, v68
	v_cvt_i32_f32_e32 v68, v70
	v_exp_f32_e32 v67, v67
	v_cmp_ngt_f32_e64 s[4:5], s40, v54
	v_cndmask_b32_e64 v66, 0, v66, s[0:1]
	v_cmp_nlt_f32_e64 s[0:1], s39, v58
	v_ldexp_f32 v67, v67, v68
	v_cndmask_b32_e32 v67, 0, v67, vcc
	v_cndmask_b32_e64 v66, v76, v66, s[4:5]
	v_cndmask_b32_e64 v67, v76, v67, s[2:3]
	v_add_f32_e32 v66, 1.0, v66
	v_add_f32_e32 v67, 1.0, v67
	v_rcp_f32_e32 v66, v66
	v_rcp_f32_e32 v67, v67
	v_cmp_nlt_f32_e32 vcc, s39, v59
	v_cmp_ngt_f32_e64 s[2:3], s40, v59
	v_cmp_ngt_f32_e64 s[4:5], s40, v58
	v_pk_mul_f32 v[54:55], v[54:55], v[66:67]
	v_mul_f32_e32 v66, 0xbfb8aa3b, v58
	v_fma_f32 v67, v58, s38, -v66
	v_rndne_f32_e32 v68, v66
	v_fmac_f32_e32 v67, 0xb2a5705f, v58
	v_sub_f32_e32 v66, v66, v68
	v_add_f32_e32 v66, v66, v67
	v_mul_f32_e32 v67, 0xbfb8aa3b, v59
	v_cvt_i32_f32_e32 v68, v68
	v_exp_f32_e32 v66, v66
	v_fma_f32 v69, v59, s38, -v67
	v_rndne_f32_e32 v70, v67
	v_fmac_f32_e32 v69, 0xb2a5705f, v59
	v_sub_f32_e32 v67, v67, v70
	v_add_f32_e32 v67, v67, v69
	v_ldexp_f32 v66, v66, v68
	v_cvt_i32_f32_e32 v68, v70
	v_exp_f32_e32 v67, v67
	v_cndmask_b32_e64 v66, 0, v66, s[0:1]
	v_cndmask_b32_e64 v66, v76, v66, s[4:5]
	v_add_f32_e32 v66, 1.0, v66
	v_ldexp_f32 v67, v67, v68
	v_cndmask_b32_e32 v67, 0, v67, vcc
	v_cndmask_b32_e64 v67, v76, v67, s[2:3]
	v_add_f32_e32 v67, 1.0, v67
	v_rcp_f32_e32 v66, v66
	v_rcp_f32_e32 v67, v67
	v_cmp_nlt_f32_e32 vcc, s39, v63
	v_cmp_nlt_f32_e64 s[0:1], s39, v62
	v_cmp_ngt_f32_e64 s[2:3], s40, v63
	v_pk_mul_f32 v[58:59], v[58:59], v[66:67]
	v_mul_f32_e32 v66, 0xbfb8aa3b, v62
	v_fma_f32 v67, v62, s38, -v66
	v_rndne_f32_e32 v68, v66
	v_fmac_f32_e32 v67, 0xb2a5705f, v62
	v_sub_f32_e32 v66, v66, v68
	v_add_f32_e32 v66, v66, v67
	v_mul_f32_e32 v67, 0xbfb8aa3b, v63
	v_cvt_i32_f32_e32 v68, v68
	v_exp_f32_e32 v66, v66
	v_fma_f32 v69, v63, s38, -v67
	v_rndne_f32_e32 v70, v67
	v_fmac_f32_e32 v69, 0xb2a5705f, v63
	v_sub_f32_e32 v67, v67, v70
	v_add_f32_e32 v67, v67, v69
	v_ldexp_f32 v66, v66, v68
	v_cvt_i32_f32_e32 v68, v70
	v_exp_f32_e32 v67, v67
	v_cmp_ngt_f32_e64 s[4:5], s40, v62
	v_cndmask_b32_e64 v66, 0, v66, s[0:1]
	v_cmp_nlt_f32_e64 s[0:1], s39, v64
	v_ldexp_f32 v67, v67, v68
	v_cndmask_b32_e32 v67, 0, v67, vcc
	v_cndmask_b32_e64 v66, v76, v66, s[4:5]
	v_cndmask_b32_e64 v67, v76, v67, s[2:3]
	v_add_f32_e32 v66, 1.0, v66
	v_add_f32_e32 v67, 1.0, v67
	v_rcp_f32_e32 v66, v66
	v_rcp_f32_e32 v67, v67
	v_cmp_nlt_f32_e32 vcc, s39, v65
	v_cmp_ngt_f32_e64 s[2:3], s40, v65
	v_cmp_ngt_f32_e64 s[4:5], s40, v64
	v_pk_mul_f32 v[62:63], v[62:63], v[66:67]
	v_mul_f32_e32 v66, 0xbfb8aa3b, v64
	v_fma_f32 v67, v64, s38, -v66
	v_rndne_f32_e32 v68, v66
	v_fmac_f32_e32 v67, 0xb2a5705f, v64
	v_sub_f32_e32 v66, v66, v68
	v_add_f32_e32 v66, v66, v67
	v_mul_f32_e32 v67, 0xbfb8aa3b, v65
	v_cvt_i32_f32_e32 v68, v68
	v_exp_f32_e32 v66, v66
	v_fma_f32 v69, v65, s38, -v67
	v_rndne_f32_e32 v70, v67
	v_fmac_f32_e32 v69, 0xb2a5705f, v65
	v_sub_f32_e32 v67, v67, v70
	v_add_f32_e32 v67, v67, v69
	v_ldexp_f32 v66, v66, v68
	v_cvt_i32_f32_e32 v68, v70
	v_exp_f32_e32 v67, v67
	v_cndmask_b32_e64 v66, 0, v66, s[0:1]
	v_cndmask_b32_e64 v66, v76, v66, s[4:5]
	v_add_f32_e32 v66, 1.0, v66
	v_ldexp_f32 v67, v67, v68
	v_cndmask_b32_e32 v67, 0, v67, vcc
	v_cndmask_b32_e64 v67, v76, v67, s[2:3]
	;; [unrolled: 62-line block ×5, first 2 shown]
	v_add_f32_e32 v67, 1.0, v67
	v_rcp_f32_e32 v66, v66
	v_rcp_f32_e32 v67, v67
	v_cmp_nlt_f32_e32 vcc, s39, v35
	v_cmp_nlt_f32_e64 s[0:1], s39, v34
	v_cmp_ngt_f32_e64 s[2:3], s40, v35
	v_pk_mul_f32 v[40:41], v[40:41], v[66:67]
	v_mul_f32_e32 v66, 0xbfb8aa3b, v34
	v_fma_f32 v67, v34, s38, -v66
	v_rndne_f32_e32 v68, v66
	v_fmac_f32_e32 v67, 0xb2a5705f, v34
	v_sub_f32_e32 v66, v66, v68
	v_add_f32_e32 v66, v66, v67
	v_mul_f32_e32 v67, 0xbfb8aa3b, v35
	v_cvt_i32_f32_e32 v68, v68
	v_exp_f32_e32 v66, v66
	v_fma_f32 v69, v35, s38, -v67
	v_rndne_f32_e32 v70, v67
	v_fmac_f32_e32 v69, 0xb2a5705f, v35
	v_sub_f32_e32 v67, v67, v70
	v_add_f32_e32 v67, v67, v69
	v_ldexp_f32 v66, v66, v68
	v_cvt_i32_f32_e32 v68, v70
	v_exp_f32_e32 v67, v67
	v_cmp_ngt_f32_e64 s[4:5], s40, v34
	v_cndmask_b32_e64 v66, 0, v66, s[0:1]
	v_add_f32_e32 v36, 1.0, v36
	v_ldexp_f32 v67, v67, v68
	v_cndmask_b32_e32 v67, 0, v67, vcc
	v_cndmask_b32_e64 v66, v76, v66, s[4:5]
	v_cndmask_b32_e64 v67, v76, v67, s[2:3]
	v_add_f32_e32 v37, 1.0, v37
	v_add_f32_e32 v38, 1.0, v38
	;; [unrolled: 1-line block ×5, first 2 shown]
	v_rcp_f32_e32 v36, v36
	v_rcp_f32_e32 v37, v37
	;; [unrolled: 1-line block ×6, first 2 shown]
	v_pk_mul_f32 v[36:37], v[74:75], v[36:37]
	v_pk_mul_f32 v[38:39], v[72:73], v[38:39]
	;;#ASMSTART
	v_pk_mul_f32 v[0:1], v[36:37], v[0:1]
	;;#ASMEND
	v_pk_mul_f32 v[34:35], v[34:35], v[66:67]
	;;#ASMSTART
	v_pk_mul_f32 v[2:3], v[38:39], v[2:3]
	;;#ASMEND
	;;#ASMSTART
	v_pk_mul_f32 v[6:7], v[44:45], v[6:7]
	;;#ASMEND
	;; [unrolled: 3-line block ×14, first 2 shown]
	s_nop 0
	;;#ASMSTART
	v_pk_mul_f32 v[32:33], v[34:35], v[32:33]
	;;#ASMEND
	s_load_dword s0, s[28:29], 0xc
	v_cvt_f16_f32_e32 v0, v0
	v_cvt_f16_f32_e32 v34, v1
	;; [unrolled: 1-line block ×32, first 2 shown]
	s_waitcnt lgkmcnt(0)
	s_and_b32 s0, s0, 0xffff
	s_lshl_b32 s34, s0, 5
	v_lshl_add_u64 v[4:5], s[34:35], 0, v[4:5]
	v_cmp_le_i64_e32 vcc, s[6:7], v[4:5]
	v_pack_b32_f16 v1, v1, v2
	v_pack_b32_f16 v3, v3, v8
	;; [unrolled: 1-line block ×13, first 2 shown]
	s_or_b64 s[30:31], vcc, s[30:31]
	v_pack_b32_f16 v11, v19, v20
	v_pack_b32_f16 v13, v23, v24
	;; [unrolled: 1-line block ×3, first 2 shown]
	buffer_store_dwordx4 v[0:3], v77, s[8:11], 0 offen
	buffer_store_dwordx4 v[6:9], v77, s[8:11], 16 offen
	buffer_store_dwordx4 v[10:13], v77, s[8:11], 32 offen
	buffer_store_dwordx4 v[14:17], v77, s[8:11], 48 offen
	s_andn2_b64 exec, exec, s[30:31]
	s_cbranch_execnz .LBB97_8
.LBB97_9:
	s_endpgm
	.section	.rodata,"a",@progbits
	.p2align	6, 0x0
	.amdhsa_kernel _ZN5aiter23act_and_mul_bias_kernelIDF16_DF16_hfTnPFfRKT2_EXadL_ZNS_11silu_kernelIfEEfRKT_EELi32EEEvPT0_PS8_PKT1_PS2_il
		.amdhsa_group_segment_fixed_size 0
		.amdhsa_private_segment_fixed_size 0
		.amdhsa_kernarg_size 304
		.amdhsa_user_sgpr_count 2
		.amdhsa_user_sgpr_dispatch_ptr 0
		.amdhsa_user_sgpr_queue_ptr 0
		.amdhsa_user_sgpr_kernarg_segment_ptr 1
		.amdhsa_user_sgpr_dispatch_id 0
		.amdhsa_user_sgpr_kernarg_preload_length 0
		.amdhsa_user_sgpr_kernarg_preload_offset 0
		.amdhsa_user_sgpr_private_segment_size 0
		.amdhsa_uses_dynamic_stack 0
		.amdhsa_enable_private_segment 0
		.amdhsa_system_sgpr_workgroup_id_x 1
		.amdhsa_system_sgpr_workgroup_id_y 0
		.amdhsa_system_sgpr_workgroup_id_z 0
		.amdhsa_system_sgpr_workgroup_info 0
		.amdhsa_system_vgpr_workitem_id 0
		.amdhsa_next_free_vgpr 83
		.amdhsa_next_free_sgpr 41
		.amdhsa_accum_offset 84
		.amdhsa_reserve_vcc 1
		.amdhsa_float_round_mode_32 0
		.amdhsa_float_round_mode_16_64 0
		.amdhsa_float_denorm_mode_32 3
		.amdhsa_float_denorm_mode_16_64 3
		.amdhsa_dx10_clamp 1
		.amdhsa_ieee_mode 1
		.amdhsa_fp16_overflow 0
		.amdhsa_tg_split 0
		.amdhsa_exception_fp_ieee_invalid_op 0
		.amdhsa_exception_fp_denorm_src 0
		.amdhsa_exception_fp_ieee_div_zero 0
		.amdhsa_exception_fp_ieee_overflow 0
		.amdhsa_exception_fp_ieee_underflow 0
		.amdhsa_exception_fp_ieee_inexact 0
		.amdhsa_exception_int_div_zero 0
	.end_amdhsa_kernel
	.section	.text._ZN5aiter23act_and_mul_bias_kernelIDF16_DF16_hfTnPFfRKT2_EXadL_ZNS_11silu_kernelIfEEfRKT_EELi32EEEvPT0_PS8_PKT1_PS2_il,"axG",@progbits,_ZN5aiter23act_and_mul_bias_kernelIDF16_DF16_hfTnPFfRKT2_EXadL_ZNS_11silu_kernelIfEEfRKT_EELi32EEEvPT0_PS8_PKT1_PS2_il,comdat
.Lfunc_end97:
	.size	_ZN5aiter23act_and_mul_bias_kernelIDF16_DF16_hfTnPFfRKT2_EXadL_ZNS_11silu_kernelIfEEfRKT_EELi32EEEvPT0_PS8_PKT1_PS2_il, .Lfunc_end97-_ZN5aiter23act_and_mul_bias_kernelIDF16_DF16_hfTnPFfRKT2_EXadL_ZNS_11silu_kernelIfEEfRKT_EELi32EEEvPT0_PS8_PKT1_PS2_il
                                        ; -- End function
	.section	.AMDGPU.csdata,"",@progbits
; Kernel info:
; codeLenInByte = 4884
; NumSgprs: 47
; NumVgprs: 83
; NumAgprs: 0
; TotalNumVgprs: 83
; ScratchSize: 0
; MemoryBound: 0
; FloatMode: 240
; IeeeMode: 1
; LDSByteSize: 0 bytes/workgroup (compile time only)
; SGPRBlocks: 5
; VGPRBlocks: 10
; NumSGPRsForWavesPerEU: 47
; NumVGPRsForWavesPerEU: 83
; AccumOffset: 84
; Occupancy: 5
; WaveLimiterHint : 0
; COMPUTE_PGM_RSRC2:SCRATCH_EN: 0
; COMPUTE_PGM_RSRC2:USER_SGPR: 2
; COMPUTE_PGM_RSRC2:TRAP_HANDLER: 0
; COMPUTE_PGM_RSRC2:TGID_X_EN: 1
; COMPUTE_PGM_RSRC2:TGID_Y_EN: 0
; COMPUTE_PGM_RSRC2:TGID_Z_EN: 0
; COMPUTE_PGM_RSRC2:TIDIG_COMP_CNT: 0
; COMPUTE_PGM_RSRC3_GFX90A:ACCUM_OFFSET: 20
; COMPUTE_PGM_RSRC3_GFX90A:TG_SPLIT: 0
	.section	.text._ZN5aiter23act_and_mul_bias_kernelIDF16_DF16_hfTnPFfRKT2_EXadL_ZNS_11silu_kernelIfEEfRKT_EELi16EEEvPT0_PS8_PKT1_PS2_il,"axG",@progbits,_ZN5aiter23act_and_mul_bias_kernelIDF16_DF16_hfTnPFfRKT2_EXadL_ZNS_11silu_kernelIfEEfRKT_EELi16EEEvPT0_PS8_PKT1_PS2_il,comdat
	.protected	_ZN5aiter23act_and_mul_bias_kernelIDF16_DF16_hfTnPFfRKT2_EXadL_ZNS_11silu_kernelIfEEfRKT_EELi16EEEvPT0_PS8_PKT1_PS2_il ; -- Begin function _ZN5aiter23act_and_mul_bias_kernelIDF16_DF16_hfTnPFfRKT2_EXadL_ZNS_11silu_kernelIfEEfRKT_EELi16EEEvPT0_PS8_PKT1_PS2_il
	.globl	_ZN5aiter23act_and_mul_bias_kernelIDF16_DF16_hfTnPFfRKT2_EXadL_ZNS_11silu_kernelIfEEfRKT_EELi16EEEvPT0_PS8_PKT1_PS2_il
	.p2align	8
	.type	_ZN5aiter23act_and_mul_bias_kernelIDF16_DF16_hfTnPFfRKT2_EXadL_ZNS_11silu_kernelIfEEfRKT_EELi16EEEvPT0_PS8_PKT1_PS2_il,@function
_ZN5aiter23act_and_mul_bias_kernelIDF16_DF16_hfTnPFfRKT2_EXadL_ZNS_11silu_kernelIfEEfRKT_EELi16EEEvPT0_PS8_PKT1_PS2_il: ; @_ZN5aiter23act_and_mul_bias_kernelIDF16_DF16_hfTnPFfRKT2_EXadL_ZNS_11silu_kernelIfEEfRKT_EELi16EEEvPT0_PS8_PKT1_PS2_il
; %bb.0:
	s_load_dwordx2 s[4:5], s[0:1], 0x10
	s_load_dword s24, s[0:1], 0x20
	s_load_dwordx2 s[6:7], s[0:1], 0x28
	v_mov_b32_e32 v1, s2
	s_mov_b32 s9, 0
	s_waitcnt lgkmcnt(0)
	global_load_ubyte v1, v1, s[4:5]
	s_add_i32 s3, s24, 1
	s_load_dwordx2 s[4:5], s[0:1], 0x0
	v_mov_b64_e32 v[2:3], s[6:7]
	s_lshr_b32 s6, s3, 31
	s_ashr_i32 s25, s24, 31
	s_add_i32 s3, s3, s6
	s_mul_hi_u32 s8, s24, s2
	s_mul_i32 s7, s25, s2
	s_lshl_b32 s3, s3, 1
	s_mul_i32 s12, s24, s2
	s_add_i32 s13, s8, s7
	s_and_b32 s6, s3, -4
	s_lshl_b64 s[12:13], s[12:13], 1
	s_mov_b64 s[10:11], -1
	v_lshlrev_b32_e32 v44, 4, v0
	s_waitcnt vmcnt(0)
	v_readfirstlane_b32 s3, v1
	s_and_b32 s8, s3, 0xffff
	s_waitcnt lgkmcnt(0)
	s_add_u32 s4, s4, s12
	v_cmp_lt_i64_e32 vcc, s[8:9], v[2:3]
	s_addc_u32 s3, s5, s13
	s_and_b32 s5, s3, 0xffff
	s_cbranch_vccnz .LBB98_5
; %bb.1:
	v_cmp_gt_i32_e32 vcc, s24, v44
	s_and_saveexec_b64 s[10:11], vcc
	s_cbranch_execz .LBB98_4
; %bb.2:
	s_load_dword s3, s[0:1], 0x3c
	s_mov_b32 s13, 0
	s_mov_b32 s16, s13
	;; [unrolled: 1-line block ×3, first 2 shown]
	v_mov_b32_e32 v45, 0
	v_lshlrev_b32_e32 v6, 5, v0
	s_waitcnt lgkmcnt(0)
	s_and_b32 s3, s3, 0xffff
	s_mov_b32 s18, s13
	s_mov_b32 s19, s13
	v_mov_b64_e32 v[0:1], s[16:17]
	s_lshl_b32 s12, s3, 4
	s_lshl_b32 s3, s3, 5
	s_mov_b64 s[14:15], 0
	s_mov_b32 s7, 0x20000
	v_mov_b64_e32 v[2:3], s[18:19]
	v_mov_b64_e32 v[4:5], v[44:45]
.LBB98_3:                               ; =>This Inner Loop Header: Depth=1
	v_lshl_add_u64 v[4:5], s[12:13], 0, v[4:5]
	v_cmp_le_i64_e32 vcc, s[24:25], v[4:5]
	buffer_store_dwordx4 v[0:3], v6, s[4:7], 0 offen
	buffer_store_dwordx4 v[0:3], v6, s[4:7], 16 offen
	s_or_b64 s[14:15], vcc, s[14:15]
	v_add_u32_e32 v6, s3, v6
	s_andn2_b64 exec, exec, s[14:15]
	s_cbranch_execnz .LBB98_3
.LBB98_4:
	s_or_b64 exec, exec, s[10:11]
	s_mov_b64 s[10:11], 0
.LBB98_5:
	s_andn2_b64 vcc, exec, s[10:11]
	s_cbranch_vccnz .LBB98_9
; %bb.6:
	v_cmp_gt_i32_e32 vcc, s24, v44
	s_and_saveexec_b64 s[10:11], vcc
	s_cbranch_execz .LBB98_9
; %bb.7:
	s_load_dwordx2 s[10:11], s[0:1], 0x18
	s_load_dwordx2 s[14:15], s[0:1], 0x8
	s_mul_hi_i32 s9, s24, s8
	s_mul_i32 s8, s24, s8
	s_lshl_b64 s[8:9], s[8:9], 3
	s_waitcnt lgkmcnt(0)
	s_add_u32 s8, s10, s8
	s_addc_u32 s3, s11, s9
	s_lshl_b64 s[10:11], s[24:25], 2
	s_add_u32 s12, s8, s10
	s_addc_u32 s13, s3, s11
	s_and_b32 s9, s3, 0xffff
	s_mul_i32 s3, s2, s25
	s_mul_hi_u32 s16, s2, s24
	s_add_i32 s3, s16, s3
	s_mul_i32 s2, s2, s24
	s_lshl_b32 s10, s24, 2
	s_and_b32 s13, s13, 0xffff
	s_lshl_b64 s[2:3], s[2:3], 2
	s_add_u32 s16, s14, s2
	s_addc_u32 s14, s15, s3
	s_lshl_b64 s[2:3], s[24:25], 1
	s_add_u32 s20, s16, s2
	s_addc_u32 s2, s14, s3
	s_and_b32 s17, s14, 0xffff
	s_and_b32 s21, s2, 0xffff
	s_mov_b32 s7, 0x20000
	s_add_u32 s0, s0, 48
	s_mov_b32 s11, s7
	v_mov_b32_e32 v45, 0
	s_addc_u32 s1, s1, 0
	s_mov_b64 s[2:3], 0
	s_mov_b32 s18, s6
	s_mov_b32 s19, s7
	;; [unrolled: 1-line block ×6, first 2 shown]
	v_mov_b32_e32 v46, 0x7f800000
	s_mov_b32 s22, s6
	s_mov_b32 s23, s7
.LBB98_8:                               ; =>This Inner Loop Header: Depth=1
	v_lshlrev_b32_e32 v47, 1, v44
	buffer_load_dwordx4 v[24:27], v47, s[16:19], 0 offen
	buffer_load_dwordx4 v[4:7], v47, s[16:19], 16 offen
	;; [unrolled: 1-line block ×4, first 2 shown]
	v_lshlrev_b32_e32 v52, 2, v44
	s_mov_b32 s14, s10
	s_mov_b32 s15, s11
	buffer_load_dwordx4 v[40:43], v52, s[8:11], 0 offen
	buffer_load_dwordx4 v[28:31], v52, s[8:11], 16 offen
	;; [unrolled: 1-line block ×8, first 2 shown]
	s_waitcnt vmcnt(9)
	v_cvt_f32_f16_e32 v52, v32
	v_cvt_f32_f16_sdwa v53, v32 dst_sel:DWORD dst_unused:UNUSED_PAD src0_sel:WORD_1
	s_waitcnt vmcnt(3)
	v_pk_add_f32 v[48:49], v[48:49], v[52:53]
	v_cvt_f32_f16_e32 v52, v24
	v_cvt_f32_f16_sdwa v53, v24 dst_sel:DWORD dst_unused:UNUSED_PAD src0_sel:WORD_1
	v_pk_add_f32 v[40:41], v[40:41], v[52:53]
	s_nop 0
	v_mul_f32_e32 v24, 0xbfb8aa3b, v40
	v_fma_f32 v32, v40, s28, -v24
	v_rndne_f32_e32 v52, v24
	v_fmac_f32_e32 v32, 0xb2a5705f, v40
	v_sub_f32_e32 v24, v24, v52
	v_add_f32_e32 v24, v24, v32
	v_exp_f32_e32 v24, v24
	v_cvt_i32_f32_e32 v32, v52
	v_cmp_nlt_f32_e32 vcc, s29, v40
	v_ldexp_f32 v24, v24, v32
	s_nop 0
	v_cndmask_b32_e32 v24, 0, v24, vcc
	v_cmp_ngt_f32_e32 vcc, s30, v40
	s_nop 1
	v_cndmask_b32_e32 v24, v46, v24, vcc
	v_add_f32_e32 v24, 1.0, v24
	v_rcp_f32_e32 v52, v24
	v_mul_f32_e32 v24, 0xbfb8aa3b, v41
	v_fma_f32 v32, v41, s28, -v24
	v_rndne_f32_e32 v53, v24
	v_fmac_f32_e32 v32, 0xb2a5705f, v41
	v_sub_f32_e32 v24, v24, v53
	v_add_f32_e32 v24, v24, v32
	v_exp_f32_e32 v24, v24
	v_cvt_i32_f32_e32 v32, v53
	v_cmp_nlt_f32_e32 vcc, s29, v41
	v_ldexp_f32 v24, v24, v32
	s_nop 0
	v_cndmask_b32_e32 v24, 0, v24, vcc
	v_cmp_ngt_f32_e32 vcc, s30, v41
	s_nop 1
	v_cndmask_b32_e32 v24, v46, v24, vcc
	v_add_f32_e32 v24, 1.0, v24
	v_rcp_f32_e32 v53, v24
	s_nop 0
	v_pk_mul_f32 v[40:41], v[40:41], v[52:53]
	s_nop 0
	;;#ASMSTART
	v_pk_mul_f32 v[40:41], v[40:41], v[48:49]
	;;#ASMEND
	v_cvt_f32_f16_e32 v48, v25
	v_cvt_f32_f16_sdwa v49, v25 dst_sel:DWORD dst_unused:UNUSED_PAD src0_sel:WORD_1
	v_cvt_f16_f32_e32 v24, v40
	v_cvt_f16_f32_e32 v32, v41
	v_cvt_f32_f16_e32 v40, v33
	v_pk_add_f32 v[42:43], v[42:43], v[48:49]
	v_cvt_f32_f16_sdwa v41, v33 dst_sel:DWORD dst_unused:UNUSED_PAD src0_sel:WORD_1
	v_mul_f32_e32 v25, 0xbfb8aa3b, v42
	v_fma_f32 v33, v42, s28, -v25
	v_rndne_f32_e32 v48, v25
	v_fmac_f32_e32 v33, 0xb2a5705f, v42
	v_sub_f32_e32 v25, v25, v48
	v_add_f32_e32 v25, v25, v33
	v_exp_f32_e32 v25, v25
	v_cvt_i32_f32_e32 v33, v48
	v_cmp_nlt_f32_e32 vcc, s29, v42
	v_pk_add_f32 v[40:41], v[50:51], v[40:41]
	v_ldexp_f32 v25, v25, v33
	v_cndmask_b32_e32 v25, 0, v25, vcc
	v_cmp_ngt_f32_e32 vcc, s30, v42
	s_nop 1
	v_cndmask_b32_e32 v25, v46, v25, vcc
	v_add_f32_e32 v25, 1.0, v25
	v_rcp_f32_e32 v48, v25
	v_mul_f32_e32 v25, 0xbfb8aa3b, v43
	v_fma_f32 v33, v43, s28, -v25
	v_rndne_f32_e32 v49, v25
	v_fmac_f32_e32 v33, 0xb2a5705f, v43
	v_sub_f32_e32 v25, v25, v49
	v_add_f32_e32 v25, v25, v33
	v_exp_f32_e32 v25, v25
	v_cvt_i32_f32_e32 v33, v49
	v_cmp_nlt_f32_e32 vcc, s29, v43
	v_ldexp_f32 v25, v25, v33
	s_nop 0
	v_cndmask_b32_e32 v25, 0, v25, vcc
	v_cmp_ngt_f32_e32 vcc, s30, v43
	s_nop 1
	v_cndmask_b32_e32 v25, v46, v25, vcc
	v_add_f32_e32 v25, 1.0, v25
	v_rcp_f32_e32 v49, v25
	s_nop 0
	v_pk_mul_f32 v[42:43], v[42:43], v[48:49]
	s_nop 0
	;;#ASMSTART
	v_pk_mul_f32 v[40:41], v[42:43], v[40:41]
	;;#ASMEND
	s_nop 0
	v_cvt_f16_f32_e32 v25, v40
	v_cvt_f16_f32_e32 v33, v41
	v_cvt_f32_f16_e32 v40, v34
	v_cvt_f32_f16_sdwa v41, v34 dst_sel:DWORD dst_unused:UNUSED_PAD src0_sel:WORD_1
	s_waitcnt vmcnt(2)
	v_pk_add_f32 v[36:37], v[36:37], v[40:41]
	v_cvt_f32_f16_e32 v40, v26
	v_cvt_f32_f16_sdwa v41, v26 dst_sel:DWORD dst_unused:UNUSED_PAD src0_sel:WORD_1
	v_pk_add_f32 v[28:29], v[28:29], v[40:41]
	s_nop 0
	v_mul_f32_e32 v26, 0xbfb8aa3b, v28
	v_fma_f32 v34, v28, s28, -v26
	v_rndne_f32_e32 v40, v26
	v_fmac_f32_e32 v34, 0xb2a5705f, v28
	v_sub_f32_e32 v26, v26, v40
	v_add_f32_e32 v26, v26, v34
	v_exp_f32_e32 v26, v26
	v_cvt_i32_f32_e32 v34, v40
	v_cmp_nlt_f32_e32 vcc, s29, v28
	v_ldexp_f32 v26, v26, v34
	s_nop 0
	v_cndmask_b32_e32 v26, 0, v26, vcc
	v_cmp_ngt_f32_e32 vcc, s30, v28
	s_nop 1
	v_cndmask_b32_e32 v26, v46, v26, vcc
	v_add_f32_e32 v26, 1.0, v26
	v_rcp_f32_e32 v40, v26
	v_mul_f32_e32 v26, 0xbfb8aa3b, v29
	v_fma_f32 v34, v29, s28, -v26
	v_rndne_f32_e32 v41, v26
	v_fmac_f32_e32 v34, 0xb2a5705f, v29
	v_sub_f32_e32 v26, v26, v41
	v_add_f32_e32 v26, v26, v34
	v_exp_f32_e32 v26, v26
	v_cvt_i32_f32_e32 v34, v41
	v_cmp_nlt_f32_e32 vcc, s29, v29
	v_ldexp_f32 v26, v26, v34
	s_nop 0
	v_cndmask_b32_e32 v26, 0, v26, vcc
	v_cmp_ngt_f32_e32 vcc, s30, v29
	v_cvt_f32_f16_e32 v34, v35
	v_cvt_f32_f16_sdwa v35, v35 dst_sel:DWORD dst_unused:UNUSED_PAD src0_sel:WORD_1
	v_cndmask_b32_e32 v26, v46, v26, vcc
	v_add_f32_e32 v26, 1.0, v26
	v_rcp_f32_e32 v41, v26
	v_pk_add_f32 v[34:35], v[38:39], v[34:35]
	v_pk_mul_f32 v[28:29], v[28:29], v[40:41]
	s_nop 0
	;;#ASMSTART
	v_pk_mul_f32 v[28:29], v[28:29], v[36:37]
	;;#ASMEND
	v_cvt_f32_f16_e32 v36, v27
	v_cvt_f32_f16_sdwa v37, v27 dst_sel:DWORD dst_unused:UNUSED_PAD src0_sel:WORD_1
	v_cvt_f16_f32_e32 v26, v28
	v_cvt_f16_f32_e32 v28, v29
	v_pk_add_f32 v[30:31], v[30:31], v[36:37]
	s_nop 0
	v_mul_f32_e32 v27, 0xbfb8aa3b, v30
	v_fma_f32 v29, v30, s28, -v27
	v_rndne_f32_e32 v36, v27
	v_fmac_f32_e32 v29, 0xb2a5705f, v30
	v_sub_f32_e32 v27, v27, v36
	v_add_f32_e32 v27, v27, v29
	v_exp_f32_e32 v27, v27
	v_cvt_i32_f32_e32 v29, v36
	v_cmp_nlt_f32_e32 vcc, s29, v30
	v_ldexp_f32 v27, v27, v29
	s_nop 0
	v_cndmask_b32_e32 v27, 0, v27, vcc
	v_cmp_ngt_f32_e32 vcc, s30, v30
	s_nop 1
	v_cndmask_b32_e32 v27, v46, v27, vcc
	v_add_f32_e32 v27, 1.0, v27
	v_rcp_f32_e32 v36, v27
	v_mul_f32_e32 v27, 0xbfb8aa3b, v31
	v_fma_f32 v29, v31, s28, -v27
	v_rndne_f32_e32 v37, v27
	v_fmac_f32_e32 v29, 0xb2a5705f, v31
	v_sub_f32_e32 v27, v27, v37
	v_add_f32_e32 v27, v27, v29
	v_exp_f32_e32 v27, v27
	v_cvt_i32_f32_e32 v29, v37
	v_cmp_nlt_f32_e32 vcc, s29, v31
	v_ldexp_f32 v27, v27, v29
	s_nop 0
	v_cndmask_b32_e32 v27, 0, v27, vcc
	v_cmp_ngt_f32_e32 vcc, s30, v31
	s_nop 1
	v_cndmask_b32_e32 v27, v46, v27, vcc
	v_add_f32_e32 v27, 1.0, v27
	v_rcp_f32_e32 v37, v27
	s_nop 0
	v_pk_mul_f32 v[30:31], v[30:31], v[36:37]
	s_nop 0
	;;#ASMSTART
	v_pk_mul_f32 v[30:31], v[30:31], v[34:35]
	;;#ASMEND
	s_nop 0
	v_cvt_f16_f32_e32 v27, v30
	v_cvt_f16_f32_e32 v29, v31
	v_cvt_f32_f16_e32 v30, v8
	v_cvt_f32_f16_sdwa v31, v8 dst_sel:DWORD dst_unused:UNUSED_PAD src0_sel:WORD_1
	s_waitcnt vmcnt(1)
	v_pk_add_f32 v[20:21], v[20:21], v[30:31]
	v_cvt_f32_f16_e32 v30, v4
	v_cvt_f32_f16_sdwa v31, v4 dst_sel:DWORD dst_unused:UNUSED_PAD src0_sel:WORD_1
	v_pk_add_f32 v[16:17], v[16:17], v[30:31]
	s_nop 0
	v_mul_f32_e32 v4, 0xbfb8aa3b, v16
	v_fma_f32 v8, v16, s28, -v4
	v_rndne_f32_e32 v30, v4
	v_fmac_f32_e32 v8, 0xb2a5705f, v16
	v_sub_f32_e32 v4, v4, v30
	v_add_f32_e32 v4, v4, v8
	v_exp_f32_e32 v4, v4
	v_cvt_i32_f32_e32 v8, v30
	v_cmp_nlt_f32_e32 vcc, s29, v16
	v_ldexp_f32 v4, v4, v8
	s_nop 0
	v_cndmask_b32_e32 v4, 0, v4, vcc
	v_cmp_ngt_f32_e32 vcc, s30, v16
	s_nop 1
	v_cndmask_b32_e32 v4, v46, v4, vcc
	v_add_f32_e32 v4, 1.0, v4
	v_rcp_f32_e32 v30, v4
	v_mul_f32_e32 v4, 0xbfb8aa3b, v17
	v_fma_f32 v8, v17, s28, -v4
	v_rndne_f32_e32 v31, v4
	v_fmac_f32_e32 v8, 0xb2a5705f, v17
	v_sub_f32_e32 v4, v4, v31
	v_add_f32_e32 v4, v4, v8
	v_exp_f32_e32 v4, v4
	v_cvt_i32_f32_e32 v8, v31
	v_cmp_nlt_f32_e32 vcc, s29, v17
	v_ldexp_f32 v4, v4, v8
	s_nop 0
	v_cndmask_b32_e32 v4, 0, v4, vcc
	v_cmp_ngt_f32_e32 vcc, s30, v17
	s_nop 1
	v_cndmask_b32_e32 v4, v46, v4, vcc
	v_add_f32_e32 v4, 1.0, v4
	v_rcp_f32_e32 v31, v4
	v_cvt_f32_f16_e32 v4, v5
	v_cvt_f32_f16_sdwa v5, v5 dst_sel:DWORD dst_unused:UNUSED_PAD src0_sel:WORD_1
	v_pk_mul_f32 v[16:17], v[16:17], v[30:31]
	s_nop 0
	;;#ASMSTART
	v_pk_mul_f32 v[16:17], v[16:17], v[20:21]
	;;#ASMEND
	v_pk_add_f32 v[4:5], v[18:19], v[4:5]
	v_cvt_f32_f16_e32 v20, v9
	v_cvt_f32_f16_sdwa v21, v9 dst_sel:DWORD dst_unused:UNUSED_PAD src0_sel:WORD_1
	v_mul_f32_e32 v9, 0xbfb8aa3b, v4
	v_cvt_f16_f32_e32 v8, v16
	v_cvt_f16_f32_e32 v16, v17
	v_fma_f32 v17, v4, s28, -v9
	v_rndne_f32_e32 v18, v9
	v_fmac_f32_e32 v17, 0xb2a5705f, v4
	v_sub_f32_e32 v9, v9, v18
	v_add_f32_e32 v9, v9, v17
	v_exp_f32_e32 v9, v9
	v_cvt_i32_f32_e32 v17, v18
	v_cmp_nlt_f32_e32 vcc, s29, v4
	v_pk_add_f32 v[20:21], v[22:23], v[20:21]
	v_ldexp_f32 v9, v9, v17
	v_cndmask_b32_e32 v9, 0, v9, vcc
	v_cmp_ngt_f32_e32 vcc, s30, v4
	s_nop 1
	v_cndmask_b32_e32 v9, v46, v9, vcc
	v_add_f32_e32 v9, 1.0, v9
	v_rcp_f32_e32 v18, v9
	v_mul_f32_e32 v9, 0xbfb8aa3b, v5
	v_fma_f32 v17, v5, s28, -v9
	v_rndne_f32_e32 v19, v9
	v_fmac_f32_e32 v17, 0xb2a5705f, v5
	v_sub_f32_e32 v9, v9, v19
	v_add_f32_e32 v9, v9, v17
	v_exp_f32_e32 v9, v9
	v_cvt_i32_f32_e32 v17, v19
	v_cmp_nlt_f32_e32 vcc, s29, v5
	v_ldexp_f32 v9, v9, v17
	s_nop 0
	v_cndmask_b32_e32 v9, 0, v9, vcc
	v_cmp_ngt_f32_e32 vcc, s30, v5
	s_nop 1
	v_cndmask_b32_e32 v9, v46, v9, vcc
	v_add_f32_e32 v9, 1.0, v9
	v_rcp_f32_e32 v19, v9
	s_nop 0
	v_pk_mul_f32 v[4:5], v[4:5], v[18:19]
	s_nop 0
	;;#ASMSTART
	v_pk_mul_f32 v[4:5], v[4:5], v[20:21]
	;;#ASMEND
	s_nop 0
	v_cvt_f16_f32_e32 v9, v4
	v_cvt_f16_f32_e32 v17, v5
	v_cvt_f32_f16_e32 v4, v10
	v_cvt_f32_f16_sdwa v5, v10 dst_sel:DWORD dst_unused:UNUSED_PAD src0_sel:WORD_1
	s_waitcnt vmcnt(0)
	v_pk_add_f32 v[4:5], v[12:13], v[4:5]
	v_cvt_f32_f16_e32 v12, v6
	v_cvt_f32_f16_sdwa v13, v6 dst_sel:DWORD dst_unused:UNUSED_PAD src0_sel:WORD_1
	v_pk_add_f32 v[0:1], v[0:1], v[12:13]
	s_nop 0
	v_mul_f32_e32 v6, 0xbfb8aa3b, v0
	v_fma_f32 v10, v0, s28, -v6
	v_rndne_f32_e32 v12, v6
	v_fmac_f32_e32 v10, 0xb2a5705f, v0
	v_sub_f32_e32 v6, v6, v12
	v_add_f32_e32 v6, v6, v10
	v_exp_f32_e32 v6, v6
	v_cvt_i32_f32_e32 v10, v12
	v_cmp_nlt_f32_e32 vcc, s29, v0
	v_ldexp_f32 v6, v6, v10
	s_nop 0
	v_cndmask_b32_e32 v6, 0, v6, vcc
	v_cmp_ngt_f32_e32 vcc, s30, v0
	s_nop 1
	v_cndmask_b32_e32 v6, v46, v6, vcc
	v_add_f32_e32 v6, 1.0, v6
	v_rcp_f32_e32 v12, v6
	v_mul_f32_e32 v6, 0xbfb8aa3b, v1
	v_fma_f32 v10, v1, s28, -v6
	v_rndne_f32_e32 v13, v6
	v_fmac_f32_e32 v10, 0xb2a5705f, v1
	v_sub_f32_e32 v6, v6, v13
	v_add_f32_e32 v6, v6, v10
	v_exp_f32_e32 v6, v6
	v_cvt_i32_f32_e32 v10, v13
	v_cmp_nlt_f32_e32 vcc, s29, v1
	v_ldexp_f32 v6, v6, v10
	s_nop 0
	v_cndmask_b32_e32 v6, 0, v6, vcc
	v_cmp_ngt_f32_e32 vcc, s30, v1
	s_nop 1
	v_cndmask_b32_e32 v6, v46, v6, vcc
	v_add_f32_e32 v6, 1.0, v6
	v_rcp_f32_e32 v13, v6
	s_nop 0
	v_pk_mul_f32 v[0:1], v[0:1], v[12:13]
	s_nop 0
	;;#ASMSTART
	v_pk_mul_f32 v[0:1], v[0:1], v[4:5]
	;;#ASMEND
	v_cvt_f32_f16_e32 v4, v7
	v_cvt_f32_f16_sdwa v5, v7 dst_sel:DWORD dst_unused:UNUSED_PAD src0_sel:WORD_1
	v_cvt_f16_f32_e32 v6, v0
	v_cvt_f16_f32_e32 v10, v1
	v_cvt_f32_f16_e32 v0, v11
	v_pk_add_f32 v[2:3], v[2:3], v[4:5]
	v_cvt_f32_f16_sdwa v1, v11 dst_sel:DWORD dst_unused:UNUSED_PAD src0_sel:WORD_1
	v_mul_f32_e32 v4, 0xbfb8aa3b, v2
	v_fma_f32 v5, v2, s28, -v4
	v_rndne_f32_e32 v7, v4
	v_fmac_f32_e32 v5, 0xb2a5705f, v2
	v_sub_f32_e32 v4, v4, v7
	v_add_f32_e32 v4, v4, v5
	v_exp_f32_e32 v4, v4
	v_cvt_i32_f32_e32 v5, v7
	v_cmp_nlt_f32_e32 vcc, s29, v2
	v_pk_add_f32 v[0:1], v[14:15], v[0:1]
	v_ldexp_f32 v4, v4, v5
	v_mul_f32_e32 v5, 0xbfb8aa3b, v3
	v_fma_f32 v7, v3, s28, -v5
	v_rndne_f32_e32 v11, v5
	v_fmac_f32_e32 v7, 0xb2a5705f, v3
	v_sub_f32_e32 v5, v5, v11
	v_add_f32_e32 v5, v5, v7
	v_exp_f32_e32 v5, v5
	v_cvt_i32_f32_e32 v7, v11
	v_cndmask_b32_e32 v4, 0, v4, vcc
	v_cmp_ngt_f32_e32 vcc, s30, v2
	v_ldexp_f32 v5, v5, v7
	s_nop 0
	v_cndmask_b32_e32 v4, v46, v4, vcc
	v_cmp_nlt_f32_e32 vcc, s29, v3
	v_add_f32_e32 v4, 1.0, v4
	v_rcp_f32_e32 v4, v4
	v_cndmask_b32_e32 v5, 0, v5, vcc
	v_cmp_ngt_f32_e32 vcc, s30, v3
	s_nop 1
	v_cndmask_b32_e32 v5, v46, v5, vcc
	v_add_f32_e32 v5, 1.0, v5
	v_rcp_f32_e32 v5, v5
	s_nop 0
	v_pk_mul_f32 v[2:3], v[2:3], v[4:5]
	s_nop 0
	;;#ASMSTART
	v_pk_mul_f32 v[0:1], v[2:3], v[0:1]
	;;#ASMEND
	s_load_dword s14, s[0:1], 0xc
	v_cvt_f16_f32_e32 v4, v0
	v_cvt_f16_f32_e32 v5, v1
	v_pack_b32_f16 v1, v25, v33
	v_pack_b32_f16 v3, v27, v29
	s_waitcnt lgkmcnt(0)
	s_and_b32 s14, s14, 0xffff
	s_lshl_b32 s26, s14, 4
	v_lshl_add_u64 v[44:45], s[26:27], 0, v[44:45]
	v_pack_b32_f16 v0, v24, v32
	v_pack_b32_f16 v2, v26, v28
	v_cmp_le_i64_e32 vcc, s[24:25], v[44:45]
	buffer_store_dwordx4 v[0:3], v47, s[4:7], 0 offen
	s_or_b64 s[2:3], vcc, s[2:3]
	s_nop 0
	v_pack_b32_f16 v1, v9, v17
	v_pack_b32_f16 v3, v4, v5
	;; [unrolled: 1-line block ×4, first 2 shown]
	buffer_store_dwordx4 v[0:3], v47, s[4:7], 16 offen
	s_andn2_b64 exec, exec, s[2:3]
	s_cbranch_execnz .LBB98_8
.LBB98_9:
	s_endpgm
	.section	.rodata,"a",@progbits
	.p2align	6, 0x0
	.amdhsa_kernel _ZN5aiter23act_and_mul_bias_kernelIDF16_DF16_hfTnPFfRKT2_EXadL_ZNS_11silu_kernelIfEEfRKT_EELi16EEEvPT0_PS8_PKT1_PS2_il
		.amdhsa_group_segment_fixed_size 0
		.amdhsa_private_segment_fixed_size 0
		.amdhsa_kernarg_size 304
		.amdhsa_user_sgpr_count 2
		.amdhsa_user_sgpr_dispatch_ptr 0
		.amdhsa_user_sgpr_queue_ptr 0
		.amdhsa_user_sgpr_kernarg_segment_ptr 1
		.amdhsa_user_sgpr_dispatch_id 0
		.amdhsa_user_sgpr_kernarg_preload_length 0
		.amdhsa_user_sgpr_kernarg_preload_offset 0
		.amdhsa_user_sgpr_private_segment_size 0
		.amdhsa_uses_dynamic_stack 0
		.amdhsa_enable_private_segment 0
		.amdhsa_system_sgpr_workgroup_id_x 1
		.amdhsa_system_sgpr_workgroup_id_y 0
		.amdhsa_system_sgpr_workgroup_id_z 0
		.amdhsa_system_sgpr_workgroup_info 0
		.amdhsa_system_vgpr_workitem_id 0
		.amdhsa_next_free_vgpr 54
		.amdhsa_next_free_sgpr 31
		.amdhsa_accum_offset 56
		.amdhsa_reserve_vcc 1
		.amdhsa_float_round_mode_32 0
		.amdhsa_float_round_mode_16_64 0
		.amdhsa_float_denorm_mode_32 3
		.amdhsa_float_denorm_mode_16_64 3
		.amdhsa_dx10_clamp 1
		.amdhsa_ieee_mode 1
		.amdhsa_fp16_overflow 0
		.amdhsa_tg_split 0
		.amdhsa_exception_fp_ieee_invalid_op 0
		.amdhsa_exception_fp_denorm_src 0
		.amdhsa_exception_fp_ieee_div_zero 0
		.amdhsa_exception_fp_ieee_overflow 0
		.amdhsa_exception_fp_ieee_underflow 0
		.amdhsa_exception_fp_ieee_inexact 0
		.amdhsa_exception_int_div_zero 0
	.end_amdhsa_kernel
	.section	.text._ZN5aiter23act_and_mul_bias_kernelIDF16_DF16_hfTnPFfRKT2_EXadL_ZNS_11silu_kernelIfEEfRKT_EELi16EEEvPT0_PS8_PKT1_PS2_il,"axG",@progbits,_ZN5aiter23act_and_mul_bias_kernelIDF16_DF16_hfTnPFfRKT2_EXadL_ZNS_11silu_kernelIfEEfRKT_EELi16EEEvPT0_PS8_PKT1_PS2_il,comdat
.Lfunc_end98:
	.size	_ZN5aiter23act_and_mul_bias_kernelIDF16_DF16_hfTnPFfRKT2_EXadL_ZNS_11silu_kernelIfEEfRKT_EELi16EEEvPT0_PS8_PKT1_PS2_il, .Lfunc_end98-_ZN5aiter23act_and_mul_bias_kernelIDF16_DF16_hfTnPFfRKT2_EXadL_ZNS_11silu_kernelIfEEfRKT_EELi16EEEvPT0_PS8_PKT1_PS2_il
                                        ; -- End function
	.section	.AMDGPU.csdata,"",@progbits
; Kernel info:
; codeLenInByte = 2716
; NumSgprs: 37
; NumVgprs: 54
; NumAgprs: 0
; TotalNumVgprs: 54
; ScratchSize: 0
; MemoryBound: 0
; FloatMode: 240
; IeeeMode: 1
; LDSByteSize: 0 bytes/workgroup (compile time only)
; SGPRBlocks: 4
; VGPRBlocks: 6
; NumSGPRsForWavesPerEU: 37
; NumVGPRsForWavesPerEU: 54
; AccumOffset: 56
; Occupancy: 8
; WaveLimiterHint : 0
; COMPUTE_PGM_RSRC2:SCRATCH_EN: 0
; COMPUTE_PGM_RSRC2:USER_SGPR: 2
; COMPUTE_PGM_RSRC2:TRAP_HANDLER: 0
; COMPUTE_PGM_RSRC2:TGID_X_EN: 1
; COMPUTE_PGM_RSRC2:TGID_Y_EN: 0
; COMPUTE_PGM_RSRC2:TGID_Z_EN: 0
; COMPUTE_PGM_RSRC2:TIDIG_COMP_CNT: 0
; COMPUTE_PGM_RSRC3_GFX90A:ACCUM_OFFSET: 13
; COMPUTE_PGM_RSRC3_GFX90A:TG_SPLIT: 0
	.section	.text._ZN5aiter23act_and_mul_bias_kernelIDF16_DF16_hfTnPFfRKT2_EXadL_ZNS_11silu_kernelIfEEfRKT_EELi8EEEvPT0_PS8_PKT1_PS2_il,"axG",@progbits,_ZN5aiter23act_and_mul_bias_kernelIDF16_DF16_hfTnPFfRKT2_EXadL_ZNS_11silu_kernelIfEEfRKT_EELi8EEEvPT0_PS8_PKT1_PS2_il,comdat
	.protected	_ZN5aiter23act_and_mul_bias_kernelIDF16_DF16_hfTnPFfRKT2_EXadL_ZNS_11silu_kernelIfEEfRKT_EELi8EEEvPT0_PS8_PKT1_PS2_il ; -- Begin function _ZN5aiter23act_and_mul_bias_kernelIDF16_DF16_hfTnPFfRKT2_EXadL_ZNS_11silu_kernelIfEEfRKT_EELi8EEEvPT0_PS8_PKT1_PS2_il
	.globl	_ZN5aiter23act_and_mul_bias_kernelIDF16_DF16_hfTnPFfRKT2_EXadL_ZNS_11silu_kernelIfEEfRKT_EELi8EEEvPT0_PS8_PKT1_PS2_il
	.p2align	8
	.type	_ZN5aiter23act_and_mul_bias_kernelIDF16_DF16_hfTnPFfRKT2_EXadL_ZNS_11silu_kernelIfEEfRKT_EELi8EEEvPT0_PS8_PKT1_PS2_il,@function
_ZN5aiter23act_and_mul_bias_kernelIDF16_DF16_hfTnPFfRKT2_EXadL_ZNS_11silu_kernelIfEEfRKT_EELi8EEEvPT0_PS8_PKT1_PS2_il: ; @_ZN5aiter23act_and_mul_bias_kernelIDF16_DF16_hfTnPFfRKT2_EXadL_ZNS_11silu_kernelIfEEfRKT_EELi8EEEvPT0_PS8_PKT1_PS2_il
; %bb.0:
	s_load_dwordx2 s[4:5], s[0:1], 0x10
	s_load_dword s14, s[0:1], 0x20
	s_load_dwordx2 s[8:9], s[0:1], 0x28
	v_mov_b32_e32 v1, s2
	s_load_dwordx2 s[10:11], s[0:1], 0x0
	s_waitcnt lgkmcnt(0)
	global_load_ubyte v1, v1, s[4:5]
	s_add_i32 s3, s14, 1
	v_mov_b64_e32 v[2:3], s[8:9]
	s_lshr_b32 s8, s3, 31
	s_ashr_i32 s15, s14, 31
	s_add_i32 s3, s3, s8
	s_mul_hi_u32 s4, s14, s2
	s_mul_i32 s9, s15, s2
	s_lshl_b32 s3, s3, 1
	s_mul_i32 s12, s14, s2
	s_add_i32 s13, s4, s9
	s_and_b32 s18, s3, -4
	s_lshl_b64 s[8:9], s[12:13], 1
	s_mov_b32 s5, 0
	s_mov_b64 s[6:7], -1
	v_lshlrev_b32_e32 v24, 3, v0
	s_waitcnt vmcnt(0)
	v_readfirstlane_b32 s3, v1
	s_and_b32 s4, s3, 0xffff
	s_add_u32 s16, s10, s8
	v_cmp_lt_i64_e32 vcc, s[4:5], v[2:3]
	s_addc_u32 s3, s11, s9
	s_and_b32 s17, s3, 0xffff
	s_cbranch_vccnz .LBB99_5
; %bb.1:
	v_cmp_gt_i32_e32 vcc, s14, v24
	s_and_saveexec_b64 s[6:7], vcc
	s_cbranch_execz .LBB99_4
; %bb.2:
	s_load_dword s3, s[0:1], 0x3c
	v_mov_b32_e32 v25, 0
	s_mov_b32 s9, 0
	v_lshlrev_b32_e32 v6, 4, v0
	s_mov_b64 s[10:11], 0
	s_waitcnt lgkmcnt(0)
	s_and_b32 s3, s3, 0xffff
	s_lshl_b32 s8, s3, 3
	s_lshl_b32 s3, s3, 4
	s_mov_b32 s19, 0x20000
	v_mov_b32_e32 v0, v25
	v_mov_b32_e32 v1, v25
	;; [unrolled: 1-line block ×4, first 2 shown]
	v_mov_b64_e32 v[4:5], v[24:25]
.LBB99_3:                               ; =>This Inner Loop Header: Depth=1
	v_lshl_add_u64 v[4:5], s[8:9], 0, v[4:5]
	v_cmp_le_i64_e32 vcc, s[14:15], v[4:5]
	buffer_store_dwordx4 v[0:3], v6, s[16:19], 0 offen
	s_or_b64 s[10:11], vcc, s[10:11]
	v_add_u32_e32 v6, s3, v6
	s_andn2_b64 exec, exec, s[10:11]
	s_cbranch_execnz .LBB99_3
.LBB99_4:
	s_or_b64 exec, exec, s[6:7]
	s_mov_b64 s[6:7], 0
.LBB99_5:
	s_andn2_b64 vcc, exec, s[6:7]
	s_cbranch_vccnz .LBB99_9
; %bb.6:
	v_cmp_gt_i32_e32 vcc, s14, v24
	s_and_saveexec_b64 s[6:7], vcc
	s_cbranch_execz .LBB99_9
; %bb.7:
	s_load_dwordx2 s[6:7], s[0:1], 0x18
	s_load_dwordx2 s[8:9], s[0:1], 0x8
	s_mul_hi_i32 s5, s14, s4
	s_mul_i32 s4, s14, s4
	s_lshl_b64 s[4:5], s[4:5], 3
	s_waitcnt lgkmcnt(0)
	s_add_u32 s20, s6, s4
	s_addc_u32 s3, s7, s5
	s_lshl_b64 s[4:5], s[14:15], 2
	s_add_u32 s24, s20, s4
	s_addc_u32 s4, s3, s5
	s_and_b32 s21, s3, 0xffff
	s_and_b32 s25, s4, 0xffff
	s_mul_i32 s3, s2, s15
	s_mul_hi_u32 s4, s2, s14
	s_add_i32 s3, s4, s3
	s_mul_i32 s2, s2, s14
	s_lshl_b32 s22, s14, 2
	s_lshl_b64 s[2:3], s[2:3], 2
	s_add_u32 s28, s8, s2
	s_addc_u32 s4, s9, s3
	s_lshl_b64 s[2:3], s[14:15], 1
	s_add_u32 s36, s28, s2
	s_addc_u32 s2, s4, s3
	s_and_b32 s29, s4, 0xffff
	s_and_b32 s37, s2, 0xffff
	s_mov_b32 s19, 0x20000
	s_add_u32 s34, s0, 48
	s_mov_b32 s23, s19
	v_mov_b32_e32 v25, 0
	s_addc_u32 s35, s1, 0
	s_mov_b64 s[40:41], 0
	s_mov_b32 s30, s18
	s_mov_b32 s31, s19
	;; [unrolled: 1-line block ×6, first 2 shown]
	v_mov_b32_e32 v30, 0x7f800000
	s_mov_b32 s38, s18
	s_mov_b32 s39, s19
.LBB99_8:                               ; =>This Inner Loop Header: Depth=1
	v_lshlrev_b32_e32 v31, 1, v24
	v_lshlrev_b32_e32 v26, 2, v24
	s_mov_b32 s26, s22
	s_mov_b32 s27, s23
	buffer_load_dwordx4 v[20:23], v31, s[36:39], 0 offen
	buffer_load_dwordx4 v[16:19], v31, s[28:31], 0 offen
	;; [unrolled: 1-line block ×6, first 2 shown]
	s_waitcnt vmcnt(5)
	v_cvt_f32_f16_e32 v26, v20
	v_cvt_f32_f16_sdwa v27, v20 dst_sel:DWORD dst_unused:UNUSED_PAD src0_sel:WORD_1
	s_waitcnt vmcnt(4)
	v_cvt_f32_f16_e32 v28, v16
	v_cvt_f32_f16_sdwa v29, v16 dst_sel:DWORD dst_unused:UNUSED_PAD src0_sel:WORD_1
	v_cvt_f32_f16_e32 v20, v21
	v_cvt_f32_f16_sdwa v21, v21 dst_sel:DWORD dst_unused:UNUSED_PAD src0_sel:WORD_1
	;; [unrolled: 2-line block ×7, first 2 shown]
	s_waitcnt vmcnt(2)
	v_pk_add_f32 v[16:17], v[4:5], v[28:29]
	v_pk_add_f32 v[4:5], v[10:11], v[20:21]
	;; [unrolled: 1-line block ×3, first 2 shown]
	s_waitcnt vmcnt(1)
	v_pk_add_f32 v[6:7], v[12:13], v[34:35]
	s_waitcnt vmcnt(0)
	v_pk_add_f32 v[12:13], v[0:1], v[36:37]
	v_pk_add_f32 v[2:3], v[2:3], v[18:19]
	;; [unrolled: 1-line block ×3, first 2 shown]
	v_mul_f32_e32 v14, 0xbfb8aa3b, v16
	v_mul_f32_e32 v15, 0xbfb8aa3b, v17
	;; [unrolled: 1-line block ×8, first 2 shown]
	v_pk_add_f32 v[8:9], v[8:9], v[26:27]
	v_fma_f32 v26, v16, s33, -v14
	v_rndne_f32_e32 v27, v14
	v_fma_f32 v28, v17, s33, -v15
	v_rndne_f32_e32 v29, v15
	;; [unrolled: 2-line block ×8, first 2 shown]
	v_fmac_f32_e32 v26, 0xb2a5705f, v16
	v_sub_f32_e32 v14, v14, v27
	v_fmac_f32_e32 v28, 0xb2a5705f, v17
	v_sub_f32_e32 v15, v15, v29
	;; [unrolled: 2-line block ×8, first 2 shown]
	v_add_f32_e32 v14, v14, v26
	v_add_f32_e32 v15, v15, v28
	;; [unrolled: 1-line block ×8, first 2 shown]
	v_cvt_i32_f32_e32 v27, v27
	v_cvt_i32_f32_e32 v29, v29
	;; [unrolled: 1-line block ×8, first 2 shown]
	v_exp_f32_e32 v14, v14
	v_exp_f32_e32 v15, v15
	;; [unrolled: 1-line block ×8, first 2 shown]
	v_ldexp_f32 v14, v14, v27
	v_ldexp_f32 v15, v15, v29
	v_cmp_nlt_f32_e32 vcc, s44, v17
	v_ldexp_f32 v18, v18, v33
	v_cmp_nlt_f32_e64 s[0:1], s44, v10
	v_ldexp_f32 v19, v19, v35
	v_cmp_nlt_f32_e64 s[2:3], s44, v11
	;; [unrolled: 2-line block ×6, first 2 shown]
	v_cmp_nlt_f32_e64 s[12:13], s44, v16
	v_cndmask_b32_e32 v15, 0, v15, vcc
	v_cmp_ngt_f32_e32 vcc, s45, v17
	v_cndmask_b32_e64 v14, 0, v14, s[12:13]
	v_cndmask_b32_e64 v18, 0, v18, s[0:1]
	v_cmp_ngt_f32_e64 s[0:1], s45, v10
	v_cndmask_b32_e64 v19, 0, v19, s[2:3]
	v_cmp_ngt_f32_e64 s[2:3], s45, v11
	;; [unrolled: 2-line block ×6, first 2 shown]
	v_cmp_ngt_f32_e64 s[12:13], s45, v16
	v_cndmask_b32_e32 v15, v30, v15, vcc
	v_cndmask_b32_e64 v18, v30, v18, s[0:1]
	v_cndmask_b32_e64 v14, v30, v14, s[12:13]
	;; [unrolled: 1-line block ×7, first 2 shown]
	v_add_f32_e32 v14, 1.0, v14
	v_add_f32_e32 v15, 1.0, v15
	;; [unrolled: 1-line block ×8, first 2 shown]
	v_rcp_f32_e32 v14, v14
	v_rcp_f32_e32 v15, v15
	;; [unrolled: 1-line block ×8, first 2 shown]
	v_pk_mul_f32 v[14:15], v[16:17], v[14:15]
	v_pk_mul_f32 v[10:11], v[10:11], v[18:19]
	;; [unrolled: 1-line block ×4, first 2 shown]
	;;#ASMSTART
	v_pk_mul_f32 v[8:9], v[14:15], v[8:9]
	;;#ASMEND
	;;#ASMSTART
	v_pk_mul_f32 v[4:5], v[10:11], v[4:5]
	;;#ASMEND
	;; [unrolled: 3-line block ×3, first 2 shown]
	s_nop 0
	;;#ASMSTART
	v_pk_mul_f32 v[0:1], v[2:3], v[0:1]
	;;#ASMEND
	s_load_dword s0, s[34:35], 0xc
	v_cvt_f16_f32_e32 v2, v8
	v_cvt_f16_f32_e32 v8, v9
	;; [unrolled: 1-line block ×8, first 2 shown]
	s_waitcnt lgkmcnt(0)
	s_and_b32 s0, s0, 0xffff
	s_lshl_b32 s42, s0, 3
	v_lshl_add_u64 v[24:25], s[42:43], 0, v[24:25]
	v_cmp_le_i64_e32 vcc, s[14:15], v[24:25]
	v_pack_b32_f16 v1, v3, v4
	v_pack_b32_f16 v3, v0, v5
	;; [unrolled: 1-line block ×4, first 2 shown]
	s_or_b64 s[40:41], vcc, s[40:41]
	buffer_store_dwordx4 v[0:3], v31, s[16:19], 0 offen
	s_andn2_b64 exec, exec, s[40:41]
	s_cbranch_execnz .LBB99_8
.LBB99_9:
	s_endpgm
	.section	.rodata,"a",@progbits
	.p2align	6, 0x0
	.amdhsa_kernel _ZN5aiter23act_and_mul_bias_kernelIDF16_DF16_hfTnPFfRKT2_EXadL_ZNS_11silu_kernelIfEEfRKT_EELi8EEEvPT0_PS8_PKT1_PS2_il
		.amdhsa_group_segment_fixed_size 0
		.amdhsa_private_segment_fixed_size 0
		.amdhsa_kernarg_size 304
		.amdhsa_user_sgpr_count 2
		.amdhsa_user_sgpr_dispatch_ptr 0
		.amdhsa_user_sgpr_queue_ptr 0
		.amdhsa_user_sgpr_kernarg_segment_ptr 1
		.amdhsa_user_sgpr_dispatch_id 0
		.amdhsa_user_sgpr_kernarg_preload_length 0
		.amdhsa_user_sgpr_kernarg_preload_offset 0
		.amdhsa_user_sgpr_private_segment_size 0
		.amdhsa_uses_dynamic_stack 0
		.amdhsa_enable_private_segment 0
		.amdhsa_system_sgpr_workgroup_id_x 1
		.amdhsa_system_sgpr_workgroup_id_y 0
		.amdhsa_system_sgpr_workgroup_id_z 0
		.amdhsa_system_sgpr_workgroup_info 0
		.amdhsa_system_vgpr_workitem_id 0
		.amdhsa_next_free_vgpr 44
		.amdhsa_next_free_sgpr 46
		.amdhsa_accum_offset 44
		.amdhsa_reserve_vcc 1
		.amdhsa_float_round_mode_32 0
		.amdhsa_float_round_mode_16_64 0
		.amdhsa_float_denorm_mode_32 3
		.amdhsa_float_denorm_mode_16_64 3
		.amdhsa_dx10_clamp 1
		.amdhsa_ieee_mode 1
		.amdhsa_fp16_overflow 0
		.amdhsa_tg_split 0
		.amdhsa_exception_fp_ieee_invalid_op 0
		.amdhsa_exception_fp_denorm_src 0
		.amdhsa_exception_fp_ieee_div_zero 0
		.amdhsa_exception_fp_ieee_overflow 0
		.amdhsa_exception_fp_ieee_underflow 0
		.amdhsa_exception_fp_ieee_inexact 0
		.amdhsa_exception_int_div_zero 0
	.end_amdhsa_kernel
	.section	.text._ZN5aiter23act_and_mul_bias_kernelIDF16_DF16_hfTnPFfRKT2_EXadL_ZNS_11silu_kernelIfEEfRKT_EELi8EEEvPT0_PS8_PKT1_PS2_il,"axG",@progbits,_ZN5aiter23act_and_mul_bias_kernelIDF16_DF16_hfTnPFfRKT2_EXadL_ZNS_11silu_kernelIfEEfRKT_EELi8EEEvPT0_PS8_PKT1_PS2_il,comdat
.Lfunc_end99:
	.size	_ZN5aiter23act_and_mul_bias_kernelIDF16_DF16_hfTnPFfRKT2_EXadL_ZNS_11silu_kernelIfEEfRKT_EELi8EEEvPT0_PS8_PKT1_PS2_il, .Lfunc_end99-_ZN5aiter23act_and_mul_bias_kernelIDF16_DF16_hfTnPFfRKT2_EXadL_ZNS_11silu_kernelIfEEfRKT_EELi8EEEvPT0_PS8_PKT1_PS2_il
                                        ; -- End function
	.section	.AMDGPU.csdata,"",@progbits
; Kernel info:
; codeLenInByte = 1660
; NumSgprs: 52
; NumVgprs: 44
; NumAgprs: 0
; TotalNumVgprs: 44
; ScratchSize: 0
; MemoryBound: 0
; FloatMode: 240
; IeeeMode: 1
; LDSByteSize: 0 bytes/workgroup (compile time only)
; SGPRBlocks: 6
; VGPRBlocks: 5
; NumSGPRsForWavesPerEU: 52
; NumVGPRsForWavesPerEU: 44
; AccumOffset: 44
; Occupancy: 8
; WaveLimiterHint : 0
; COMPUTE_PGM_RSRC2:SCRATCH_EN: 0
; COMPUTE_PGM_RSRC2:USER_SGPR: 2
; COMPUTE_PGM_RSRC2:TRAP_HANDLER: 0
; COMPUTE_PGM_RSRC2:TGID_X_EN: 1
; COMPUTE_PGM_RSRC2:TGID_Y_EN: 0
; COMPUTE_PGM_RSRC2:TGID_Z_EN: 0
; COMPUTE_PGM_RSRC2:TIDIG_COMP_CNT: 0
; COMPUTE_PGM_RSRC3_GFX90A:ACCUM_OFFSET: 10
; COMPUTE_PGM_RSRC3_GFX90A:TG_SPLIT: 0
	.section	.text._ZN5aiter23act_and_mul_bias_kernelIDF16_DF16_hfTnPFfRKT2_EXadL_ZNS_11silu_kernelIfEEfRKT_EELi4EEEvPT0_PS8_PKT1_PS2_il,"axG",@progbits,_ZN5aiter23act_and_mul_bias_kernelIDF16_DF16_hfTnPFfRKT2_EXadL_ZNS_11silu_kernelIfEEfRKT_EELi4EEEvPT0_PS8_PKT1_PS2_il,comdat
	.protected	_ZN5aiter23act_and_mul_bias_kernelIDF16_DF16_hfTnPFfRKT2_EXadL_ZNS_11silu_kernelIfEEfRKT_EELi4EEEvPT0_PS8_PKT1_PS2_il ; -- Begin function _ZN5aiter23act_and_mul_bias_kernelIDF16_DF16_hfTnPFfRKT2_EXadL_ZNS_11silu_kernelIfEEfRKT_EELi4EEEvPT0_PS8_PKT1_PS2_il
	.globl	_ZN5aiter23act_and_mul_bias_kernelIDF16_DF16_hfTnPFfRKT2_EXadL_ZNS_11silu_kernelIfEEfRKT_EELi4EEEvPT0_PS8_PKT1_PS2_il
	.p2align	8
	.type	_ZN5aiter23act_and_mul_bias_kernelIDF16_DF16_hfTnPFfRKT2_EXadL_ZNS_11silu_kernelIfEEfRKT_EELi4EEEvPT0_PS8_PKT1_PS2_il,@function
_ZN5aiter23act_and_mul_bias_kernelIDF16_DF16_hfTnPFfRKT2_EXadL_ZNS_11silu_kernelIfEEfRKT_EELi4EEEvPT0_PS8_PKT1_PS2_il: ; @_ZN5aiter23act_and_mul_bias_kernelIDF16_DF16_hfTnPFfRKT2_EXadL_ZNS_11silu_kernelIfEEfRKT_EELi4EEEvPT0_PS8_PKT1_PS2_il
; %bb.0:
	s_load_dwordx2 s[4:5], s[0:1], 0x10
	s_load_dword s6, s[0:1], 0x20
	s_load_dwordx2 s[8:9], s[0:1], 0x28
	v_mov_b32_e32 v1, s2
	s_load_dwordx2 s[14:15], s[0:1], 0x0
	s_waitcnt lgkmcnt(0)
	global_load_ubyte v1, v1, s[4:5]
	s_add_i32 s3, s6, 1
	s_ashr_i32 s7, s6, 31
	v_mov_b64_e32 v[4:5], s[8:9]
	s_lshr_b32 s8, s3, 31
	s_mul_hi_u32 s4, s6, s2
	s_mul_i32 s9, s7, s2
	s_add_i32 s3, s3, s8
	s_mul_i32 s10, s6, s2
	s_add_i32 s11, s4, s9
	s_lshl_b32 s3, s3, 1
	s_lshl_b64 s[8:9], s[10:11], 1
	s_and_b32 s10, s3, -4
	s_mov_b32 s5, 0
	s_mov_b64 s[12:13], -1
	v_lshlrev_b32_e32 v2, 2, v0
	s_waitcnt vmcnt(0)
	v_readfirstlane_b32 s3, v1
	s_and_b32 s4, s3, 0xffff
	s_add_u32 s8, s14, s8
	v_cmp_lt_i64_e32 vcc, s[4:5], v[4:5]
	s_addc_u32 s3, s15, s9
	s_and_b32 s9, s3, 0xffff
	s_cbranch_vccnz .LBB100_5
; %bb.1:
	v_cmp_gt_i32_e32 vcc, s6, v2
	s_and_saveexec_b64 s[12:13], vcc
	s_cbranch_execz .LBB100_4
; %bb.2:
	s_load_dword s3, s[0:1], 0x3c
	v_mov_b32_e32 v3, 0
	s_mov_b32 s15, 0
	v_lshlrev_b32_e32 v6, 3, v0
	s_mov_b64 s[16:17], 0
	s_waitcnt lgkmcnt(0)
	s_and_b32 s3, s3, 0xffff
	s_lshl_b32 s14, s3, 2
	s_lshl_b32 s3, s3, 3
	s_mov_b32 s11, 0x20000
	v_mov_b32_e32 v0, v3
	v_mov_b32_e32 v1, v3
	v_mov_b64_e32 v[4:5], v[2:3]
.LBB100_3:                              ; =>This Inner Loop Header: Depth=1
	v_lshl_add_u64 v[4:5], s[14:15], 0, v[4:5]
	v_cmp_le_i64_e32 vcc, s[6:7], v[4:5]
	buffer_store_dwordx2 v[0:1], v6, s[8:11], 0 offen
	s_or_b64 s[16:17], vcc, s[16:17]
	v_add_u32_e32 v6, s3, v6
	s_andn2_b64 exec, exec, s[16:17]
	s_cbranch_execnz .LBB100_3
.LBB100_4:
	s_or_b64 exec, exec, s[12:13]
	s_mov_b64 s[12:13], 0
.LBB100_5:
	s_andn2_b64 vcc, exec, s[12:13]
	s_cbranch_vccnz .LBB100_9
; %bb.6:
	v_cmp_gt_i32_e32 vcc, s6, v2
	s_and_saveexec_b64 s[12:13], vcc
	s_cbranch_execz .LBB100_9
; %bb.7:
	s_load_dwordx2 s[12:13], s[0:1], 0x18
	s_load_dwordx2 s[18:19], s[0:1], 0x8
	s_mul_hi_i32 s5, s6, s4
	s_mul_i32 s4, s6, s4
	s_lshl_b64 s[4:5], s[4:5], 3
	s_waitcnt lgkmcnt(0)
	s_add_u32 s12, s12, s4
	s_addc_u32 s3, s13, s5
	s_lshl_b64 s[4:5], s[6:7], 2
	s_add_u32 s16, s12, s4
	s_addc_u32 s4, s3, s5
	s_and_b32 s13, s3, 0xffff
	s_and_b32 s17, s4, 0xffff
	s_mul_i32 s3, s2, s7
	s_mul_hi_u32 s4, s2, s6
	s_add_i32 s3, s4, s3
	s_mul_i32 s2, s2, s6
	s_lshl_b32 s14, s6, 2
	s_lshl_b64 s[2:3], s[2:3], 2
	s_add_u32 s20, s18, s2
	s_addc_u32 s4, s19, s3
	s_lshl_b64 s[2:3], s[6:7], 1
	s_add_u32 s24, s20, s2
	s_addc_u32 s2, s4, s3
	s_and_b32 s21, s4, 0xffff
	s_and_b32 s25, s2, 0xffff
	s_mov_b32 s11, 0x20000
	s_add_u32 s28, s0, 48
	s_mov_b32 s15, s11
	v_mov_b32_e32 v3, 0
	s_addc_u32 s29, s1, 0
	s_mov_b64 s[30:31], 0
	s_mov_b32 s22, s10
	s_mov_b32 s23, s11
	;; [unrolled: 1-line block ×6, first 2 shown]
	v_mov_b32_e32 v0, 0x7f800000
	s_mov_b32 s26, s10
	s_mov_b32 s27, s11
.LBB100_8:                              ; =>This Inner Loop Header: Depth=1
	v_lshlrev_b32_e32 v1, 1, v2
	v_lshlrev_b32_e32 v16, 2, v2
	s_mov_b32 s18, s14
	s_mov_b32 s19, s15
	buffer_load_dwordx2 v[12:13], v1, s[24:27], 0 offen
	buffer_load_dwordx2 v[14:15], v1, s[20:23], 0 offen
	buffer_load_dwordx4 v[4:7], v16, s[12:15], 0 offen
	buffer_load_dwordx4 v[8:11], v16, s[16:19], 0 offen
	s_waitcnt vmcnt(3)
	v_cvt_f32_f16_e32 v16, v12
	s_waitcnt vmcnt(2)
	v_cvt_f32_f16_e32 v18, v14
	v_cvt_f32_f16_sdwa v19, v14 dst_sel:DWORD dst_unused:UNUSED_PAD src0_sel:WORD_1
	v_cvt_f32_f16_e32 v14, v15
	v_cvt_f32_f16_sdwa v15, v15 dst_sel:DWORD dst_unused:UNUSED_PAD src0_sel:WORD_1
	v_cvt_f32_f16_sdwa v17, v12 dst_sel:DWORD dst_unused:UNUSED_PAD src0_sel:WORD_1
	v_cvt_f32_f16_e32 v12, v13
	v_cvt_f32_f16_sdwa v13, v13 dst_sel:DWORD dst_unused:UNUSED_PAD src0_sel:WORD_1
	s_waitcnt vmcnt(1)
	v_pk_add_f32 v[4:5], v[4:5], v[18:19]
	v_pk_add_f32 v[6:7], v[6:7], v[14:15]
	s_waitcnt vmcnt(0)
	v_pk_add_f32 v[8:9], v[8:9], v[16:17]
	v_pk_add_f32 v[10:11], v[10:11], v[12:13]
	v_mul_f32_e32 v12, 0xbfb8aa3b, v4
	v_mul_f32_e32 v13, 0xbfb8aa3b, v5
	;; [unrolled: 1-line block ×4, first 2 shown]
	v_fma_f32 v16, v4, s33, -v12
	v_rndne_f32_e32 v17, v12
	v_fma_f32 v18, v5, s33, -v13
	v_rndne_f32_e32 v19, v13
	v_fma_f32 v20, v6, s33, -v14
	v_rndne_f32_e32 v21, v14
	v_fma_f32 v22, v7, s33, -v15
	v_rndne_f32_e32 v23, v15
	v_fmac_f32_e32 v16, 0xb2a5705f, v4
	v_sub_f32_e32 v12, v12, v17
	v_fmac_f32_e32 v18, 0xb2a5705f, v5
	v_sub_f32_e32 v13, v13, v19
	;; [unrolled: 2-line block ×4, first 2 shown]
	v_add_f32_e32 v12, v12, v16
	v_add_f32_e32 v13, v13, v18
	;; [unrolled: 1-line block ×4, first 2 shown]
	v_cvt_i32_f32_e32 v17, v17
	v_cvt_i32_f32_e32 v19, v19
	;; [unrolled: 1-line block ×4, first 2 shown]
	v_exp_f32_e32 v12, v12
	v_exp_f32_e32 v13, v13
	;; [unrolled: 1-line block ×4, first 2 shown]
	v_ldexp_f32 v12, v12, v17
	v_ldexp_f32 v13, v13, v19
	v_cmp_nlt_f32_e32 vcc, s36, v5
	v_ldexp_f32 v14, v14, v21
	v_cmp_nlt_f32_e64 s[0:1], s36, v6
	v_ldexp_f32 v15, v15, v23
	v_cmp_nlt_f32_e64 s[2:3], s36, v7
	v_cmp_nlt_f32_e64 s[4:5], s36, v4
	v_cndmask_b32_e32 v13, 0, v13, vcc
	v_cmp_ngt_f32_e32 vcc, s37, v5
	v_cndmask_b32_e64 v12, 0, v12, s[4:5]
	v_cndmask_b32_e64 v14, 0, v14, s[0:1]
	v_cmp_ngt_f32_e64 s[0:1], s37, v6
	v_cndmask_b32_e64 v15, 0, v15, s[2:3]
	v_cmp_ngt_f32_e64 s[2:3], s37, v7
	v_cmp_ngt_f32_e64 s[4:5], s37, v4
	v_cndmask_b32_e32 v13, v0, v13, vcc
	v_cndmask_b32_e64 v14, v0, v14, s[0:1]
	v_cndmask_b32_e64 v12, v0, v12, s[4:5]
	;; [unrolled: 1-line block ×3, first 2 shown]
	v_add_f32_e32 v12, 1.0, v12
	v_add_f32_e32 v13, 1.0, v13
	;; [unrolled: 1-line block ×4, first 2 shown]
	v_rcp_f32_e32 v12, v12
	v_rcp_f32_e32 v13, v13
	;; [unrolled: 1-line block ×4, first 2 shown]
	v_pk_mul_f32 v[4:5], v[4:5], v[12:13]
	s_nop 0
	;;#ASMSTART
	v_pk_mul_f32 v[4:5], v[4:5], v[8:9]
	;;#ASMEND
	v_pk_mul_f32 v[6:7], v[6:7], v[14:15]
	v_cvt_f16_f32_e32 v4, v4
	;;#ASMSTART
	v_pk_mul_f32 v[6:7], v[6:7], v[10:11]
	;;#ASMEND
	s_load_dword s0, s[28:29], 0xc
	v_cvt_f16_f32_e32 v6, v6
	v_cvt_f16_f32_e32 v7, v7
	;; [unrolled: 1-line block ×3, first 2 shown]
	s_waitcnt lgkmcnt(0)
	s_and_b32 s0, s0, 0xffff
	s_lshl_b32 s34, s0, 2
	v_lshl_add_u64 v[2:3], s[34:35], 0, v[2:3]
	v_cmp_le_i64_e32 vcc, s[6:7], v[2:3]
	v_pack_b32_f16 v5, v6, v7
	v_pack_b32_f16 v4, v4, v8
	s_or_b64 s[30:31], vcc, s[30:31]
	buffer_store_dwordx2 v[4:5], v1, s[8:11], 0 offen
	s_andn2_b64 exec, exec, s[30:31]
	s_cbranch_execnz .LBB100_8
.LBB100_9:
	s_endpgm
	.section	.rodata,"a",@progbits
	.p2align	6, 0x0
	.amdhsa_kernel _ZN5aiter23act_and_mul_bias_kernelIDF16_DF16_hfTnPFfRKT2_EXadL_ZNS_11silu_kernelIfEEfRKT_EELi4EEEvPT0_PS8_PKT1_PS2_il
		.amdhsa_group_segment_fixed_size 0
		.amdhsa_private_segment_fixed_size 0
		.amdhsa_kernarg_size 304
		.amdhsa_user_sgpr_count 2
		.amdhsa_user_sgpr_dispatch_ptr 0
		.amdhsa_user_sgpr_queue_ptr 0
		.amdhsa_user_sgpr_kernarg_segment_ptr 1
		.amdhsa_user_sgpr_dispatch_id 0
		.amdhsa_user_sgpr_kernarg_preload_length 0
		.amdhsa_user_sgpr_kernarg_preload_offset 0
		.amdhsa_user_sgpr_private_segment_size 0
		.amdhsa_uses_dynamic_stack 0
		.amdhsa_enable_private_segment 0
		.amdhsa_system_sgpr_workgroup_id_x 1
		.amdhsa_system_sgpr_workgroup_id_y 0
		.amdhsa_system_sgpr_workgroup_id_z 0
		.amdhsa_system_sgpr_workgroup_info 0
		.amdhsa_system_vgpr_workitem_id 0
		.amdhsa_next_free_vgpr 24
		.amdhsa_next_free_sgpr 38
		.amdhsa_accum_offset 24
		.amdhsa_reserve_vcc 1
		.amdhsa_float_round_mode_32 0
		.amdhsa_float_round_mode_16_64 0
		.amdhsa_float_denorm_mode_32 3
		.amdhsa_float_denorm_mode_16_64 3
		.amdhsa_dx10_clamp 1
		.amdhsa_ieee_mode 1
		.amdhsa_fp16_overflow 0
		.amdhsa_tg_split 0
		.amdhsa_exception_fp_ieee_invalid_op 0
		.amdhsa_exception_fp_denorm_src 0
		.amdhsa_exception_fp_ieee_div_zero 0
		.amdhsa_exception_fp_ieee_overflow 0
		.amdhsa_exception_fp_ieee_underflow 0
		.amdhsa_exception_fp_ieee_inexact 0
		.amdhsa_exception_int_div_zero 0
	.end_amdhsa_kernel
	.section	.text._ZN5aiter23act_and_mul_bias_kernelIDF16_DF16_hfTnPFfRKT2_EXadL_ZNS_11silu_kernelIfEEfRKT_EELi4EEEvPT0_PS8_PKT1_PS2_il,"axG",@progbits,_ZN5aiter23act_and_mul_bias_kernelIDF16_DF16_hfTnPFfRKT2_EXadL_ZNS_11silu_kernelIfEEfRKT_EELi4EEEvPT0_PS8_PKT1_PS2_il,comdat
.Lfunc_end100:
	.size	_ZN5aiter23act_and_mul_bias_kernelIDF16_DF16_hfTnPFfRKT2_EXadL_ZNS_11silu_kernelIfEEfRKT_EELi4EEEvPT0_PS8_PKT1_PS2_il, .Lfunc_end100-_ZN5aiter23act_and_mul_bias_kernelIDF16_DF16_hfTnPFfRKT2_EXadL_ZNS_11silu_kernelIfEEfRKT_EELi4EEEvPT0_PS8_PKT1_PS2_il
                                        ; -- End function
	.section	.AMDGPU.csdata,"",@progbits
; Kernel info:
; codeLenInByte = 1120
; NumSgprs: 44
; NumVgprs: 24
; NumAgprs: 0
; TotalNumVgprs: 24
; ScratchSize: 0
; MemoryBound: 0
; FloatMode: 240
; IeeeMode: 1
; LDSByteSize: 0 bytes/workgroup (compile time only)
; SGPRBlocks: 5
; VGPRBlocks: 2
; NumSGPRsForWavesPerEU: 44
; NumVGPRsForWavesPerEU: 24
; AccumOffset: 24
; Occupancy: 8
; WaveLimiterHint : 0
; COMPUTE_PGM_RSRC2:SCRATCH_EN: 0
; COMPUTE_PGM_RSRC2:USER_SGPR: 2
; COMPUTE_PGM_RSRC2:TRAP_HANDLER: 0
; COMPUTE_PGM_RSRC2:TGID_X_EN: 1
; COMPUTE_PGM_RSRC2:TGID_Y_EN: 0
; COMPUTE_PGM_RSRC2:TGID_Z_EN: 0
; COMPUTE_PGM_RSRC2:TIDIG_COMP_CNT: 0
; COMPUTE_PGM_RSRC3_GFX90A:ACCUM_OFFSET: 5
; COMPUTE_PGM_RSRC3_GFX90A:TG_SPLIT: 0
	.section	.text._ZN5aiter23act_and_mul_bias_kernelIDF16_DF16_hfTnPFfRKT2_EXadL_ZNS_11silu_kernelIfEEfRKT_EELi2EEEvPT0_PS8_PKT1_PS2_il,"axG",@progbits,_ZN5aiter23act_and_mul_bias_kernelIDF16_DF16_hfTnPFfRKT2_EXadL_ZNS_11silu_kernelIfEEfRKT_EELi2EEEvPT0_PS8_PKT1_PS2_il,comdat
	.protected	_ZN5aiter23act_and_mul_bias_kernelIDF16_DF16_hfTnPFfRKT2_EXadL_ZNS_11silu_kernelIfEEfRKT_EELi2EEEvPT0_PS8_PKT1_PS2_il ; -- Begin function _ZN5aiter23act_and_mul_bias_kernelIDF16_DF16_hfTnPFfRKT2_EXadL_ZNS_11silu_kernelIfEEfRKT_EELi2EEEvPT0_PS8_PKT1_PS2_il
	.globl	_ZN5aiter23act_and_mul_bias_kernelIDF16_DF16_hfTnPFfRKT2_EXadL_ZNS_11silu_kernelIfEEfRKT_EELi2EEEvPT0_PS8_PKT1_PS2_il
	.p2align	8
	.type	_ZN5aiter23act_and_mul_bias_kernelIDF16_DF16_hfTnPFfRKT2_EXadL_ZNS_11silu_kernelIfEEfRKT_EELi2EEEvPT0_PS8_PKT1_PS2_il,@function
_ZN5aiter23act_and_mul_bias_kernelIDF16_DF16_hfTnPFfRKT2_EXadL_ZNS_11silu_kernelIfEEfRKT_EELi2EEEvPT0_PS8_PKT1_PS2_il: ; @_ZN5aiter23act_and_mul_bias_kernelIDF16_DF16_hfTnPFfRKT2_EXadL_ZNS_11silu_kernelIfEEfRKT_EELi2EEEvPT0_PS8_PKT1_PS2_il
; %bb.0:
	s_load_dwordx2 s[4:5], s[0:1], 0x10
	s_load_dword s24, s[0:1], 0x20
	s_load_dwordx2 s[6:7], s[0:1], 0x28
	v_mov_b32_e32 v1, s2
	s_mov_b32 s9, 0
	s_waitcnt lgkmcnt(0)
	global_load_ubyte v1, v1, s[4:5]
	s_add_i32 s3, s24, 1
	s_load_dwordx2 s[4:5], s[0:1], 0x0
	v_mov_b64_e32 v[4:5], s[6:7]
	s_lshr_b32 s6, s3, 31
	s_ashr_i32 s25, s24, 31
	s_add_i32 s3, s3, s6
	s_mul_hi_u32 s8, s24, s2
	s_mul_i32 s7, s25, s2
	s_lshl_b32 s3, s3, 1
	s_mul_i32 s12, s24, s2
	s_add_i32 s13, s8, s7
	s_and_b32 s6, s3, -4
	s_lshl_b64 s[12:13], s[12:13], 1
	s_mov_b64 s[10:11], -1
	v_lshlrev_b32_e32 v2, 1, v0
	s_waitcnt vmcnt(0)
	v_readfirstlane_b32 s3, v1
	s_and_b32 s8, s3, 0xffff
	s_waitcnt lgkmcnt(0)
	s_add_u32 s4, s4, s12
	v_cmp_lt_i64_e32 vcc, s[8:9], v[4:5]
	s_addc_u32 s3, s5, s13
	s_and_b32 s5, s3, 0xffff
	s_cbranch_vccnz .LBB101_5
; %bb.1:
	v_cmp_gt_i32_e32 vcc, s24, v2
	s_and_saveexec_b64 s[10:11], vcc
	s_cbranch_execz .LBB101_4
; %bb.2:
	s_load_dword s3, s[0:1], 0x3c
	v_mov_b32_e32 v3, 0
	s_mov_b32 s13, 0
	v_lshlrev_b32_e32 v4, 2, v0
	s_mov_b64 s[14:15], 0
	s_waitcnt lgkmcnt(0)
	s_and_b32 s3, s3, 0xffff
	s_lshl_b32 s12, s3, 1
	s_lshl_b32 s3, s3, 2
	s_mov_b32 s7, 0x20000
	v_mov_b64_e32 v[0:1], v[2:3]
.LBB101_3:                              ; =>This Inner Loop Header: Depth=1
	v_lshl_add_u64 v[0:1], s[12:13], 0, v[0:1]
	v_cmp_le_i64_e32 vcc, s[24:25], v[0:1]
	buffer_store_dword v3, v4, s[4:7], 0 offen
	s_or_b64 s[14:15], vcc, s[14:15]
	v_add_u32_e32 v4, s3, v4
	s_andn2_b64 exec, exec, s[14:15]
	s_cbranch_execnz .LBB101_3
.LBB101_4:
	s_or_b64 exec, exec, s[10:11]
	s_mov_b64 s[10:11], 0
.LBB101_5:
	s_andn2_b64 vcc, exec, s[10:11]
	s_cbranch_vccnz .LBB101_9
; %bb.6:
	v_cmp_gt_i32_e32 vcc, s24, v2
	s_and_saveexec_b64 s[10:11], vcc
	s_cbranch_execz .LBB101_9
; %bb.7:
	s_load_dwordx2 s[10:11], s[0:1], 0x18
	s_load_dwordx2 s[14:15], s[0:1], 0x8
	s_mul_hi_i32 s9, s24, s8
	s_mul_i32 s8, s24, s8
	s_lshl_b64 s[8:9], s[8:9], 3
	s_waitcnt lgkmcnt(0)
	s_add_u32 s8, s10, s8
	s_addc_u32 s3, s11, s9
	s_lshl_b64 s[10:11], s[24:25], 2
	s_add_u32 s12, s8, s10
	s_addc_u32 s13, s3, s11
	s_and_b32 s9, s3, 0xffff
	s_mul_i32 s3, s2, s25
	s_mul_hi_u32 s16, s2, s24
	s_add_i32 s3, s16, s3
	s_mul_i32 s2, s2, s24
	s_lshl_b32 s10, s24, 2
	s_and_b32 s13, s13, 0xffff
	s_lshl_b64 s[2:3], s[2:3], 2
	s_add_u32 s16, s14, s2
	s_addc_u32 s14, s15, s3
	s_lshl_b64 s[2:3], s[24:25], 1
	s_add_u32 s20, s16, s2
	s_addc_u32 s2, s14, s3
	s_and_b32 s17, s14, 0xffff
	s_and_b32 s21, s2, 0xffff
	s_mov_b32 s7, 0x20000
	s_add_u32 s2, s0, 48
	s_mov_b32 s11, s7
	v_mov_b32_e32 v3, 0
	s_addc_u32 s3, s1, 0
	s_mov_b64 s[26:27], 0
	s_mov_b32 s18, s6
	s_mov_b32 s19, s7
	;; [unrolled: 1-line block ×6, first 2 shown]
	v_mov_b32_e32 v0, 0x7f800000
	s_mov_b32 s22, s6
	s_mov_b32 s23, s7
.LBB101_8:                              ; =>This Inner Loop Header: Depth=1
	v_lshlrev_b32_e32 v1, 1, v2
	v_lshlrev_b32_e32 v8, 2, v2
	s_mov_b32 s14, s10
	s_mov_b32 s15, s11
	buffer_load_dword v9, v1, s[20:23], 0 offen
	buffer_load_dword v11, v1, s[16:19], 0 offen
	buffer_load_dwordx2 v[4:5], v8, s[8:11], 0 offen
	buffer_load_dwordx2 v[6:7], v8, s[12:15], 0 offen
	s_waitcnt vmcnt(3)
	v_cvt_f32_f16_e32 v8, v9
	s_waitcnt vmcnt(2)
	v_cvt_f32_f16_e32 v10, v11
	v_cvt_f32_f16_sdwa v11, v11 dst_sel:DWORD dst_unused:UNUSED_PAD src0_sel:WORD_1
	v_cvt_f32_f16_sdwa v9, v9 dst_sel:DWORD dst_unused:UNUSED_PAD src0_sel:WORD_1
	s_waitcnt vmcnt(1)
	v_pk_add_f32 v[4:5], v[4:5], v[10:11]
	s_waitcnt vmcnt(0)
	v_pk_add_f32 v[6:7], v[6:7], v[8:9]
	v_mul_f32_e32 v8, 0xbfb8aa3b, v5
	v_mul_f32_e32 v9, 0xbfb8aa3b, v4
	v_fma_f32 v10, v5, s30, -v8
	v_rndne_f32_e32 v11, v8
	v_fma_f32 v12, v4, s30, -v9
	v_rndne_f32_e32 v13, v9
	v_fmac_f32_e32 v10, 0xb2a5705f, v5
	v_sub_f32_e32 v8, v8, v11
	v_fmac_f32_e32 v12, 0xb2a5705f, v4
	v_sub_f32_e32 v9, v9, v13
	v_add_f32_e32 v8, v8, v10
	v_add_f32_e32 v9, v9, v12
	v_cvt_i32_f32_e32 v11, v11
	v_cvt_i32_f32_e32 v13, v13
	v_exp_f32_e32 v8, v8
	v_exp_f32_e32 v9, v9
	v_cmp_nlt_f32_e32 vcc, s31, v4
	v_cmp_nlt_f32_e64 s[0:1], s31, v5
	v_ldexp_f32 v8, v8, v11
	v_ldexp_f32 v9, v9, v13
	v_cndmask_b32_e64 v8, 0, v8, s[0:1]
	v_cndmask_b32_e32 v9, 0, v9, vcc
	v_cmp_ngt_f32_e32 vcc, s33, v4
	v_cmp_ngt_f32_e64 s[0:1], s33, v5
	s_nop 0
	v_cndmask_b32_e32 v9, v0, v9, vcc
	v_cndmask_b32_e64 v8, v0, v8, s[0:1]
	v_add_f32_e32 v8, 1.0, v8
	v_add_f32_e32 v10, 1.0, v9
	v_rcp_f32_e32 v9, v8
	v_rcp_f32_e32 v8, v10
	s_nop 0
	v_pk_mul_f32 v[4:5], v[4:5], v[8:9]
	s_nop 0
	;;#ASMSTART
	v_pk_mul_f32 v[4:5], v[4:5], v[6:7]
	;;#ASMEND
	s_load_dword s0, s[2:3], 0xc
	v_cvt_f16_f32_e32 v4, v4
	v_cvt_f16_f32_e32 v5, v5
	s_waitcnt lgkmcnt(0)
	s_and_b32 s0, s0, 0xffff
	s_lshl_b32 s28, s0, 1
	v_lshl_add_u64 v[2:3], s[28:29], 0, v[2:3]
	v_cmp_le_i64_e32 vcc, s[24:25], v[2:3]
	v_pack_b32_f16 v4, v4, v5
	s_or_b64 s[26:27], vcc, s[26:27]
	buffer_store_dword v4, v1, s[4:7], 0 offen
	s_andn2_b64 exec, exec, s[26:27]
	s_cbranch_execnz .LBB101_8
.LBB101_9:
	s_endpgm
	.section	.rodata,"a",@progbits
	.p2align	6, 0x0
	.amdhsa_kernel _ZN5aiter23act_and_mul_bias_kernelIDF16_DF16_hfTnPFfRKT2_EXadL_ZNS_11silu_kernelIfEEfRKT_EELi2EEEvPT0_PS8_PKT1_PS2_il
		.amdhsa_group_segment_fixed_size 0
		.amdhsa_private_segment_fixed_size 0
		.amdhsa_kernarg_size 304
		.amdhsa_user_sgpr_count 2
		.amdhsa_user_sgpr_dispatch_ptr 0
		.amdhsa_user_sgpr_queue_ptr 0
		.amdhsa_user_sgpr_kernarg_segment_ptr 1
		.amdhsa_user_sgpr_dispatch_id 0
		.amdhsa_user_sgpr_kernarg_preload_length 0
		.amdhsa_user_sgpr_kernarg_preload_offset 0
		.amdhsa_user_sgpr_private_segment_size 0
		.amdhsa_uses_dynamic_stack 0
		.amdhsa_enable_private_segment 0
		.amdhsa_system_sgpr_workgroup_id_x 1
		.amdhsa_system_sgpr_workgroup_id_y 0
		.amdhsa_system_sgpr_workgroup_id_z 0
		.amdhsa_system_sgpr_workgroup_info 0
		.amdhsa_system_vgpr_workitem_id 0
		.amdhsa_next_free_vgpr 14
		.amdhsa_next_free_sgpr 34
		.amdhsa_accum_offset 16
		.amdhsa_reserve_vcc 1
		.amdhsa_float_round_mode_32 0
		.amdhsa_float_round_mode_16_64 0
		.amdhsa_float_denorm_mode_32 3
		.amdhsa_float_denorm_mode_16_64 3
		.amdhsa_dx10_clamp 1
		.amdhsa_ieee_mode 1
		.amdhsa_fp16_overflow 0
		.amdhsa_tg_split 0
		.amdhsa_exception_fp_ieee_invalid_op 0
		.amdhsa_exception_fp_denorm_src 0
		.amdhsa_exception_fp_ieee_div_zero 0
		.amdhsa_exception_fp_ieee_overflow 0
		.amdhsa_exception_fp_ieee_underflow 0
		.amdhsa_exception_fp_ieee_inexact 0
		.amdhsa_exception_int_div_zero 0
	.end_amdhsa_kernel
	.section	.text._ZN5aiter23act_and_mul_bias_kernelIDF16_DF16_hfTnPFfRKT2_EXadL_ZNS_11silu_kernelIfEEfRKT_EELi2EEEvPT0_PS8_PKT1_PS2_il,"axG",@progbits,_ZN5aiter23act_and_mul_bias_kernelIDF16_DF16_hfTnPFfRKT2_EXadL_ZNS_11silu_kernelIfEEfRKT_EELi2EEEvPT0_PS8_PKT1_PS2_il,comdat
.Lfunc_end101:
	.size	_ZN5aiter23act_and_mul_bias_kernelIDF16_DF16_hfTnPFfRKT2_EXadL_ZNS_11silu_kernelIfEEfRKT_EELi2EEEvPT0_PS8_PKT1_PS2_il, .Lfunc_end101-_ZN5aiter23act_and_mul_bias_kernelIDF16_DF16_hfTnPFfRKT2_EXadL_ZNS_11silu_kernelIfEEfRKT_EELi2EEEvPT0_PS8_PKT1_PS2_il
                                        ; -- End function
	.section	.AMDGPU.csdata,"",@progbits
; Kernel info:
; codeLenInByte = 868
; NumSgprs: 40
; NumVgprs: 14
; NumAgprs: 0
; TotalNumVgprs: 14
; ScratchSize: 0
; MemoryBound: 0
; FloatMode: 240
; IeeeMode: 1
; LDSByteSize: 0 bytes/workgroup (compile time only)
; SGPRBlocks: 4
; VGPRBlocks: 1
; NumSGPRsForWavesPerEU: 40
; NumVGPRsForWavesPerEU: 14
; AccumOffset: 16
; Occupancy: 8
; WaveLimiterHint : 0
; COMPUTE_PGM_RSRC2:SCRATCH_EN: 0
; COMPUTE_PGM_RSRC2:USER_SGPR: 2
; COMPUTE_PGM_RSRC2:TRAP_HANDLER: 0
; COMPUTE_PGM_RSRC2:TGID_X_EN: 1
; COMPUTE_PGM_RSRC2:TGID_Y_EN: 0
; COMPUTE_PGM_RSRC2:TGID_Z_EN: 0
; COMPUTE_PGM_RSRC2:TIDIG_COMP_CNT: 0
; COMPUTE_PGM_RSRC3_GFX90A:ACCUM_OFFSET: 3
; COMPUTE_PGM_RSRC3_GFX90A:TG_SPLIT: 0
	.section	.text._ZN5aiter23act_and_mul_bias_kernelIDF16_DF16_hfTnPFfRKT2_EXadL_ZNS_11silu_kernelIfEEfRKT_EELi1EEEvPT0_PS8_PKT1_PS2_il,"axG",@progbits,_ZN5aiter23act_and_mul_bias_kernelIDF16_DF16_hfTnPFfRKT2_EXadL_ZNS_11silu_kernelIfEEfRKT_EELi1EEEvPT0_PS8_PKT1_PS2_il,comdat
	.protected	_ZN5aiter23act_and_mul_bias_kernelIDF16_DF16_hfTnPFfRKT2_EXadL_ZNS_11silu_kernelIfEEfRKT_EELi1EEEvPT0_PS8_PKT1_PS2_il ; -- Begin function _ZN5aiter23act_and_mul_bias_kernelIDF16_DF16_hfTnPFfRKT2_EXadL_ZNS_11silu_kernelIfEEfRKT_EELi1EEEvPT0_PS8_PKT1_PS2_il
	.globl	_ZN5aiter23act_and_mul_bias_kernelIDF16_DF16_hfTnPFfRKT2_EXadL_ZNS_11silu_kernelIfEEfRKT_EELi1EEEvPT0_PS8_PKT1_PS2_il
	.p2align	8
	.type	_ZN5aiter23act_and_mul_bias_kernelIDF16_DF16_hfTnPFfRKT2_EXadL_ZNS_11silu_kernelIfEEfRKT_EELi1EEEvPT0_PS8_PKT1_PS2_il,@function
_ZN5aiter23act_and_mul_bias_kernelIDF16_DF16_hfTnPFfRKT2_EXadL_ZNS_11silu_kernelIfEEfRKT_EELi1EEEvPT0_PS8_PKT1_PS2_il: ; @_ZN5aiter23act_and_mul_bias_kernelIDF16_DF16_hfTnPFfRKT2_EXadL_ZNS_11silu_kernelIfEEfRKT_EELi1EEEvPT0_PS8_PKT1_PS2_il
; %bb.0:
	s_load_dwordx2 s[4:5], s[0:1], 0x10
	s_load_dword s20, s[0:1], 0x20
	s_load_dwordx2 s[8:9], s[0:1], 0x28
	v_mov_b32_e32 v1, s2
	s_load_dwordx2 s[14:15], s[0:1], 0x0
	s_waitcnt lgkmcnt(0)
	global_load_ubyte v1, v1, s[4:5]
	s_add_i32 s3, s20, 1
	s_ashr_i32 s21, s20, 31
	v_mov_b64_e32 v[2:3], s[8:9]
	s_lshr_b32 s8, s3, 31
	s_mul_hi_u32 s6, s20, s2
	s_mul_i32 s9, s21, s2
	s_add_i32 s3, s3, s8
	s_mul_i32 s10, s20, s2
	s_add_i32 s11, s6, s9
	s_lshl_b32 s3, s3, 1
	s_lshl_b64 s[8:9], s[10:11], 1
	s_and_b32 s10, s3, -4
	s_mov_b32 s7, 0
	s_mov_b64 s[12:13], -1
	v_cmp_gt_i32_e64 s[4:5], s20, v0
	s_waitcnt vmcnt(0)
	v_readfirstlane_b32 s3, v1
	s_and_b32 s6, s3, 0xffff
	s_add_u32 s8, s14, s8
	v_cmp_lt_i64_e32 vcc, s[6:7], v[2:3]
	s_addc_u32 s3, s15, s9
	s_and_b32 s9, s3, 0xffff
	s_cbranch_vccnz .LBB102_5
; %bb.1:
	s_and_saveexec_b64 s[12:13], s[4:5]
	s_cbranch_execz .LBB102_4
; %bb.2:
	s_load_dword s3, s[0:1], 0x3c
	v_mov_b32_e32 v1, 0
	s_mov_b32 s5, 0
	v_lshlrev_b32_e32 v4, 1, v0
	s_mov_b64 s[14:15], 0
	s_waitcnt lgkmcnt(0)
	s_and_b32 s4, s3, 0xffff
	s_lshl_b32 s3, s4, 1
	s_mov_b32 s11, 0x20000
	v_mov_b64_e32 v[2:3], v[0:1]
.LBB102_3:                              ; =>This Inner Loop Header: Depth=1
	v_lshl_add_u64 v[2:3], v[2:3], 0, s[4:5]
	v_cmp_le_i64_e32 vcc, s[20:21], v[2:3]
	buffer_store_short v1, v4, s[8:11], 0 offen
	s_or_b64 s[14:15], vcc, s[14:15]
	v_add_u32_e32 v4, s3, v4
	s_andn2_b64 exec, exec, s[14:15]
	s_cbranch_execnz .LBB102_3
.LBB102_4:
	s_or_b64 exec, exec, s[12:13]
	s_mov_b64 s[12:13], 0
.LBB102_5:
	s_andn2_b64 vcc, exec, s[12:13]
	s_cbranch_vccnz .LBB102_9
; %bb.6:
	v_cmp_gt_i32_e32 vcc, s20, v0
	s_and_saveexec_b64 s[4:5], vcc
	s_cbranch_execz .LBB102_9
; %bb.7:
	s_load_dwordx2 s[12:13], s[0:1], 0x8
	s_load_dwordx2 s[4:5], s[0:1], 0x18
	s_mul_hi_i32 s7, s20, s6
	s_mul_i32 s6, s20, s6
	s_lshl_b64 s[6:7], s[6:7], 3
	s_load_dword s14, s[0:1], 0x3c
	s_waitcnt lgkmcnt(0)
	s_add_u32 s4, s4, s6
	s_addc_u32 s3, s5, s7
	s_lshl_b64 s[0:1], s[20:21], 2
	s_add_u32 s0, s4, s0
	s_addc_u32 s1, s3, s1
	s_and_b32 s5, s3, 0xffff
	s_mul_i32 s3, s2, s21
	s_mul_hi_u32 s15, s2, s20
	s_add_i32 s3, s15, s3
	s_mul_i32 s2, s2, s20
	s_lshl_b32 s6, s20, 2
	s_and_b32 s1, s1, 0xffff
	s_lshl_b64 s[2:3], s[2:3], 2
	s_add_u32 s12, s12, s2
	s_addc_u32 s13, s13, s3
	s_lshl_b64 s[2:3], s[20:21], 1
	s_add_u32 s16, s12, s2
	s_mov_b32 s11, 0x20000
	s_addc_u32 s2, s13, s3
	s_and_b32 s22, s14, 0xffff
	s_mov_b32 s7, s11
	s_and_b32 s13, s13, 0xffff
	s_and_b32 s17, s2, 0xffff
	s_mov_b32 s23, 0
	v_mov_b32_e32 v1, 0
	v_lshlrev_b32_e32 v2, 2, v0
	s_lshl_b32 s26, s22, 2
	v_lshlrev_b32_e32 v3, 1, v0
	s_lshl_b32 s27, s22, 1
	s_mov_b64 s[24:25], 0
	s_mov_b32 s14, s10
	s_mov_b32 s15, s11
	;; [unrolled: 1-line block ×5, first 2 shown]
	v_mov_b32_e32 v4, 0x7f800000
	s_mov_b32 s18, s10
	s_mov_b32 s19, s11
.LBB102_8:                              ; =>This Inner Loop Header: Depth=1
	buffer_load_ushort v5, v3, s[12:15], 0 offen
	buffer_load_ushort v8, v3, s[16:19], 0 offen
	s_mov_b32 s2, s6
	s_mov_b32 s3, s7
	buffer_load_dword v7, v2, s[4:7], 0 offen
	buffer_load_dword v6, v2, s[0:3], 0 offen
	v_lshl_add_u64 v[0:1], v[0:1], 0, s[22:23]
	v_add_u32_e32 v2, s26, v2
	s_waitcnt vmcnt(3)
	v_cvt_f32_f16_e32 v9, v5
	s_waitcnt vmcnt(2)
	v_cvt_f32_f16_e32 v8, v8
	s_waitcnt vmcnt(0)
	v_pk_add_f32 v[6:7], v[8:9], v[6:7]
	s_nop 0
	v_mul_f32_e32 v5, 0xbfb8aa3b, v7
	v_fma_f32 v8, v7, s28, -v5
	v_rndne_f32_e32 v9, v5
	v_fmac_f32_e32 v8, 0xb2a5705f, v7
	v_sub_f32_e32 v5, v5, v9
	v_add_f32_e32 v5, v5, v8
	v_cvt_i32_f32_e32 v9, v9
	v_exp_f32_e32 v5, v5
	v_cmp_nlt_f32_e32 vcc, s29, v7
	v_ldexp_f32 v5, v5, v9
	s_nop 0
	v_cndmask_b32_e32 v5, 0, v5, vcc
	v_cmp_ngt_f32_e32 vcc, s30, v7
	s_nop 1
	v_cndmask_b32_e32 v5, v4, v5, vcc
	v_add_f32_e32 v5, 1.0, v5
	v_rcp_f32_e32 v5, v5
	v_cmp_le_i64_e32 vcc, s[20:21], v[0:1]
	s_or_b64 s[24:25], vcc, s[24:25]
	v_mul_f32_e32 v5, v7, v5
	v_fma_mixlo_f16 v5, v6, v5, 0
	buffer_store_short v5, v3, s[8:11], 0 offen
	v_add_u32_e32 v3, s27, v3
	s_andn2_b64 exec, exec, s[24:25]
	s_cbranch_execnz .LBB102_8
.LBB102_9:
	s_endpgm
	.section	.rodata,"a",@progbits
	.p2align	6, 0x0
	.amdhsa_kernel _ZN5aiter23act_and_mul_bias_kernelIDF16_DF16_hfTnPFfRKT2_EXadL_ZNS_11silu_kernelIfEEfRKT_EELi1EEEvPT0_PS8_PKT1_PS2_il
		.amdhsa_group_segment_fixed_size 0
		.amdhsa_private_segment_fixed_size 0
		.amdhsa_kernarg_size 304
		.amdhsa_user_sgpr_count 2
		.amdhsa_user_sgpr_dispatch_ptr 0
		.amdhsa_user_sgpr_queue_ptr 0
		.amdhsa_user_sgpr_kernarg_segment_ptr 1
		.amdhsa_user_sgpr_dispatch_id 0
		.amdhsa_user_sgpr_kernarg_preload_length 0
		.amdhsa_user_sgpr_kernarg_preload_offset 0
		.amdhsa_user_sgpr_private_segment_size 0
		.amdhsa_uses_dynamic_stack 0
		.amdhsa_enable_private_segment 0
		.amdhsa_system_sgpr_workgroup_id_x 1
		.amdhsa_system_sgpr_workgroup_id_y 0
		.amdhsa_system_sgpr_workgroup_id_z 0
		.amdhsa_system_sgpr_workgroup_info 0
		.amdhsa_system_vgpr_workitem_id 0
		.amdhsa_next_free_vgpr 10
		.amdhsa_next_free_sgpr 31
		.amdhsa_accum_offset 12
		.amdhsa_reserve_vcc 1
		.amdhsa_float_round_mode_32 0
		.amdhsa_float_round_mode_16_64 0
		.amdhsa_float_denorm_mode_32 3
		.amdhsa_float_denorm_mode_16_64 3
		.amdhsa_dx10_clamp 1
		.amdhsa_ieee_mode 1
		.amdhsa_fp16_overflow 0
		.amdhsa_tg_split 0
		.amdhsa_exception_fp_ieee_invalid_op 0
		.amdhsa_exception_fp_denorm_src 0
		.amdhsa_exception_fp_ieee_div_zero 0
		.amdhsa_exception_fp_ieee_overflow 0
		.amdhsa_exception_fp_ieee_underflow 0
		.amdhsa_exception_fp_ieee_inexact 0
		.amdhsa_exception_int_div_zero 0
	.end_amdhsa_kernel
	.section	.text._ZN5aiter23act_and_mul_bias_kernelIDF16_DF16_hfTnPFfRKT2_EXadL_ZNS_11silu_kernelIfEEfRKT_EELi1EEEvPT0_PS8_PKT1_PS2_il,"axG",@progbits,_ZN5aiter23act_and_mul_bias_kernelIDF16_DF16_hfTnPFfRKT2_EXadL_ZNS_11silu_kernelIfEEfRKT_EELi1EEEvPT0_PS8_PKT1_PS2_il,comdat
.Lfunc_end102:
	.size	_ZN5aiter23act_and_mul_bias_kernelIDF16_DF16_hfTnPFfRKT2_EXadL_ZNS_11silu_kernelIfEEfRKT_EELi1EEEvPT0_PS8_PKT1_PS2_il, .Lfunc_end102-_ZN5aiter23act_and_mul_bias_kernelIDF16_DF16_hfTnPFfRKT2_EXadL_ZNS_11silu_kernelIfEEfRKT_EELi1EEEvPT0_PS8_PKT1_PS2_il
                                        ; -- End function
	.section	.AMDGPU.csdata,"",@progbits
; Kernel info:
; codeLenInByte = 720
; NumSgprs: 37
; NumVgprs: 10
; NumAgprs: 0
; TotalNumVgprs: 10
; ScratchSize: 0
; MemoryBound: 0
; FloatMode: 240
; IeeeMode: 1
; LDSByteSize: 0 bytes/workgroup (compile time only)
; SGPRBlocks: 4
; VGPRBlocks: 1
; NumSGPRsForWavesPerEU: 37
; NumVGPRsForWavesPerEU: 10
; AccumOffset: 12
; Occupancy: 8
; WaveLimiterHint : 0
; COMPUTE_PGM_RSRC2:SCRATCH_EN: 0
; COMPUTE_PGM_RSRC2:USER_SGPR: 2
; COMPUTE_PGM_RSRC2:TRAP_HANDLER: 0
; COMPUTE_PGM_RSRC2:TGID_X_EN: 1
; COMPUTE_PGM_RSRC2:TGID_Y_EN: 0
; COMPUTE_PGM_RSRC2:TGID_Z_EN: 0
; COMPUTE_PGM_RSRC2:TIDIG_COMP_CNT: 0
; COMPUTE_PGM_RSRC3_GFX90A:ACCUM_OFFSET: 2
; COMPUTE_PGM_RSRC3_GFX90A:TG_SPLIT: 0
	.section	.text._ZN5aiter23act_and_mul_bias_kernelItthfTnPFfRKT2_EXadL_ZNS_11silu_kernelIfEEfRKT_EELi32EEEvPT0_PS8_PKT1_PS2_il,"axG",@progbits,_ZN5aiter23act_and_mul_bias_kernelItthfTnPFfRKT2_EXadL_ZNS_11silu_kernelIfEEfRKT_EELi32EEEvPT0_PS8_PKT1_PS2_il,comdat
	.protected	_ZN5aiter23act_and_mul_bias_kernelItthfTnPFfRKT2_EXadL_ZNS_11silu_kernelIfEEfRKT_EELi32EEEvPT0_PS8_PKT1_PS2_il ; -- Begin function _ZN5aiter23act_and_mul_bias_kernelItthfTnPFfRKT2_EXadL_ZNS_11silu_kernelIfEEfRKT_EELi32EEEvPT0_PS8_PKT1_PS2_il
	.globl	_ZN5aiter23act_and_mul_bias_kernelItthfTnPFfRKT2_EXadL_ZNS_11silu_kernelIfEEfRKT_EELi32EEEvPT0_PS8_PKT1_PS2_il
	.p2align	8
	.type	_ZN5aiter23act_and_mul_bias_kernelItthfTnPFfRKT2_EXadL_ZNS_11silu_kernelIfEEfRKT_EELi32EEEvPT0_PS8_PKT1_PS2_il,@function
_ZN5aiter23act_and_mul_bias_kernelItthfTnPFfRKT2_EXadL_ZNS_11silu_kernelIfEEfRKT_EELi32EEEvPT0_PS8_PKT1_PS2_il: ; @_ZN5aiter23act_and_mul_bias_kernelItthfTnPFfRKT2_EXadL_ZNS_11silu_kernelIfEEfRKT_EELi32EEEvPT0_PS8_PKT1_PS2_il
; %bb.0:
	s_load_dwordx2 s[4:5], s[0:1], 0x10
	s_load_dword s6, s[0:1], 0x20
	s_load_dwordx2 s[8:9], s[0:1], 0x28
	v_mov_b32_e32 v1, s2
	s_load_dwordx2 s[14:15], s[0:1], 0x0
	s_waitcnt lgkmcnt(0)
	global_load_ubyte v1, v1, s[4:5]
	s_add_i32 s3, s6, 1
	s_ashr_i32 s7, s6, 31
	v_mov_b64_e32 v[2:3], s[8:9]
	s_lshr_b32 s8, s3, 31
	s_mul_hi_u32 s4, s6, s2
	s_mul_i32 s9, s7, s2
	s_add_i32 s3, s3, s8
	s_mul_i32 s10, s6, s2
	s_add_i32 s11, s4, s9
	s_lshl_b32 s3, s3, 1
	s_lshl_b64 s[8:9], s[10:11], 1
	s_and_b32 s10, s3, -4
	s_mov_b32 s5, 0
	s_mov_b64 s[12:13], -1
	v_lshlrev_b32_e32 v4, 5, v0
	s_waitcnt vmcnt(0)
	v_readfirstlane_b32 s3, v1
	s_and_b32 s4, s3, 0xffff
	s_add_u32 s8, s14, s8
	v_cmp_lt_i64_e32 vcc, s[4:5], v[2:3]
	s_addc_u32 s3, s15, s9
	s_and_b32 s9, s3, 0xffff
	s_cbranch_vccnz .LBB103_5
; %bb.1:
	v_cmp_gt_i32_e32 vcc, s6, v4
	s_and_saveexec_b64 s[12:13], vcc
	s_cbranch_execz .LBB103_4
; %bb.2:
	s_load_dword s3, s[0:1], 0x3c
	s_mov_b32 s15, 0
	s_mov_b32 s20, s15
	s_mov_b32 s21, s15
	v_mov_b32_e32 v5, 0
	v_lshlrev_b32_e32 v8, 6, v0
	s_waitcnt lgkmcnt(0)
	s_and_b32 s3, s3, 0xffff
	s_mov_b32 s22, s15
	s_mov_b32 s23, s15
	v_mov_b64_e32 v[0:1], s[20:21]
	s_lshl_b32 s14, s3, 5
	s_lshl_b32 s3, s3, 6
	s_mov_b64 s[16:17], 0
	s_mov_b32 s11, 0x20000
	v_mov_b64_e32 v[2:3], s[22:23]
	v_mov_b64_e32 v[6:7], v[4:5]
.LBB103_3:                              ; =>This Inner Loop Header: Depth=1
	v_lshl_add_u64 v[6:7], s[14:15], 0, v[6:7]
	v_cmp_le_i64_e32 vcc, s[6:7], v[6:7]
	buffer_store_dwordx4 v[0:3], v8, s[8:11], 0 offen
	buffer_store_dwordx4 v[0:3], v8, s[8:11], 16 offen
	;; [unrolled: 1-line block ×4, first 2 shown]
	s_or_b64 s[16:17], vcc, s[16:17]
	v_add_u32_e32 v8, s3, v8
	s_andn2_b64 exec, exec, s[16:17]
	s_cbranch_execnz .LBB103_3
.LBB103_4:
	s_or_b64 exec, exec, s[12:13]
	s_mov_b64 s[12:13], 0
.LBB103_5:
	s_andn2_b64 vcc, exec, s[12:13]
	s_cbranch_vccnz .LBB103_9
; %bb.6:
	v_cmp_gt_i32_e32 vcc, s6, v4
	s_and_saveexec_b64 s[12:13], vcc
	s_cbranch_execz .LBB103_9
; %bb.7:
	s_load_dwordx2 s[12:13], s[0:1], 0x18
	s_load_dwordx2 s[18:19], s[0:1], 0x8
	s_mul_hi_i32 s5, s6, s4
	s_mul_i32 s4, s6, s4
	s_lshl_b64 s[4:5], s[4:5], 3
	s_waitcnt lgkmcnt(0)
	s_add_u32 s12, s12, s4
	s_addc_u32 s3, s13, s5
	s_lshl_b64 s[4:5], s[6:7], 2
	s_add_u32 s16, s12, s4
	s_addc_u32 s4, s3, s5
	s_and_b32 s13, s3, 0xffff
	s_and_b32 s17, s4, 0xffff
	s_mul_i32 s3, s2, s7
	s_mul_hi_u32 s4, s2, s6
	s_add_i32 s3, s4, s3
	s_mul_i32 s2, s2, s6
	s_lshl_b32 s14, s6, 2
	s_lshl_b64 s[2:3], s[2:3], 2
	s_add_u32 s20, s18, s2
	s_addc_u32 s4, s19, s3
	s_lshl_b64 s[2:3], s[6:7], 1
	s_add_u32 s24, s20, s2
	s_addc_u32 s2, s4, s3
	s_and_b32 s21, s4, 0xffff
	s_and_b32 s25, s2, 0xffff
	s_mov_b32 s11, 0x20000
	s_add_u32 s28, s0, 48
	s_mov_b32 s15, s11
	v_mov_b32_e32 v5, 0
	s_addc_u32 s29, s1, 0
	s_mov_b64 s[30:31], 0
	s_mov_b32 s22, s10
	s_mov_b32 s23, s11
	;; [unrolled: 1-line block ×3, first 2 shown]
	s_movk_i32 s33, 0x50
	s_movk_i32 s36, 0x60
	;; [unrolled: 1-line block ×3, first 2 shown]
	s_mov_b32 s38, 0xbfb8aa3b
	s_mov_b32 s39, 0x42ce8ed0
	;; [unrolled: 1-line block ×3, first 2 shown]
	v_mov_b32_e32 v76, 0x7f800000
	s_mov_b32 s41, 0x7060302
	s_mov_b32 s26, s10
	;; [unrolled: 1-line block ×3, first 2 shown]
.LBB103_8:                              ; =>This Inner Loop Header: Depth=1
	v_lshlrev_b32_e32 v77, 1, v4
	buffer_load_dwordx4 v[10:13], v77, s[24:27], 0 offen
	buffer_load_dwordx4 v[14:17], v77, s[20:23], 0 offen
	;; [unrolled: 1-line block ×8, first 2 shown]
	s_mov_b32 s18, s14
	s_mov_b32 s19, s15
	v_lshlrev_b32_e32 v82, 2, v4
	buffer_load_dwordx4 v[78:81], v82, s[16:19], 64 offen
	s_waitcnt vmcnt(8)
	v_and_b32_e32 v1, 0xffff0000, v10
	v_lshlrev_b32_e32 v0, 16, v10
	s_waitcnt vmcnt(7)
	v_and_b32_e32 v63, 0xffff0000, v14
	v_lshlrev_b32_e32 v62, 16, v14
	v_and_b32_e32 v3, 0xffff0000, v11
	v_lshlrev_b32_e32 v2, 16, v11
	;; [unrolled: 2-line block ×7, first 2 shown]
	s_waitcnt vmcnt(6)
	v_and_b32_e32 v13, 0xffff0000, v18
	v_lshlrev_b32_e32 v12, 16, v18
	s_waitcnt vmcnt(5)
	v_and_b32_e32 v55, 0xffff0000, v22
	v_lshlrev_b32_e32 v54, 16, v22
	v_and_b32_e32 v61, 0xffff0000, v19
	v_lshlrev_b32_e32 v60, 16, v19
	;; [unrolled: 2-line block ×7, first 2 shown]
	s_waitcnt vmcnt(4)
	v_and_b32_e32 v21, 0xffff0000, v26
	v_lshlrev_b32_e32 v20, 16, v26
	v_and_b32_e32 v49, 0xffff0000, v27
	v_lshlrev_b32_e32 v48, 16, v27
	v_and_b32_e32 v23, 0xffff0000, v28
	v_lshlrev_b32_e32 v22, 16, v28
	v_and_b32_e32 v25, 0xffff0000, v29
	v_lshlrev_b32_e32 v24, 16, v29
	s_waitcnt vmcnt(3)
	v_and_b32_e32 v51, 0xffff0000, v30
	v_lshlrev_b32_e32 v50, 16, v30
	v_and_b32_e32 v53, 0xffff0000, v31
	v_lshlrev_b32_e32 v52, 16, v31
	v_and_b32_e32 v27, 0xffff0000, v32
	v_lshlrev_b32_e32 v26, 16, v32
	v_and_b32_e32 v39, 0xffff0000, v33
	v_lshlrev_b32_e32 v38, 16, v33
	;; [unrolled: 9-line block ×4, first 2 shown]
	buffer_load_dwordx4 v[66:69], v82, s[16:19], 0 offen
	s_waitcnt vmcnt(0)
	v_pk_add_f32 v[0:1], v[66:67], v[0:1]
	v_pk_add_f32 v[2:3], v[68:69], v[2:3]
	buffer_load_dwordx4 v[66:69], v82, s[12:15], 0 offen
	s_waitcnt vmcnt(0)
	v_pk_add_f32 v[74:75], v[66:67], v[62:63]
	v_pk_add_f32 v[72:73], v[68:69], v[64:65]
	buffer_load_dwordx4 v[62:65], v82, s[16:19], 16 offen
	v_cmp_nlt_f32_e32 vcc, s39, v75
	v_cmp_nlt_f32_e64 s[0:1], s39, v74
	v_cmp_ngt_f32_e64 s[2:3], s40, v75
	v_cmp_ngt_f32_e64 s[4:5], s40, v74
	s_waitcnt vmcnt(0)
	v_pk_add_f32 v[6:7], v[62:63], v[6:7]
	v_pk_add_f32 v[8:9], v[64:65], v[8:9]
	buffer_load_dwordx4 v[62:65], v82, s[12:15], 16 offen
	s_waitcnt vmcnt(0)
	v_pk_add_f32 v[70:71], v[62:63], v[10:11]
	v_pk_add_f32 v[68:69], v[64:65], v[56:57]
	buffer_load_dwordx4 v[62:65], v82, s[16:19], 32 offen
	;; [unrolled: 4-line block ×4, first 2 shown]
	s_waitcnt vmcnt(0)
	v_pk_add_f32 v[16:17], v[58:59], v[16:17]
	buffer_load_dwordx4 v[58:61], v82, s[12:15], 48 offen
	v_pk_add_f32 v[14:15], v[56:57], v[14:15]
	s_waitcnt vmcnt(0)
	v_pk_add_f32 v[58:59], v[58:59], v[18:19]
	v_pk_add_f32 v[62:63], v[60:61], v[46:47]
	;; [unrolled: 1-line block ×4, first 2 shown]
	buffer_load_dwordx4 v[46:49], v82, s[12:15], 64 offen
	s_waitcnt vmcnt(0)
	v_pk_add_f32 v[64:65], v[46:47], v[50:51]
	v_pk_add_f32 v[60:61], v[48:49], v[52:53]
	buffer_load_dwordx4 v[46:49], v82, s[16:19], s33 offen
	s_waitcnt vmcnt(0)
	v_pk_add_f32 v[22:23], v[46:47], v[22:23]
	v_pk_add_f32 v[24:25], v[48:49], v[24:25]
	;; [unrolled: 4-line block ×5, first 2 shown]
	buffer_load_dwordx4 v[38:41], v82, s[16:19], s37 offen
	buffer_load_dwordx4 v[44:47], v82, s[12:15], s37 offen
	s_waitcnt vmcnt(1)
	v_pk_add_f32 v[32:33], v[40:41], v[32:33]
	s_waitcnt vmcnt(0)
	v_pk_add_f32 v[40:41], v[44:45], v[36:37]
	v_mul_f32_e32 v36, 0xbfb8aa3b, v74
	v_pk_add_f32 v[30:31], v[38:39], v[30:31]
	v_fma_f32 v37, v74, s38, -v36
	v_rndne_f32_e32 v38, v36
	v_fmac_f32_e32 v37, 0xb2a5705f, v74
	v_sub_f32_e32 v36, v36, v38
	v_add_f32_e32 v36, v36, v37
	v_mul_f32_e32 v37, 0xbfb8aa3b, v75
	v_cvt_i32_f32_e32 v38, v38
	v_exp_f32_e32 v36, v36
	v_fma_f32 v39, v75, s38, -v37
	v_rndne_f32_e32 v44, v37
	v_fmac_f32_e32 v39, 0xb2a5705f, v75
	v_sub_f32_e32 v37, v37, v44
	v_add_f32_e32 v37, v37, v39
	v_ldexp_f32 v36, v36, v38
	v_cvt_i32_f32_e32 v38, v44
	v_exp_f32_e32 v37, v37
	v_pk_add_f32 v[34:35], v[46:47], v[34:35]
	v_cndmask_b32_e64 v36, 0, v36, s[0:1]
	v_cmp_nlt_f32_e64 s[0:1], s39, v72
	v_ldexp_f32 v37, v37, v38
	v_mul_f32_e32 v38, 0xbfb8aa3b, v72
	v_fma_f32 v39, v72, s38, -v38
	v_rndne_f32_e32 v44, v38
	v_fmac_f32_e32 v39, 0xb2a5705f, v72
	v_sub_f32_e32 v38, v38, v44
	v_add_f32_e32 v38, v38, v39
	v_mul_f32_e32 v39, 0xbfb8aa3b, v73
	v_cvt_i32_f32_e32 v44, v44
	v_exp_f32_e32 v38, v38
	v_fma_f32 v45, v73, s38, -v39
	v_rndne_f32_e32 v46, v39
	v_fmac_f32_e32 v45, 0xb2a5705f, v73
	v_sub_f32_e32 v39, v39, v46
	v_add_f32_e32 v39, v39, v45
	v_ldexp_f32 v38, v38, v44
	v_cvt_i32_f32_e32 v44, v46
	v_exp_f32_e32 v39, v39
	v_cndmask_b32_e32 v37, 0, v37, vcc
	v_cmp_nlt_f32_e32 vcc, s39, v73
	v_cndmask_b32_e64 v36, v76, v36, s[4:5]
	v_ldexp_f32 v39, v39, v44
	v_mul_f32_e32 v44, 0xbfb8aa3b, v70
	v_fma_f32 v45, v70, s38, -v44
	v_rndne_f32_e32 v46, v44
	v_fmac_f32_e32 v45, 0xb2a5705f, v70
	v_sub_f32_e32 v44, v44, v46
	v_add_f32_e32 v44, v44, v45
	v_mul_f32_e32 v45, 0xbfb8aa3b, v71
	v_cvt_i32_f32_e32 v46, v46
	v_exp_f32_e32 v44, v44
	v_fma_f32 v47, v71, s38, -v45
	v_rndne_f32_e32 v50, v45
	v_fmac_f32_e32 v47, 0xb2a5705f, v71
	v_sub_f32_e32 v45, v45, v50
	v_add_f32_e32 v45, v45, v47
	v_ldexp_f32 v44, v44, v46
	v_cvt_i32_f32_e32 v46, v50
	v_exp_f32_e32 v45, v45
	v_cndmask_b32_e64 v37, v76, v37, s[2:3]
	v_cmp_ngt_f32_e64 s[2:3], s40, v73
	v_cmp_ngt_f32_e64 s[4:5], s40, v72
	v_cndmask_b32_e64 v38, 0, v38, s[0:1]
	v_cndmask_b32_e32 v39, 0, v39, vcc
	v_ldexp_f32 v45, v45, v46
	v_cmp_nlt_f32_e32 vcc, s39, v71
	v_cmp_nlt_f32_e64 s[0:1], s39, v70
	v_cndmask_b32_e64 v38, v76, v38, s[4:5]
	v_cndmask_b32_e64 v39, v76, v39, s[2:3]
	v_cmp_ngt_f32_e64 s[2:3], s40, v71
	v_cmp_ngt_f32_e64 s[4:5], s40, v70
	v_cndmask_b32_e64 v44, 0, v44, s[0:1]
	v_cndmask_b32_e32 v45, 0, v45, vcc
	v_cndmask_b32_e64 v44, v76, v44, s[4:5]
	v_cndmask_b32_e64 v45, v76, v45, s[2:3]
	v_add_f32_e32 v44, 1.0, v44
	v_add_f32_e32 v45, 1.0, v45
	v_mul_f32_e32 v46, 0xbfb8aa3b, v68
	v_rcp_f32_e32 v44, v44
	v_rcp_f32_e32 v45, v45
	v_fma_f32 v47, v68, s38, -v46
	v_rndne_f32_e32 v50, v46
	v_fmac_f32_e32 v47, 0xb2a5705f, v68
	v_sub_f32_e32 v46, v46, v50
	v_add_f32_e32 v46, v46, v47
	v_mul_f32_e32 v47, 0xbfb8aa3b, v69
	v_cvt_i32_f32_e32 v50, v50
	v_exp_f32_e32 v46, v46
	v_pk_mul_f32 v[44:45], v[70:71], v[44:45]
	v_fma_f32 v51, v69, s38, -v47
	v_rndne_f32_e32 v70, v47
	v_fmac_f32_e32 v51, 0xb2a5705f, v69
	v_sub_f32_e32 v47, v47, v70
	v_add_f32_e32 v47, v47, v51
	v_ldexp_f32 v46, v46, v50
	v_cvt_i32_f32_e32 v50, v70
	v_exp_f32_e32 v47, v47
	v_cmp_nlt_f32_e32 vcc, s39, v69
	v_cmp_nlt_f32_e64 s[0:1], s39, v68
	v_cmp_ngt_f32_e64 s[2:3], s40, v69
	v_ldexp_f32 v47, v47, v50
	v_cmp_ngt_f32_e64 s[4:5], s40, v68
	v_cndmask_b32_e64 v46, 0, v46, s[0:1]
	v_cndmask_b32_e32 v47, 0, v47, vcc
	v_cndmask_b32_e64 v46, v76, v46, s[4:5]
	v_cndmask_b32_e64 v47, v76, v47, s[2:3]
	v_add_f32_e32 v46, 1.0, v46
	v_add_f32_e32 v47, 1.0, v47
	v_rcp_f32_e32 v46, v46
	v_rcp_f32_e32 v47, v47
	v_mul_f32_e32 v50, 0xbfb8aa3b, v66
	v_fma_f32 v51, v66, s38, -v50
	v_fmac_f32_e32 v51, 0xb2a5705f, v66
	v_pk_mul_f32 v[46:47], v[68:69], v[46:47]
	v_rndne_f32_e32 v68, v50
	v_sub_f32_e32 v50, v50, v68
	v_add_f32_e32 v50, v50, v51
	v_mul_f32_e32 v51, 0xbfb8aa3b, v67
	v_cvt_i32_f32_e32 v68, v68
	v_exp_f32_e32 v50, v50
	v_fma_f32 v69, v67, s38, -v51
	v_rndne_f32_e32 v70, v51
	v_fmac_f32_e32 v69, 0xb2a5705f, v67
	v_sub_f32_e32 v51, v51, v70
	v_add_f32_e32 v51, v51, v69
	v_ldexp_f32 v50, v50, v68
	v_cvt_i32_f32_e32 v68, v70
	v_exp_f32_e32 v51, v51
	v_cmp_nlt_f32_e32 vcc, s39, v67
	v_cmp_nlt_f32_e64 s[0:1], s39, v66
	v_cmp_ngt_f32_e64 s[2:3], s40, v67
	v_ldexp_f32 v51, v51, v68
	v_cmp_ngt_f32_e64 s[4:5], s40, v66
	v_cndmask_b32_e64 v50, 0, v50, s[0:1]
	v_cndmask_b32_e32 v51, 0, v51, vcc
	v_cndmask_b32_e64 v50, v76, v50, s[4:5]
	v_cndmask_b32_e64 v51, v76, v51, s[2:3]
	v_add_f32_e32 v50, 1.0, v50
	v_add_f32_e32 v51, 1.0, v51
	v_rcp_f32_e32 v50, v50
	v_rcp_f32_e32 v51, v51
	v_cmp_nlt_f32_e32 vcc, s39, v55
	v_cmp_nlt_f32_e64 s[0:1], s39, v54
	v_cmp_ngt_f32_e64 s[2:3], s40, v55
	v_pk_mul_f32 v[50:51], v[66:67], v[50:51]
	v_mul_f32_e32 v66, 0xbfb8aa3b, v54
	v_fma_f32 v67, v54, s38, -v66
	v_rndne_f32_e32 v68, v66
	v_fmac_f32_e32 v67, 0xb2a5705f, v54
	v_sub_f32_e32 v66, v66, v68
	v_add_f32_e32 v66, v66, v67
	v_mul_f32_e32 v67, 0xbfb8aa3b, v55
	v_cvt_i32_f32_e32 v68, v68
	v_exp_f32_e32 v66, v66
	v_fma_f32 v69, v55, s38, -v67
	v_rndne_f32_e32 v70, v67
	v_fmac_f32_e32 v69, 0xb2a5705f, v55
	v_sub_f32_e32 v67, v67, v70
	v_add_f32_e32 v67, v67, v69
	v_ldexp_f32 v66, v66, v68
	v_cvt_i32_f32_e32 v68, v70
	v_exp_f32_e32 v67, v67
	v_cmp_ngt_f32_e64 s[4:5], s40, v54
	v_cndmask_b32_e64 v66, 0, v66, s[0:1]
	v_cmp_nlt_f32_e64 s[0:1], s39, v58
	v_ldexp_f32 v67, v67, v68
	v_cndmask_b32_e32 v67, 0, v67, vcc
	v_cndmask_b32_e64 v66, v76, v66, s[4:5]
	v_cndmask_b32_e64 v67, v76, v67, s[2:3]
	v_add_f32_e32 v66, 1.0, v66
	v_add_f32_e32 v67, 1.0, v67
	v_rcp_f32_e32 v66, v66
	v_rcp_f32_e32 v67, v67
	v_cmp_nlt_f32_e32 vcc, s39, v59
	v_cmp_ngt_f32_e64 s[2:3], s40, v59
	v_cmp_ngt_f32_e64 s[4:5], s40, v58
	v_pk_mul_f32 v[54:55], v[54:55], v[66:67]
	v_mul_f32_e32 v66, 0xbfb8aa3b, v58
	v_fma_f32 v67, v58, s38, -v66
	v_rndne_f32_e32 v68, v66
	v_fmac_f32_e32 v67, 0xb2a5705f, v58
	v_sub_f32_e32 v66, v66, v68
	v_add_f32_e32 v66, v66, v67
	v_mul_f32_e32 v67, 0xbfb8aa3b, v59
	v_cvt_i32_f32_e32 v68, v68
	v_exp_f32_e32 v66, v66
	v_fma_f32 v69, v59, s38, -v67
	v_rndne_f32_e32 v70, v67
	v_fmac_f32_e32 v69, 0xb2a5705f, v59
	v_sub_f32_e32 v67, v67, v70
	v_add_f32_e32 v67, v67, v69
	v_ldexp_f32 v66, v66, v68
	v_cvt_i32_f32_e32 v68, v70
	v_exp_f32_e32 v67, v67
	v_cndmask_b32_e64 v66, 0, v66, s[0:1]
	v_cndmask_b32_e64 v66, v76, v66, s[4:5]
	v_add_f32_e32 v66, 1.0, v66
	v_ldexp_f32 v67, v67, v68
	v_cndmask_b32_e32 v67, 0, v67, vcc
	v_cndmask_b32_e64 v67, v76, v67, s[2:3]
	v_add_f32_e32 v67, 1.0, v67
	v_rcp_f32_e32 v66, v66
	v_rcp_f32_e32 v67, v67
	v_cmp_nlt_f32_e32 vcc, s39, v63
	v_cmp_nlt_f32_e64 s[0:1], s39, v62
	v_cmp_ngt_f32_e64 s[2:3], s40, v63
	v_pk_mul_f32 v[58:59], v[58:59], v[66:67]
	v_mul_f32_e32 v66, 0xbfb8aa3b, v62
	v_fma_f32 v67, v62, s38, -v66
	v_rndne_f32_e32 v68, v66
	v_fmac_f32_e32 v67, 0xb2a5705f, v62
	v_sub_f32_e32 v66, v66, v68
	v_add_f32_e32 v66, v66, v67
	v_mul_f32_e32 v67, 0xbfb8aa3b, v63
	v_cvt_i32_f32_e32 v68, v68
	v_exp_f32_e32 v66, v66
	v_fma_f32 v69, v63, s38, -v67
	v_rndne_f32_e32 v70, v67
	v_fmac_f32_e32 v69, 0xb2a5705f, v63
	v_sub_f32_e32 v67, v67, v70
	v_add_f32_e32 v67, v67, v69
	v_ldexp_f32 v66, v66, v68
	v_cvt_i32_f32_e32 v68, v70
	v_exp_f32_e32 v67, v67
	v_cmp_ngt_f32_e64 s[4:5], s40, v62
	v_cndmask_b32_e64 v66, 0, v66, s[0:1]
	v_cmp_nlt_f32_e64 s[0:1], s39, v64
	v_ldexp_f32 v67, v67, v68
	v_cndmask_b32_e32 v67, 0, v67, vcc
	v_cndmask_b32_e64 v66, v76, v66, s[4:5]
	v_cndmask_b32_e64 v67, v76, v67, s[2:3]
	v_add_f32_e32 v66, 1.0, v66
	v_add_f32_e32 v67, 1.0, v67
	v_rcp_f32_e32 v66, v66
	v_rcp_f32_e32 v67, v67
	v_cmp_nlt_f32_e32 vcc, s39, v65
	v_cmp_ngt_f32_e64 s[2:3], s40, v65
	v_cmp_ngt_f32_e64 s[4:5], s40, v64
	v_pk_mul_f32 v[62:63], v[62:63], v[66:67]
	v_mul_f32_e32 v66, 0xbfb8aa3b, v64
	v_fma_f32 v67, v64, s38, -v66
	v_rndne_f32_e32 v68, v66
	v_fmac_f32_e32 v67, 0xb2a5705f, v64
	v_sub_f32_e32 v66, v66, v68
	v_add_f32_e32 v66, v66, v67
	v_mul_f32_e32 v67, 0xbfb8aa3b, v65
	v_cvt_i32_f32_e32 v68, v68
	v_exp_f32_e32 v66, v66
	v_fma_f32 v69, v65, s38, -v67
	v_rndne_f32_e32 v70, v67
	v_fmac_f32_e32 v69, 0xb2a5705f, v65
	v_sub_f32_e32 v67, v67, v70
	v_add_f32_e32 v67, v67, v69
	v_ldexp_f32 v66, v66, v68
	v_cvt_i32_f32_e32 v68, v70
	v_exp_f32_e32 v67, v67
	v_cndmask_b32_e64 v66, 0, v66, s[0:1]
	v_cndmask_b32_e64 v66, v76, v66, s[4:5]
	v_add_f32_e32 v66, 1.0, v66
	v_ldexp_f32 v67, v67, v68
	v_cndmask_b32_e32 v67, 0, v67, vcc
	v_cndmask_b32_e64 v67, v76, v67, s[2:3]
	;; [unrolled: 62-line block ×5, first 2 shown]
	v_add_f32_e32 v67, 1.0, v67
	v_rcp_f32_e32 v66, v66
	v_rcp_f32_e32 v67, v67
	v_cmp_nlt_f32_e32 vcc, s39, v35
	v_cmp_nlt_f32_e64 s[0:1], s39, v34
	v_cmp_ngt_f32_e64 s[2:3], s40, v35
	v_pk_mul_f32 v[40:41], v[40:41], v[66:67]
	v_mul_f32_e32 v66, 0xbfb8aa3b, v34
	v_fma_f32 v67, v34, s38, -v66
	v_rndne_f32_e32 v68, v66
	v_fmac_f32_e32 v67, 0xb2a5705f, v34
	v_sub_f32_e32 v66, v66, v68
	v_add_f32_e32 v66, v66, v67
	v_mul_f32_e32 v67, 0xbfb8aa3b, v35
	v_cvt_i32_f32_e32 v68, v68
	v_exp_f32_e32 v66, v66
	v_fma_f32 v69, v35, s38, -v67
	v_rndne_f32_e32 v70, v67
	v_fmac_f32_e32 v69, 0xb2a5705f, v35
	v_sub_f32_e32 v67, v67, v70
	v_add_f32_e32 v67, v67, v69
	v_ldexp_f32 v66, v66, v68
	v_cvt_i32_f32_e32 v68, v70
	v_exp_f32_e32 v67, v67
	v_cmp_ngt_f32_e64 s[4:5], s40, v34
	v_cndmask_b32_e64 v66, 0, v66, s[0:1]
	v_add_f32_e32 v36, 1.0, v36
	v_ldexp_f32 v67, v67, v68
	v_cndmask_b32_e32 v67, 0, v67, vcc
	v_add_f32_e32 v37, 1.0, v37
	v_cndmask_b32_e64 v66, v76, v66, s[4:5]
	v_cndmask_b32_e64 v67, v76, v67, s[2:3]
	v_rcp_f32_e32 v36, v36
	v_rcp_f32_e32 v37, v37
	v_add_f32_e32 v38, 1.0, v38
	v_add_f32_e32 v39, 1.0, v39
	;; [unrolled: 1-line block ×4, first 2 shown]
	v_rcp_f32_e32 v38, v38
	v_rcp_f32_e32 v39, v39
	;; [unrolled: 1-line block ×4, first 2 shown]
	v_pk_mul_f32 v[36:37], v[74:75], v[36:37]
	v_pk_mul_f32 v[38:39], v[72:73], v[38:39]
	;;#ASMSTART
	v_pk_mul_f32 v[36:37], v[36:37], v[0:1]
	;;#ASMEND
	v_pk_mul_f32 v[34:35], v[34:35], v[66:67]
	;;#ASMSTART
	v_pk_mul_f32 v[0:1], v[38:39], v[2:3]
	;;#ASMEND
	;;#ASMSTART
	v_pk_mul_f32 v[6:7], v[44:45], v[6:7]
	;;#ASMEND
	;; [unrolled: 3-line block ×14, first 2 shown]
	s_nop 0
	;;#ASMSTART
	v_pk_mul_f32 v[30:31], v[34:35], v[32:33]
	;;#ASMEND
	s_load_dword s0, s[28:29], 0xc
	v_perm_b32 v1, v1, v0, s41
	v_perm_b32 v3, v3, v2, s41
	v_perm_b32 v0, v37, v36, s41
	v_perm_b32 v2, v7, v6, s41
	s_waitcnt lgkmcnt(0)
	s_and_b32 s0, s0, 0xffff
	s_lshl_b32 s34, s0, 5
	v_lshl_add_u64 v[4:5], s[34:35], 0, v[4:5]
	v_cmp_le_i64_e32 vcc, s[6:7], v[4:5]
	v_perm_b32 v7, v9, v8, s41
	v_perm_b32 v9, v15, v14, s41
	;; [unrolled: 1-line block ×8, first 2 shown]
	s_or_b64 s[30:31], vcc, s[30:31]
	v_perm_b32 v8, v13, v12, s41
	v_perm_b32 v11, v19, v18, s41
	;; [unrolled: 1-line block ×4, first 2 shown]
	buffer_store_dwordx4 v[0:3], v77, s[8:11], 0 offen
	buffer_store_dwordx4 v[6:9], v77, s[8:11], 16 offen
	;; [unrolled: 1-line block ×4, first 2 shown]
	s_andn2_b64 exec, exec, s[30:31]
	s_cbranch_execnz .LBB103_8
.LBB103_9:
	s_endpgm
	.section	.rodata,"a",@progbits
	.p2align	6, 0x0
	.amdhsa_kernel _ZN5aiter23act_and_mul_bias_kernelItthfTnPFfRKT2_EXadL_ZNS_11silu_kernelIfEEfRKT_EELi32EEEvPT0_PS8_PKT1_PS2_il
		.amdhsa_group_segment_fixed_size 0
		.amdhsa_private_segment_fixed_size 0
		.amdhsa_kernarg_size 304
		.amdhsa_user_sgpr_count 2
		.amdhsa_user_sgpr_dispatch_ptr 0
		.amdhsa_user_sgpr_queue_ptr 0
		.amdhsa_user_sgpr_kernarg_segment_ptr 1
		.amdhsa_user_sgpr_dispatch_id 0
		.amdhsa_user_sgpr_kernarg_preload_length 0
		.amdhsa_user_sgpr_kernarg_preload_offset 0
		.amdhsa_user_sgpr_private_segment_size 0
		.amdhsa_uses_dynamic_stack 0
		.amdhsa_enable_private_segment 0
		.amdhsa_system_sgpr_workgroup_id_x 1
		.amdhsa_system_sgpr_workgroup_id_y 0
		.amdhsa_system_sgpr_workgroup_id_z 0
		.amdhsa_system_sgpr_workgroup_info 0
		.amdhsa_system_vgpr_workitem_id 0
		.amdhsa_next_free_vgpr 83
		.amdhsa_next_free_sgpr 42
		.amdhsa_accum_offset 84
		.amdhsa_reserve_vcc 1
		.amdhsa_float_round_mode_32 0
		.amdhsa_float_round_mode_16_64 0
		.amdhsa_float_denorm_mode_32 3
		.amdhsa_float_denorm_mode_16_64 3
		.amdhsa_dx10_clamp 1
		.amdhsa_ieee_mode 1
		.amdhsa_fp16_overflow 0
		.amdhsa_tg_split 0
		.amdhsa_exception_fp_ieee_invalid_op 0
		.amdhsa_exception_fp_denorm_src 0
		.amdhsa_exception_fp_ieee_div_zero 0
		.amdhsa_exception_fp_ieee_overflow 0
		.amdhsa_exception_fp_ieee_underflow 0
		.amdhsa_exception_fp_ieee_inexact 0
		.amdhsa_exception_int_div_zero 0
	.end_amdhsa_kernel
	.section	.text._ZN5aiter23act_and_mul_bias_kernelItthfTnPFfRKT2_EXadL_ZNS_11silu_kernelIfEEfRKT_EELi32EEEvPT0_PS8_PKT1_PS2_il,"axG",@progbits,_ZN5aiter23act_and_mul_bias_kernelItthfTnPFfRKT2_EXadL_ZNS_11silu_kernelIfEEfRKT_EELi32EEEvPT0_PS8_PKT1_PS2_il,comdat
.Lfunc_end103:
	.size	_ZN5aiter23act_and_mul_bias_kernelItthfTnPFfRKT2_EXadL_ZNS_11silu_kernelIfEEfRKT_EELi32EEEvPT0_PS8_PKT1_PS2_il, .Lfunc_end103-_ZN5aiter23act_and_mul_bias_kernelItthfTnPFfRKT2_EXadL_ZNS_11silu_kernelIfEEfRKT_EELi32EEEvPT0_PS8_PKT1_PS2_il
                                        ; -- End function
	.section	.AMDGPU.csdata,"",@progbits
; Kernel info:
; codeLenInByte = 4784
; NumSgprs: 48
; NumVgprs: 83
; NumAgprs: 0
; TotalNumVgprs: 83
; ScratchSize: 0
; MemoryBound: 0
; FloatMode: 240
; IeeeMode: 1
; LDSByteSize: 0 bytes/workgroup (compile time only)
; SGPRBlocks: 5
; VGPRBlocks: 10
; NumSGPRsForWavesPerEU: 48
; NumVGPRsForWavesPerEU: 83
; AccumOffset: 84
; Occupancy: 5
; WaveLimiterHint : 0
; COMPUTE_PGM_RSRC2:SCRATCH_EN: 0
; COMPUTE_PGM_RSRC2:USER_SGPR: 2
; COMPUTE_PGM_RSRC2:TRAP_HANDLER: 0
; COMPUTE_PGM_RSRC2:TGID_X_EN: 1
; COMPUTE_PGM_RSRC2:TGID_Y_EN: 0
; COMPUTE_PGM_RSRC2:TGID_Z_EN: 0
; COMPUTE_PGM_RSRC2:TIDIG_COMP_CNT: 0
; COMPUTE_PGM_RSRC3_GFX90A:ACCUM_OFFSET: 20
; COMPUTE_PGM_RSRC3_GFX90A:TG_SPLIT: 0
	.section	.text._ZN5aiter23act_and_mul_bias_kernelItthfTnPFfRKT2_EXadL_ZNS_11silu_kernelIfEEfRKT_EELi16EEEvPT0_PS8_PKT1_PS2_il,"axG",@progbits,_ZN5aiter23act_and_mul_bias_kernelItthfTnPFfRKT2_EXadL_ZNS_11silu_kernelIfEEfRKT_EELi16EEEvPT0_PS8_PKT1_PS2_il,comdat
	.protected	_ZN5aiter23act_and_mul_bias_kernelItthfTnPFfRKT2_EXadL_ZNS_11silu_kernelIfEEfRKT_EELi16EEEvPT0_PS8_PKT1_PS2_il ; -- Begin function _ZN5aiter23act_and_mul_bias_kernelItthfTnPFfRKT2_EXadL_ZNS_11silu_kernelIfEEfRKT_EELi16EEEvPT0_PS8_PKT1_PS2_il
	.globl	_ZN5aiter23act_and_mul_bias_kernelItthfTnPFfRKT2_EXadL_ZNS_11silu_kernelIfEEfRKT_EELi16EEEvPT0_PS8_PKT1_PS2_il
	.p2align	8
	.type	_ZN5aiter23act_and_mul_bias_kernelItthfTnPFfRKT2_EXadL_ZNS_11silu_kernelIfEEfRKT_EELi16EEEvPT0_PS8_PKT1_PS2_il,@function
_ZN5aiter23act_and_mul_bias_kernelItthfTnPFfRKT2_EXadL_ZNS_11silu_kernelIfEEfRKT_EELi16EEEvPT0_PS8_PKT1_PS2_il: ; @_ZN5aiter23act_and_mul_bias_kernelItthfTnPFfRKT2_EXadL_ZNS_11silu_kernelIfEEfRKT_EELi16EEEvPT0_PS8_PKT1_PS2_il
; %bb.0:
	s_load_dwordx2 s[4:5], s[0:1], 0x10
	s_load_dword s24, s[0:1], 0x20
	s_load_dwordx2 s[6:7], s[0:1], 0x28
	v_mov_b32_e32 v1, s2
	s_mov_b32 s9, 0
	s_waitcnt lgkmcnt(0)
	global_load_ubyte v1, v1, s[4:5]
	s_add_i32 s3, s24, 1
	s_load_dwordx2 s[4:5], s[0:1], 0x0
	v_mov_b64_e32 v[2:3], s[6:7]
	s_lshr_b32 s6, s3, 31
	s_ashr_i32 s25, s24, 31
	s_add_i32 s3, s3, s6
	s_mul_hi_u32 s8, s24, s2
	s_mul_i32 s7, s25, s2
	s_lshl_b32 s3, s3, 1
	s_mul_i32 s12, s24, s2
	s_add_i32 s13, s8, s7
	s_and_b32 s6, s3, -4
	s_lshl_b64 s[12:13], s[12:13], 1
	s_mov_b64 s[10:11], -1
	v_lshlrev_b32_e32 v44, 4, v0
	s_waitcnt vmcnt(0)
	v_readfirstlane_b32 s3, v1
	s_and_b32 s8, s3, 0xffff
	s_waitcnt lgkmcnt(0)
	s_add_u32 s4, s4, s12
	v_cmp_lt_i64_e32 vcc, s[8:9], v[2:3]
	s_addc_u32 s3, s5, s13
	s_and_b32 s5, s3, 0xffff
	s_cbranch_vccnz .LBB104_5
; %bb.1:
	v_cmp_gt_i32_e32 vcc, s24, v44
	s_and_saveexec_b64 s[10:11], vcc
	s_cbranch_execz .LBB104_4
; %bb.2:
	s_load_dword s3, s[0:1], 0x3c
	s_mov_b32 s13, 0
	s_mov_b32 s16, s13
	;; [unrolled: 1-line block ×3, first 2 shown]
	v_mov_b32_e32 v45, 0
	v_lshlrev_b32_e32 v6, 5, v0
	s_waitcnt lgkmcnt(0)
	s_and_b32 s3, s3, 0xffff
	s_mov_b32 s18, s13
	s_mov_b32 s19, s13
	v_mov_b64_e32 v[0:1], s[16:17]
	s_lshl_b32 s12, s3, 4
	s_lshl_b32 s3, s3, 5
	s_mov_b64 s[14:15], 0
	s_mov_b32 s7, 0x20000
	v_mov_b64_e32 v[2:3], s[18:19]
	v_mov_b64_e32 v[4:5], v[44:45]
.LBB104_3:                              ; =>This Inner Loop Header: Depth=1
	v_lshl_add_u64 v[4:5], s[12:13], 0, v[4:5]
	v_cmp_le_i64_e32 vcc, s[24:25], v[4:5]
	buffer_store_dwordx4 v[0:3], v6, s[4:7], 0 offen
	buffer_store_dwordx4 v[0:3], v6, s[4:7], 16 offen
	s_or_b64 s[14:15], vcc, s[14:15]
	v_add_u32_e32 v6, s3, v6
	s_andn2_b64 exec, exec, s[14:15]
	s_cbranch_execnz .LBB104_3
.LBB104_4:
	s_or_b64 exec, exec, s[10:11]
	s_mov_b64 s[10:11], 0
.LBB104_5:
	s_andn2_b64 vcc, exec, s[10:11]
	s_cbranch_vccnz .LBB104_9
; %bb.6:
	v_cmp_gt_i32_e32 vcc, s24, v44
	s_and_saveexec_b64 s[10:11], vcc
	s_cbranch_execz .LBB104_9
; %bb.7:
	s_load_dwordx2 s[10:11], s[0:1], 0x18
	s_load_dwordx2 s[14:15], s[0:1], 0x8
	s_mul_hi_i32 s9, s24, s8
	s_mul_i32 s8, s24, s8
	s_lshl_b64 s[8:9], s[8:9], 3
	s_waitcnt lgkmcnt(0)
	s_add_u32 s8, s10, s8
	s_addc_u32 s3, s11, s9
	s_lshl_b64 s[10:11], s[24:25], 2
	s_add_u32 s12, s8, s10
	s_addc_u32 s13, s3, s11
	s_and_b32 s9, s3, 0xffff
	s_mul_i32 s3, s2, s25
	s_mul_hi_u32 s16, s2, s24
	s_add_i32 s3, s16, s3
	s_mul_i32 s2, s2, s24
	s_lshl_b32 s10, s24, 2
	s_and_b32 s13, s13, 0xffff
	s_lshl_b64 s[2:3], s[2:3], 2
	s_add_u32 s16, s14, s2
	s_addc_u32 s14, s15, s3
	s_lshl_b64 s[2:3], s[24:25], 1
	s_add_u32 s20, s16, s2
	s_addc_u32 s2, s14, s3
	s_and_b32 s17, s14, 0xffff
	s_and_b32 s21, s2, 0xffff
	s_mov_b32 s7, 0x20000
	s_add_u32 s0, s0, 48
	s_mov_b32 s11, s7
	v_mov_b32_e32 v45, 0
	s_addc_u32 s1, s1, 0
	s_mov_b64 s[2:3], 0
	s_mov_b32 s18, s6
	s_mov_b32 s19, s7
	;; [unrolled: 1-line block ×6, first 2 shown]
	v_mov_b32_e32 v46, 0x7f800000
	s_mov_b32 s31, 0x7060302
	s_mov_b32 s22, s6
	;; [unrolled: 1-line block ×3, first 2 shown]
.LBB104_8:                              ; =>This Inner Loop Header: Depth=1
	v_lshlrev_b32_e32 v47, 1, v44
	buffer_load_dwordx4 v[24:27], v47, s[16:19], 0 offen
	buffer_load_dwordx4 v[4:7], v47, s[16:19], 16 offen
	buffer_load_dwordx4 v[32:35], v47, s[20:23], 0 offen
	buffer_load_dwordx4 v[8:11], v47, s[20:23], 16 offen
	v_lshlrev_b32_e32 v52, 2, v44
	s_mov_b32 s14, s10
	s_mov_b32 s15, s11
	buffer_load_dwordx4 v[40:43], v52, s[8:11], 0 offen
	buffer_load_dwordx4 v[28:31], v52, s[8:11], 16 offen
	;; [unrolled: 1-line block ×8, first 2 shown]
	s_waitcnt vmcnt(9)
	v_and_b32_e32 v53, 0xffff0000, v32
	v_lshlrev_b32_e32 v52, 16, v32
	s_waitcnt vmcnt(3)
	v_pk_add_f32 v[48:49], v[48:49], v[52:53]
	v_and_b32_e32 v53, 0xffff0000, v24
	v_lshlrev_b32_e32 v52, 16, v24
	v_pk_add_f32 v[40:41], v[40:41], v[52:53]
	s_nop 0
	v_mul_f32_e32 v24, 0xbfb8aa3b, v40
	v_fma_f32 v32, v40, s28, -v24
	v_rndne_f32_e32 v52, v24
	v_fmac_f32_e32 v32, 0xb2a5705f, v40
	v_sub_f32_e32 v24, v24, v52
	v_add_f32_e32 v24, v24, v32
	v_exp_f32_e32 v24, v24
	v_cvt_i32_f32_e32 v32, v52
	v_cmp_nlt_f32_e32 vcc, s29, v40
	v_ldexp_f32 v24, v24, v32
	s_nop 0
	v_cndmask_b32_e32 v24, 0, v24, vcc
	v_cmp_ngt_f32_e32 vcc, s30, v40
	s_nop 1
	v_cndmask_b32_e32 v24, v46, v24, vcc
	v_add_f32_e32 v24, 1.0, v24
	v_rcp_f32_e32 v52, v24
	v_mul_f32_e32 v24, 0xbfb8aa3b, v41
	v_fma_f32 v32, v41, s28, -v24
	v_rndne_f32_e32 v53, v24
	v_fmac_f32_e32 v32, 0xb2a5705f, v41
	v_sub_f32_e32 v24, v24, v53
	v_add_f32_e32 v24, v24, v32
	v_exp_f32_e32 v24, v24
	v_cvt_i32_f32_e32 v32, v53
	v_cmp_nlt_f32_e32 vcc, s29, v41
	v_ldexp_f32 v24, v24, v32
	s_nop 0
	v_cndmask_b32_e32 v24, 0, v24, vcc
	v_cmp_ngt_f32_e32 vcc, s30, v41
	s_nop 1
	v_cndmask_b32_e32 v24, v46, v24, vcc
	v_add_f32_e32 v24, 1.0, v24
	v_rcp_f32_e32 v53, v24
	s_nop 0
	v_pk_mul_f32 v[40:41], v[40:41], v[52:53]
	s_nop 0
	;;#ASMSTART
	v_pk_mul_f32 v[40:41], v[40:41], v[48:49]
	;;#ASMEND
	v_and_b32_e32 v49, 0xffff0000, v33
	v_lshlrev_b32_e32 v48, 16, v33
	v_pk_add_f32 v[32:33], v[50:51], v[48:49]
	v_and_b32_e32 v49, 0xffff0000, v25
	v_lshlrev_b32_e32 v48, 16, v25
	v_pk_add_f32 v[24:25], v[42:43], v[48:49]
	s_nop 0
	v_mul_f32_e32 v42, 0xbfb8aa3b, v24
	v_fma_f32 v43, v24, s28, -v42
	v_rndne_f32_e32 v48, v42
	v_fmac_f32_e32 v43, 0xb2a5705f, v24
	v_sub_f32_e32 v42, v42, v48
	v_add_f32_e32 v42, v42, v43
	v_exp_f32_e32 v42, v42
	v_cvt_i32_f32_e32 v43, v48
	v_cmp_nlt_f32_e32 vcc, s29, v24
	v_ldexp_f32 v42, v42, v43
	v_mul_f32_e32 v43, 0xbfb8aa3b, v25
	v_fma_f32 v48, v25, s28, -v43
	v_rndne_f32_e32 v49, v43
	v_fmac_f32_e32 v48, 0xb2a5705f, v25
	v_sub_f32_e32 v43, v43, v49
	v_add_f32_e32 v43, v43, v48
	v_exp_f32_e32 v43, v43
	v_cvt_i32_f32_e32 v48, v49
	v_cndmask_b32_e32 v42, 0, v42, vcc
	v_cmp_ngt_f32_e32 vcc, s30, v24
	v_ldexp_f32 v43, v43, v48
	s_nop 0
	v_cndmask_b32_e32 v42, v46, v42, vcc
	v_cmp_nlt_f32_e32 vcc, s29, v25
	v_add_f32_e32 v42, 1.0, v42
	v_rcp_f32_e32 v42, v42
	v_cndmask_b32_e32 v43, 0, v43, vcc
	v_cmp_ngt_f32_e32 vcc, s30, v25
	s_nop 1
	v_cndmask_b32_e32 v43, v46, v43, vcc
	v_add_f32_e32 v43, 1.0, v43
	v_rcp_f32_e32 v43, v43
	s_nop 0
	v_pk_mul_f32 v[24:25], v[24:25], v[42:43]
	s_nop 0
	;;#ASMSTART
	v_pk_mul_f32 v[24:25], v[24:25], v[32:33]
	;;#ASMEND
	v_and_b32_e32 v33, 0xffff0000, v34
	v_lshlrev_b32_e32 v32, 16, v34
	s_waitcnt vmcnt(2)
	v_pk_add_f32 v[32:33], v[36:37], v[32:33]
	v_and_b32_e32 v37, 0xffff0000, v26
	v_lshlrev_b32_e32 v36, 16, v26
	v_pk_add_f32 v[28:29], v[28:29], v[36:37]
	s_nop 0
	v_mul_f32_e32 v26, 0xbfb8aa3b, v28
	v_fma_f32 v34, v28, s28, -v26
	v_rndne_f32_e32 v36, v26
	v_fmac_f32_e32 v34, 0xb2a5705f, v28
	v_sub_f32_e32 v26, v26, v36
	v_add_f32_e32 v26, v26, v34
	v_exp_f32_e32 v26, v26
	v_cvt_i32_f32_e32 v34, v36
	v_cmp_nlt_f32_e32 vcc, s29, v28
	v_ldexp_f32 v26, v26, v34
	s_nop 0
	v_cndmask_b32_e32 v26, 0, v26, vcc
	v_cmp_ngt_f32_e32 vcc, s30, v28
	s_nop 1
	v_cndmask_b32_e32 v26, v46, v26, vcc
	v_add_f32_e32 v26, 1.0, v26
	v_rcp_f32_e32 v36, v26
	v_mul_f32_e32 v26, 0xbfb8aa3b, v29
	v_fma_f32 v34, v29, s28, -v26
	v_rndne_f32_e32 v37, v26
	v_fmac_f32_e32 v34, 0xb2a5705f, v29
	v_sub_f32_e32 v26, v26, v37
	v_add_f32_e32 v26, v26, v34
	v_exp_f32_e32 v26, v26
	v_cvt_i32_f32_e32 v34, v37
	v_cmp_nlt_f32_e32 vcc, s29, v29
	v_ldexp_f32 v26, v26, v34
	s_nop 0
	v_cndmask_b32_e32 v26, 0, v26, vcc
	v_cmp_ngt_f32_e32 vcc, s30, v29
	v_lshlrev_b32_e32 v34, 16, v27
	s_nop 0
	v_cndmask_b32_e32 v26, v46, v26, vcc
	v_add_f32_e32 v26, 1.0, v26
	v_rcp_f32_e32 v37, v26
	s_nop 0
	v_pk_mul_f32 v[28:29], v[28:29], v[36:37]
	s_nop 0
	;;#ASMSTART
	v_pk_mul_f32 v[28:29], v[28:29], v[32:33]
	;;#ASMEND
	v_and_b32_e32 v33, 0xffff0000, v35
	v_lshlrev_b32_e32 v32, 16, v35
	v_and_b32_e32 v35, 0xffff0000, v27
	v_pk_add_f32 v[26:27], v[30:31], v[34:35]
	v_pk_add_f32 v[32:33], v[38:39], v[32:33]
	v_mul_f32_e32 v30, 0xbfb8aa3b, v26
	v_fma_f32 v31, v26, s28, -v30
	v_rndne_f32_e32 v34, v30
	v_fmac_f32_e32 v31, 0xb2a5705f, v26
	v_sub_f32_e32 v30, v30, v34
	v_add_f32_e32 v30, v30, v31
	v_exp_f32_e32 v30, v30
	v_cvt_i32_f32_e32 v31, v34
	v_cmp_nlt_f32_e32 vcc, s29, v26
	v_ldexp_f32 v30, v30, v31
	v_mul_f32_e32 v31, 0xbfb8aa3b, v27
	v_fma_f32 v34, v27, s28, -v31
	v_rndne_f32_e32 v35, v31
	v_fmac_f32_e32 v34, 0xb2a5705f, v27
	v_sub_f32_e32 v31, v31, v35
	v_add_f32_e32 v31, v31, v34
	v_exp_f32_e32 v31, v31
	v_cvt_i32_f32_e32 v34, v35
	v_cndmask_b32_e32 v30, 0, v30, vcc
	v_cmp_ngt_f32_e32 vcc, s30, v26
	v_ldexp_f32 v31, v31, v34
	s_nop 0
	v_cndmask_b32_e32 v30, v46, v30, vcc
	v_cmp_nlt_f32_e32 vcc, s29, v27
	v_add_f32_e32 v30, 1.0, v30
	v_rcp_f32_e32 v30, v30
	v_cndmask_b32_e32 v31, 0, v31, vcc
	v_cmp_ngt_f32_e32 vcc, s30, v27
	s_nop 1
	v_cndmask_b32_e32 v31, v46, v31, vcc
	v_add_f32_e32 v31, 1.0, v31
	v_rcp_f32_e32 v31, v31
	s_nop 0
	v_pk_mul_f32 v[26:27], v[26:27], v[30:31]
	v_and_b32_e32 v31, 0xffff0000, v8
	v_lshlrev_b32_e32 v30, 16, v8
	s_waitcnt vmcnt(1)
	v_pk_add_f32 v[20:21], v[20:21], v[30:31]
	v_and_b32_e32 v31, 0xffff0000, v4
	v_lshlrev_b32_e32 v30, 16, v4
	v_pk_add_f32 v[16:17], v[16:17], v[30:31]
	;;#ASMSTART
	v_pk_mul_f32 v[26:27], v[26:27], v[32:33]
	;;#ASMEND
	s_nop 0
	v_mul_f32_e32 v4, 0xbfb8aa3b, v16
	v_fma_f32 v8, v16, s28, -v4
	v_rndne_f32_e32 v30, v4
	v_fmac_f32_e32 v8, 0xb2a5705f, v16
	v_sub_f32_e32 v4, v4, v30
	v_add_f32_e32 v4, v4, v8
	v_exp_f32_e32 v4, v4
	v_cvt_i32_f32_e32 v8, v30
	v_cmp_nlt_f32_e32 vcc, s29, v16
	v_ldexp_f32 v4, v4, v8
	s_nop 0
	v_cndmask_b32_e32 v4, 0, v4, vcc
	v_cmp_ngt_f32_e32 vcc, s30, v16
	s_nop 1
	v_cndmask_b32_e32 v4, v46, v4, vcc
	v_add_f32_e32 v4, 1.0, v4
	v_rcp_f32_e32 v30, v4
	v_mul_f32_e32 v4, 0xbfb8aa3b, v17
	v_fma_f32 v8, v17, s28, -v4
	v_rndne_f32_e32 v31, v4
	v_fmac_f32_e32 v8, 0xb2a5705f, v17
	v_sub_f32_e32 v4, v4, v31
	v_add_f32_e32 v4, v4, v8
	v_exp_f32_e32 v4, v4
	v_cvt_i32_f32_e32 v8, v31
	v_cmp_nlt_f32_e32 vcc, s29, v17
	v_ldexp_f32 v4, v4, v8
	s_nop 0
	v_cndmask_b32_e32 v4, 0, v4, vcc
	v_cmp_ngt_f32_e32 vcc, s30, v17
	s_nop 1
	v_cndmask_b32_e32 v4, v46, v4, vcc
	v_add_f32_e32 v4, 1.0, v4
	v_rcp_f32_e32 v31, v4
	s_nop 0
	v_pk_mul_f32 v[16:17], v[16:17], v[30:31]
	s_nop 0
	;;#ASMSTART
	v_pk_mul_f32 v[16:17], v[16:17], v[20:21]
	;;#ASMEND
	v_and_b32_e32 v21, 0xffff0000, v9
	v_lshlrev_b32_e32 v20, 16, v9
	v_pk_add_f32 v[8:9], v[22:23], v[20:21]
	v_and_b32_e32 v21, 0xffff0000, v5
	v_lshlrev_b32_e32 v20, 16, v5
	v_pk_add_f32 v[4:5], v[18:19], v[20:21]
	s_nop 0
	v_mul_f32_e32 v18, 0xbfb8aa3b, v4
	v_fma_f32 v19, v4, s28, -v18
	v_rndne_f32_e32 v20, v18
	v_fmac_f32_e32 v19, 0xb2a5705f, v4
	v_sub_f32_e32 v18, v18, v20
	v_add_f32_e32 v18, v18, v19
	v_exp_f32_e32 v18, v18
	v_cvt_i32_f32_e32 v19, v20
	v_cmp_nlt_f32_e32 vcc, s29, v4
	v_ldexp_f32 v18, v18, v19
	v_mul_f32_e32 v19, 0xbfb8aa3b, v5
	v_fma_f32 v20, v5, s28, -v19
	v_rndne_f32_e32 v21, v19
	v_fmac_f32_e32 v20, 0xb2a5705f, v5
	v_sub_f32_e32 v19, v19, v21
	v_add_f32_e32 v19, v19, v20
	v_exp_f32_e32 v19, v19
	v_cvt_i32_f32_e32 v20, v21
	v_cndmask_b32_e32 v18, 0, v18, vcc
	v_cmp_ngt_f32_e32 vcc, s30, v4
	v_ldexp_f32 v19, v19, v20
	s_nop 0
	v_cndmask_b32_e32 v18, v46, v18, vcc
	v_cmp_nlt_f32_e32 vcc, s29, v5
	v_add_f32_e32 v18, 1.0, v18
	v_rcp_f32_e32 v18, v18
	v_cndmask_b32_e32 v19, 0, v19, vcc
	v_cmp_ngt_f32_e32 vcc, s30, v5
	s_nop 1
	v_cndmask_b32_e32 v19, v46, v19, vcc
	v_add_f32_e32 v19, 1.0, v19
	v_rcp_f32_e32 v19, v19
	s_nop 0
	v_pk_mul_f32 v[4:5], v[4:5], v[18:19]
	s_nop 0
	;;#ASMSTART
	v_pk_mul_f32 v[4:5], v[4:5], v[8:9]
	;;#ASMEND
	v_and_b32_e32 v9, 0xffff0000, v10
	v_lshlrev_b32_e32 v8, 16, v10
	s_waitcnt vmcnt(0)
	v_pk_add_f32 v[8:9], v[12:13], v[8:9]
	v_and_b32_e32 v13, 0xffff0000, v6
	v_lshlrev_b32_e32 v12, 16, v6
	v_pk_add_f32 v[0:1], v[0:1], v[12:13]
	s_nop 0
	v_mul_f32_e32 v6, 0xbfb8aa3b, v0
	v_fma_f32 v10, v0, s28, -v6
	v_rndne_f32_e32 v12, v6
	v_fmac_f32_e32 v10, 0xb2a5705f, v0
	v_sub_f32_e32 v6, v6, v12
	v_add_f32_e32 v6, v6, v10
	v_exp_f32_e32 v6, v6
	v_cvt_i32_f32_e32 v10, v12
	v_cmp_nlt_f32_e32 vcc, s29, v0
	v_ldexp_f32 v6, v6, v10
	s_nop 0
	v_cndmask_b32_e32 v6, 0, v6, vcc
	v_cmp_ngt_f32_e32 vcc, s30, v0
	s_nop 1
	v_cndmask_b32_e32 v6, v46, v6, vcc
	v_add_f32_e32 v6, 1.0, v6
	v_rcp_f32_e32 v12, v6
	v_mul_f32_e32 v6, 0xbfb8aa3b, v1
	v_fma_f32 v10, v1, s28, -v6
	v_rndne_f32_e32 v13, v6
	v_fmac_f32_e32 v10, 0xb2a5705f, v1
	v_sub_f32_e32 v6, v6, v13
	v_add_f32_e32 v6, v6, v10
	v_exp_f32_e32 v6, v6
	v_cvt_i32_f32_e32 v10, v13
	v_cmp_nlt_f32_e32 vcc, s29, v1
	v_ldexp_f32 v6, v6, v10
	s_nop 0
	v_cndmask_b32_e32 v6, 0, v6, vcc
	v_cmp_ngt_f32_e32 vcc, s30, v1
	v_lshlrev_b32_e32 v10, 16, v7
	s_nop 0
	v_cndmask_b32_e32 v6, v46, v6, vcc
	v_add_f32_e32 v6, 1.0, v6
	v_rcp_f32_e32 v13, v6
	s_nop 0
	v_pk_mul_f32 v[0:1], v[0:1], v[12:13]
	s_nop 0
	;;#ASMSTART
	v_pk_mul_f32 v[0:1], v[0:1], v[8:9]
	;;#ASMEND
	v_and_b32_e32 v9, 0xffff0000, v11
	v_lshlrev_b32_e32 v8, 16, v11
	v_and_b32_e32 v11, 0xffff0000, v7
	v_pk_add_f32 v[2:3], v[2:3], v[10:11]
	v_pk_add_f32 v[8:9], v[14:15], v[8:9]
	v_mul_f32_e32 v6, 0xbfb8aa3b, v2
	v_fma_f32 v7, v2, s28, -v6
	v_rndne_f32_e32 v10, v6
	v_fmac_f32_e32 v7, 0xb2a5705f, v2
	v_sub_f32_e32 v6, v6, v10
	v_add_f32_e32 v6, v6, v7
	v_exp_f32_e32 v6, v6
	v_cvt_i32_f32_e32 v7, v10
	v_cmp_nlt_f32_e32 vcc, s29, v2
	v_ldexp_f32 v6, v6, v7
	v_mul_f32_e32 v7, 0xbfb8aa3b, v3
	v_fma_f32 v10, v3, s28, -v7
	v_rndne_f32_e32 v11, v7
	v_fmac_f32_e32 v10, 0xb2a5705f, v3
	v_sub_f32_e32 v7, v7, v11
	v_add_f32_e32 v7, v7, v10
	v_exp_f32_e32 v7, v7
	v_cvt_i32_f32_e32 v10, v11
	v_cndmask_b32_e32 v6, 0, v6, vcc
	v_cmp_ngt_f32_e32 vcc, s30, v2
	v_ldexp_f32 v7, v7, v10
	s_nop 0
	v_cndmask_b32_e32 v6, v46, v6, vcc
	v_cmp_nlt_f32_e32 vcc, s29, v3
	v_add_f32_e32 v6, 1.0, v6
	v_rcp_f32_e32 v6, v6
	v_cndmask_b32_e32 v7, 0, v7, vcc
	v_cmp_ngt_f32_e32 vcc, s30, v3
	s_nop 1
	v_cndmask_b32_e32 v7, v46, v7, vcc
	v_add_f32_e32 v7, 1.0, v7
	v_rcp_f32_e32 v7, v7
	s_nop 0
	v_pk_mul_f32 v[2:3], v[2:3], v[6:7]
	s_nop 0
	;;#ASMSTART
	v_pk_mul_f32 v[10:11], v[2:3], v[8:9]
	;;#ASMEND
	s_load_dword s14, s[0:1], 0xc
	v_perm_b32 v7, v25, v24, s31
	v_perm_b32 v9, v27, v26, s31
	;; [unrolled: 1-line block ×4, first 2 shown]
	s_waitcnt lgkmcnt(0)
	s_and_b32 s14, s14, 0xffff
	s_lshl_b32 s26, s14, 4
	v_lshl_add_u64 v[44:45], s[26:27], 0, v[44:45]
	v_cmp_le_i64_e32 vcc, s[24:25], v[44:45]
	v_perm_b32 v3, v5, v4, s31
	v_perm_b32 v5, v11, v10, s31
	;; [unrolled: 1-line block ×4, first 2 shown]
	s_or_b64 s[2:3], vcc, s[2:3]
	buffer_store_dwordx4 v[6:9], v47, s[4:7], 0 offen
	buffer_store_dwordx4 v[2:5], v47, s[4:7], 16 offen
	s_andn2_b64 exec, exec, s[2:3]
	s_cbranch_execnz .LBB104_8
.LBB104_9:
	s_endpgm
	.section	.rodata,"a",@progbits
	.p2align	6, 0x0
	.amdhsa_kernel _ZN5aiter23act_and_mul_bias_kernelItthfTnPFfRKT2_EXadL_ZNS_11silu_kernelIfEEfRKT_EELi16EEEvPT0_PS8_PKT1_PS2_il
		.amdhsa_group_segment_fixed_size 0
		.amdhsa_private_segment_fixed_size 0
		.amdhsa_kernarg_size 304
		.amdhsa_user_sgpr_count 2
		.amdhsa_user_sgpr_dispatch_ptr 0
		.amdhsa_user_sgpr_queue_ptr 0
		.amdhsa_user_sgpr_kernarg_segment_ptr 1
		.amdhsa_user_sgpr_dispatch_id 0
		.amdhsa_user_sgpr_kernarg_preload_length 0
		.amdhsa_user_sgpr_kernarg_preload_offset 0
		.amdhsa_user_sgpr_private_segment_size 0
		.amdhsa_uses_dynamic_stack 0
		.amdhsa_enable_private_segment 0
		.amdhsa_system_sgpr_workgroup_id_x 1
		.amdhsa_system_sgpr_workgroup_id_y 0
		.amdhsa_system_sgpr_workgroup_id_z 0
		.amdhsa_system_sgpr_workgroup_info 0
		.amdhsa_system_vgpr_workitem_id 0
		.amdhsa_next_free_vgpr 54
		.amdhsa_next_free_sgpr 32
		.amdhsa_accum_offset 56
		.amdhsa_reserve_vcc 1
		.amdhsa_float_round_mode_32 0
		.amdhsa_float_round_mode_16_64 0
		.amdhsa_float_denorm_mode_32 3
		.amdhsa_float_denorm_mode_16_64 3
		.amdhsa_dx10_clamp 1
		.amdhsa_ieee_mode 1
		.amdhsa_fp16_overflow 0
		.amdhsa_tg_split 0
		.amdhsa_exception_fp_ieee_invalid_op 0
		.amdhsa_exception_fp_denorm_src 0
		.amdhsa_exception_fp_ieee_div_zero 0
		.amdhsa_exception_fp_ieee_overflow 0
		.amdhsa_exception_fp_ieee_underflow 0
		.amdhsa_exception_fp_ieee_inexact 0
		.amdhsa_exception_int_div_zero 0
	.end_amdhsa_kernel
	.section	.text._ZN5aiter23act_and_mul_bias_kernelItthfTnPFfRKT2_EXadL_ZNS_11silu_kernelIfEEfRKT_EELi16EEEvPT0_PS8_PKT1_PS2_il,"axG",@progbits,_ZN5aiter23act_and_mul_bias_kernelItthfTnPFfRKT2_EXadL_ZNS_11silu_kernelIfEEfRKT_EELi16EEEvPT0_PS8_PKT1_PS2_il,comdat
.Lfunc_end104:
	.size	_ZN5aiter23act_and_mul_bias_kernelItthfTnPFfRKT2_EXadL_ZNS_11silu_kernelIfEEfRKT_EELi16EEEvPT0_PS8_PKT1_PS2_il, .Lfunc_end104-_ZN5aiter23act_and_mul_bias_kernelItthfTnPFfRKT2_EXadL_ZNS_11silu_kernelIfEEfRKT_EELi16EEEvPT0_PS8_PKT1_PS2_il
                                        ; -- End function
	.section	.AMDGPU.csdata,"",@progbits
; Kernel info:
; codeLenInByte = 2640
; NumSgprs: 38
; NumVgprs: 54
; NumAgprs: 0
; TotalNumVgprs: 54
; ScratchSize: 0
; MemoryBound: 0
; FloatMode: 240
; IeeeMode: 1
; LDSByteSize: 0 bytes/workgroup (compile time only)
; SGPRBlocks: 4
; VGPRBlocks: 6
; NumSGPRsForWavesPerEU: 38
; NumVGPRsForWavesPerEU: 54
; AccumOffset: 56
; Occupancy: 8
; WaveLimiterHint : 0
; COMPUTE_PGM_RSRC2:SCRATCH_EN: 0
; COMPUTE_PGM_RSRC2:USER_SGPR: 2
; COMPUTE_PGM_RSRC2:TRAP_HANDLER: 0
; COMPUTE_PGM_RSRC2:TGID_X_EN: 1
; COMPUTE_PGM_RSRC2:TGID_Y_EN: 0
; COMPUTE_PGM_RSRC2:TGID_Z_EN: 0
; COMPUTE_PGM_RSRC2:TIDIG_COMP_CNT: 0
; COMPUTE_PGM_RSRC3_GFX90A:ACCUM_OFFSET: 13
; COMPUTE_PGM_RSRC3_GFX90A:TG_SPLIT: 0
	.section	.text._ZN5aiter23act_and_mul_bias_kernelItthfTnPFfRKT2_EXadL_ZNS_11silu_kernelIfEEfRKT_EELi8EEEvPT0_PS8_PKT1_PS2_il,"axG",@progbits,_ZN5aiter23act_and_mul_bias_kernelItthfTnPFfRKT2_EXadL_ZNS_11silu_kernelIfEEfRKT_EELi8EEEvPT0_PS8_PKT1_PS2_il,comdat
	.protected	_ZN5aiter23act_and_mul_bias_kernelItthfTnPFfRKT2_EXadL_ZNS_11silu_kernelIfEEfRKT_EELi8EEEvPT0_PS8_PKT1_PS2_il ; -- Begin function _ZN5aiter23act_and_mul_bias_kernelItthfTnPFfRKT2_EXadL_ZNS_11silu_kernelIfEEfRKT_EELi8EEEvPT0_PS8_PKT1_PS2_il
	.globl	_ZN5aiter23act_and_mul_bias_kernelItthfTnPFfRKT2_EXadL_ZNS_11silu_kernelIfEEfRKT_EELi8EEEvPT0_PS8_PKT1_PS2_il
	.p2align	8
	.type	_ZN5aiter23act_and_mul_bias_kernelItthfTnPFfRKT2_EXadL_ZNS_11silu_kernelIfEEfRKT_EELi8EEEvPT0_PS8_PKT1_PS2_il,@function
_ZN5aiter23act_and_mul_bias_kernelItthfTnPFfRKT2_EXadL_ZNS_11silu_kernelIfEEfRKT_EELi8EEEvPT0_PS8_PKT1_PS2_il: ; @_ZN5aiter23act_and_mul_bias_kernelItthfTnPFfRKT2_EXadL_ZNS_11silu_kernelIfEEfRKT_EELi8EEEvPT0_PS8_PKT1_PS2_il
; %bb.0:
	s_load_dwordx2 s[4:5], s[0:1], 0x10
	s_load_dword s14, s[0:1], 0x20
	s_load_dwordx2 s[8:9], s[0:1], 0x28
	v_mov_b32_e32 v1, s2
	s_load_dwordx2 s[10:11], s[0:1], 0x0
	s_waitcnt lgkmcnt(0)
	global_load_ubyte v1, v1, s[4:5]
	s_add_i32 s3, s14, 1
	v_mov_b64_e32 v[2:3], s[8:9]
	s_lshr_b32 s8, s3, 31
	s_ashr_i32 s15, s14, 31
	s_add_i32 s3, s3, s8
	s_mul_hi_u32 s4, s14, s2
	s_mul_i32 s9, s15, s2
	s_lshl_b32 s3, s3, 1
	s_mul_i32 s12, s14, s2
	s_add_i32 s13, s4, s9
	s_and_b32 s18, s3, -4
	s_lshl_b64 s[8:9], s[12:13], 1
	s_mov_b32 s5, 0
	s_mov_b64 s[6:7], -1
	v_lshlrev_b32_e32 v24, 3, v0
	s_waitcnt vmcnt(0)
	v_readfirstlane_b32 s3, v1
	s_and_b32 s4, s3, 0xffff
	s_add_u32 s16, s10, s8
	v_cmp_lt_i64_e32 vcc, s[4:5], v[2:3]
	s_addc_u32 s3, s11, s9
	s_and_b32 s17, s3, 0xffff
	s_cbranch_vccnz .LBB105_5
; %bb.1:
	v_cmp_gt_i32_e32 vcc, s14, v24
	s_and_saveexec_b64 s[6:7], vcc
	s_cbranch_execz .LBB105_4
; %bb.2:
	s_load_dword s3, s[0:1], 0x3c
	v_mov_b32_e32 v25, 0
	s_mov_b32 s9, 0
	v_lshlrev_b32_e32 v6, 4, v0
	s_mov_b64 s[10:11], 0
	s_waitcnt lgkmcnt(0)
	s_and_b32 s3, s3, 0xffff
	s_lshl_b32 s8, s3, 3
	s_lshl_b32 s3, s3, 4
	s_mov_b32 s19, 0x20000
	v_mov_b32_e32 v0, v25
	v_mov_b32_e32 v1, v25
	;; [unrolled: 1-line block ×4, first 2 shown]
	v_mov_b64_e32 v[4:5], v[24:25]
.LBB105_3:                              ; =>This Inner Loop Header: Depth=1
	v_lshl_add_u64 v[4:5], s[8:9], 0, v[4:5]
	v_cmp_le_i64_e32 vcc, s[14:15], v[4:5]
	buffer_store_dwordx4 v[0:3], v6, s[16:19], 0 offen
	s_or_b64 s[10:11], vcc, s[10:11]
	v_add_u32_e32 v6, s3, v6
	s_andn2_b64 exec, exec, s[10:11]
	s_cbranch_execnz .LBB105_3
.LBB105_4:
	s_or_b64 exec, exec, s[6:7]
	s_mov_b64 s[6:7], 0
.LBB105_5:
	s_andn2_b64 vcc, exec, s[6:7]
	s_cbranch_vccnz .LBB105_9
; %bb.6:
	v_cmp_gt_i32_e32 vcc, s14, v24
	s_and_saveexec_b64 s[6:7], vcc
	s_cbranch_execz .LBB105_9
; %bb.7:
	s_load_dwordx2 s[6:7], s[0:1], 0x18
	s_load_dwordx2 s[8:9], s[0:1], 0x8
	s_mul_hi_i32 s5, s14, s4
	s_mul_i32 s4, s14, s4
	s_lshl_b64 s[4:5], s[4:5], 3
	s_waitcnt lgkmcnt(0)
	s_add_u32 s20, s6, s4
	s_addc_u32 s3, s7, s5
	s_lshl_b64 s[4:5], s[14:15], 2
	s_add_u32 s24, s20, s4
	s_addc_u32 s4, s3, s5
	s_and_b32 s21, s3, 0xffff
	s_and_b32 s25, s4, 0xffff
	s_mul_i32 s3, s2, s15
	s_mul_hi_u32 s4, s2, s14
	s_add_i32 s3, s4, s3
	s_mul_i32 s2, s2, s14
	s_lshl_b32 s22, s14, 2
	s_lshl_b64 s[2:3], s[2:3], 2
	s_add_u32 s28, s8, s2
	s_addc_u32 s4, s9, s3
	s_lshl_b64 s[2:3], s[14:15], 1
	s_add_u32 s36, s28, s2
	s_addc_u32 s2, s4, s3
	s_and_b32 s29, s4, 0xffff
	s_and_b32 s37, s2, 0xffff
	s_mov_b32 s19, 0x20000
	s_add_u32 s34, s0, 48
	s_mov_b32 s23, s19
	v_mov_b32_e32 v25, 0
	s_addc_u32 s35, s1, 0
	s_mov_b64 s[40:41], 0
	s_mov_b32 s30, s18
	s_mov_b32 s31, s19
	;; [unrolled: 1-line block ×6, first 2 shown]
	v_mov_b32_e32 v30, 0x7f800000
	s_mov_b32 s46, 0x7060302
	s_mov_b32 s38, s18
	;; [unrolled: 1-line block ×3, first 2 shown]
.LBB105_8:                              ; =>This Inner Loop Header: Depth=1
	v_lshlrev_b32_e32 v31, 1, v24
	v_lshlrev_b32_e32 v26, 2, v24
	s_mov_b32 s26, s22
	s_mov_b32 s27, s23
	buffer_load_dwordx4 v[20:23], v31, s[36:39], 0 offen
	buffer_load_dwordx4 v[16:19], v31, s[28:31], 0 offen
	;; [unrolled: 1-line block ×6, first 2 shown]
	s_waitcnt vmcnt(5)
	v_and_b32_e32 v35, 0xffff0000, v22
	v_lshlrev_b32_e32 v34, 16, v22
	v_and_b32_e32 v39, 0xffff0000, v23
	v_lshlrev_b32_e32 v38, 16, v23
	s_waitcnt vmcnt(4)
	v_and_b32_e32 v23, 0xffff0000, v19
	v_lshlrev_b32_e32 v22, 16, v19
	v_and_b32_e32 v27, 0xffff0000, v20
	v_lshlrev_b32_e32 v26, 16, v20
	;; [unrolled: 2-line block ×6, first 2 shown]
	s_waitcnt vmcnt(0)
	v_pk_add_f32 v[2:3], v[2:3], v[22:23]
	v_pk_add_f32 v[16:17], v[4:5], v[28:29]
	;; [unrolled: 1-line block ×6, first 2 shown]
	v_mul_f32_e32 v22, 0xbfb8aa3b, v2
	v_mul_f32_e32 v23, 0xbfb8aa3b, v3
	v_pk_add_f32 v[0:1], v[14:15], v[38:39]
	v_mul_f32_e32 v14, 0xbfb8aa3b, v16
	v_mul_f32_e32 v15, 0xbfb8aa3b, v17
	v_mul_f32_e32 v18, 0xbfb8aa3b, v10
	v_mul_f32_e32 v19, 0xbfb8aa3b, v11
	v_mul_f32_e32 v20, 0xbfb8aa3b, v12
	v_mul_f32_e32 v21, 0xbfb8aa3b, v13
	v_fma_f32 v40, v2, s33, -v22
	v_rndne_f32_e32 v41, v22
	v_fma_f32 v42, v3, s33, -v23
	v_rndne_f32_e32 v43, v23
	v_pk_add_f32 v[8:9], v[8:9], v[26:27]
	v_fma_f32 v26, v16, s33, -v14
	v_rndne_f32_e32 v27, v14
	v_fma_f32 v28, v17, s33, -v15
	v_rndne_f32_e32 v29, v15
	;; [unrolled: 2-line block ×6, first 2 shown]
	v_fmac_f32_e32 v40, 0xb2a5705f, v2
	v_sub_f32_e32 v22, v22, v41
	v_fmac_f32_e32 v42, 0xb2a5705f, v3
	v_sub_f32_e32 v23, v23, v43
	;; [unrolled: 2-line block ×8, first 2 shown]
	v_add_f32_e32 v22, v22, v40
	v_add_f32_e32 v23, v23, v42
	v_cvt_i32_f32_e32 v41, v41
	v_cvt_i32_f32_e32 v43, v43
	v_add_f32_e32 v14, v14, v26
	v_add_f32_e32 v15, v15, v28
	;; [unrolled: 1-line block ×6, first 2 shown]
	v_exp_f32_e32 v22, v22
	v_exp_f32_e32 v23, v23
	v_cvt_i32_f32_e32 v27, v27
	v_cvt_i32_f32_e32 v29, v29
	;; [unrolled: 1-line block ×6, first 2 shown]
	v_exp_f32_e32 v14, v14
	v_exp_f32_e32 v15, v15
	;; [unrolled: 1-line block ×6, first 2 shown]
	v_ldexp_f32 v22, v22, v41
	v_cmp_nlt_f32_e64 s[8:9], s44, v2
	v_ldexp_f32 v23, v23, v43
	v_cmp_nlt_f32_e64 s[10:11], s44, v3
	v_ldexp_f32 v14, v14, v27
	v_ldexp_f32 v15, v15, v29
	v_cmp_nlt_f32_e32 vcc, s44, v17
	v_ldexp_f32 v18, v18, v33
	v_cmp_nlt_f32_e64 s[0:1], s44, v10
	v_ldexp_f32 v19, v19, v35
	v_cmp_nlt_f32_e64 s[2:3], s44, v11
	;; [unrolled: 2-line block ×4, first 2 shown]
	v_cmp_nlt_f32_e64 s[12:13], s44, v16
	v_cndmask_b32_e64 v22, 0, v22, s[8:9]
	v_cmp_ngt_f32_e64 s[8:9], s45, v2
	v_cndmask_b32_e64 v23, 0, v23, s[10:11]
	v_cmp_ngt_f32_e64 s[10:11], s45, v3
	v_cndmask_b32_e64 v14, 0, v14, s[12:13]
	v_cndmask_b32_e32 v15, 0, v15, vcc
	v_cmp_ngt_f32_e32 vcc, s45, v17
	v_cndmask_b32_e64 v18, 0, v18, s[0:1]
	v_cmp_ngt_f32_e64 s[0:1], s45, v10
	v_cndmask_b32_e64 v19, 0, v19, s[2:3]
	v_cmp_ngt_f32_e64 s[2:3], s45, v11
	;; [unrolled: 2-line block ×4, first 2 shown]
	v_cmp_ngt_f32_e64 s[12:13], s45, v16
	v_cndmask_b32_e64 v22, v30, v22, s[8:9]
	v_cndmask_b32_e64 v23, v30, v23, s[10:11]
	;; [unrolled: 1-line block ×3, first 2 shown]
	v_cndmask_b32_e32 v15, v30, v15, vcc
	v_cndmask_b32_e64 v18, v30, v18, s[0:1]
	v_cndmask_b32_e64 v19, v30, v19, s[2:3]
	;; [unrolled: 1-line block ×4, first 2 shown]
	v_add_f32_e32 v22, 1.0, v22
	v_add_f32_e32 v23, 1.0, v23
	;; [unrolled: 1-line block ×8, first 2 shown]
	v_rcp_f32_e32 v22, v22
	v_rcp_f32_e32 v23, v23
	;; [unrolled: 1-line block ×8, first 2 shown]
	v_pk_mul_f32 v[2:3], v[2:3], v[22:23]
	v_pk_mul_f32 v[14:15], v[16:17], v[14:15]
	;; [unrolled: 1-line block ×4, first 2 shown]
	;;#ASMSTART
	v_pk_mul_f32 v[8:9], v[14:15], v[8:9]
	;;#ASMEND
	;;#ASMSTART
	v_pk_mul_f32 v[4:5], v[10:11], v[4:5]
	;;#ASMEND
	s_nop 0
	;;#ASMSTART
	v_pk_mul_f32 v[6:7], v[12:13], v[6:7]
	;;#ASMEND
	;;#ASMSTART
	v_pk_mul_f32 v[2:3], v[2:3], v[0:1]
	;;#ASMEND
	s_load_dword s0, s[34:35], 0xc
	v_perm_b32 v1, v5, v4, s46
	v_perm_b32 v3, v3, v2, s46
	;; [unrolled: 1-line block ×4, first 2 shown]
	s_waitcnt lgkmcnt(0)
	s_and_b32 s0, s0, 0xffff
	s_lshl_b32 s42, s0, 3
	v_lshl_add_u64 v[24:25], s[42:43], 0, v[24:25]
	v_cmp_le_i64_e32 vcc, s[14:15], v[24:25]
	s_or_b64 s[40:41], vcc, s[40:41]
	buffer_store_dwordx4 v[0:3], v31, s[16:19], 0 offen
	s_andn2_b64 exec, exec, s[40:41]
	s_cbranch_execnz .LBB105_8
.LBB105_9:
	s_endpgm
	.section	.rodata,"a",@progbits
	.p2align	6, 0x0
	.amdhsa_kernel _ZN5aiter23act_and_mul_bias_kernelItthfTnPFfRKT2_EXadL_ZNS_11silu_kernelIfEEfRKT_EELi8EEEvPT0_PS8_PKT1_PS2_il
		.amdhsa_group_segment_fixed_size 0
		.amdhsa_private_segment_fixed_size 0
		.amdhsa_kernarg_size 304
		.amdhsa_user_sgpr_count 2
		.amdhsa_user_sgpr_dispatch_ptr 0
		.amdhsa_user_sgpr_queue_ptr 0
		.amdhsa_user_sgpr_kernarg_segment_ptr 1
		.amdhsa_user_sgpr_dispatch_id 0
		.amdhsa_user_sgpr_kernarg_preload_length 0
		.amdhsa_user_sgpr_kernarg_preload_offset 0
		.amdhsa_user_sgpr_private_segment_size 0
		.amdhsa_uses_dynamic_stack 0
		.amdhsa_enable_private_segment 0
		.amdhsa_system_sgpr_workgroup_id_x 1
		.amdhsa_system_sgpr_workgroup_id_y 0
		.amdhsa_system_sgpr_workgroup_id_z 0
		.amdhsa_system_sgpr_workgroup_info 0
		.amdhsa_system_vgpr_workitem_id 0
		.amdhsa_next_free_vgpr 44
		.amdhsa_next_free_sgpr 47
		.amdhsa_accum_offset 44
		.amdhsa_reserve_vcc 1
		.amdhsa_float_round_mode_32 0
		.amdhsa_float_round_mode_16_64 0
		.amdhsa_float_denorm_mode_32 3
		.amdhsa_float_denorm_mode_16_64 3
		.amdhsa_dx10_clamp 1
		.amdhsa_ieee_mode 1
		.amdhsa_fp16_overflow 0
		.amdhsa_tg_split 0
		.amdhsa_exception_fp_ieee_invalid_op 0
		.amdhsa_exception_fp_denorm_src 0
		.amdhsa_exception_fp_ieee_div_zero 0
		.amdhsa_exception_fp_ieee_overflow 0
		.amdhsa_exception_fp_ieee_underflow 0
		.amdhsa_exception_fp_ieee_inexact 0
		.amdhsa_exception_int_div_zero 0
	.end_amdhsa_kernel
	.section	.text._ZN5aiter23act_and_mul_bias_kernelItthfTnPFfRKT2_EXadL_ZNS_11silu_kernelIfEEfRKT_EELi8EEEvPT0_PS8_PKT1_PS2_il,"axG",@progbits,_ZN5aiter23act_and_mul_bias_kernelItthfTnPFfRKT2_EXadL_ZNS_11silu_kernelIfEEfRKT_EELi8EEEvPT0_PS8_PKT1_PS2_il,comdat
.Lfunc_end105:
	.size	_ZN5aiter23act_and_mul_bias_kernelItthfTnPFfRKT2_EXadL_ZNS_11silu_kernelIfEEfRKT_EELi8EEEvPT0_PS8_PKT1_PS2_il, .Lfunc_end105-_ZN5aiter23act_and_mul_bias_kernelItthfTnPFfRKT2_EXadL_ZNS_11silu_kernelIfEEfRKT_EELi8EEEvPT0_PS8_PKT1_PS2_il
                                        ; -- End function
	.section	.AMDGPU.csdata,"",@progbits
; Kernel info:
; codeLenInByte = 1628
; NumSgprs: 53
; NumVgprs: 44
; NumAgprs: 0
; TotalNumVgprs: 44
; ScratchSize: 0
; MemoryBound: 0
; FloatMode: 240
; IeeeMode: 1
; LDSByteSize: 0 bytes/workgroup (compile time only)
; SGPRBlocks: 6
; VGPRBlocks: 5
; NumSGPRsForWavesPerEU: 53
; NumVGPRsForWavesPerEU: 44
; AccumOffset: 44
; Occupancy: 8
; WaveLimiterHint : 0
; COMPUTE_PGM_RSRC2:SCRATCH_EN: 0
; COMPUTE_PGM_RSRC2:USER_SGPR: 2
; COMPUTE_PGM_RSRC2:TRAP_HANDLER: 0
; COMPUTE_PGM_RSRC2:TGID_X_EN: 1
; COMPUTE_PGM_RSRC2:TGID_Y_EN: 0
; COMPUTE_PGM_RSRC2:TGID_Z_EN: 0
; COMPUTE_PGM_RSRC2:TIDIG_COMP_CNT: 0
; COMPUTE_PGM_RSRC3_GFX90A:ACCUM_OFFSET: 10
; COMPUTE_PGM_RSRC3_GFX90A:TG_SPLIT: 0
	.section	.text._ZN5aiter23act_and_mul_bias_kernelItthfTnPFfRKT2_EXadL_ZNS_11silu_kernelIfEEfRKT_EELi4EEEvPT0_PS8_PKT1_PS2_il,"axG",@progbits,_ZN5aiter23act_and_mul_bias_kernelItthfTnPFfRKT2_EXadL_ZNS_11silu_kernelIfEEfRKT_EELi4EEEvPT0_PS8_PKT1_PS2_il,comdat
	.protected	_ZN5aiter23act_and_mul_bias_kernelItthfTnPFfRKT2_EXadL_ZNS_11silu_kernelIfEEfRKT_EELi4EEEvPT0_PS8_PKT1_PS2_il ; -- Begin function _ZN5aiter23act_and_mul_bias_kernelItthfTnPFfRKT2_EXadL_ZNS_11silu_kernelIfEEfRKT_EELi4EEEvPT0_PS8_PKT1_PS2_il
	.globl	_ZN5aiter23act_and_mul_bias_kernelItthfTnPFfRKT2_EXadL_ZNS_11silu_kernelIfEEfRKT_EELi4EEEvPT0_PS8_PKT1_PS2_il
	.p2align	8
	.type	_ZN5aiter23act_and_mul_bias_kernelItthfTnPFfRKT2_EXadL_ZNS_11silu_kernelIfEEfRKT_EELi4EEEvPT0_PS8_PKT1_PS2_il,@function
_ZN5aiter23act_and_mul_bias_kernelItthfTnPFfRKT2_EXadL_ZNS_11silu_kernelIfEEfRKT_EELi4EEEvPT0_PS8_PKT1_PS2_il: ; @_ZN5aiter23act_and_mul_bias_kernelItthfTnPFfRKT2_EXadL_ZNS_11silu_kernelIfEEfRKT_EELi4EEEvPT0_PS8_PKT1_PS2_il
; %bb.0:
	s_load_dwordx2 s[4:5], s[0:1], 0x10
	s_load_dword s6, s[0:1], 0x20
	s_load_dwordx2 s[8:9], s[0:1], 0x28
	v_mov_b32_e32 v1, s2
	s_load_dwordx2 s[14:15], s[0:1], 0x0
	s_waitcnt lgkmcnt(0)
	global_load_ubyte v1, v1, s[4:5]
	s_add_i32 s3, s6, 1
	s_ashr_i32 s7, s6, 31
	v_mov_b64_e32 v[4:5], s[8:9]
	s_lshr_b32 s8, s3, 31
	s_mul_hi_u32 s4, s6, s2
	s_mul_i32 s9, s7, s2
	s_add_i32 s3, s3, s8
	s_mul_i32 s10, s6, s2
	s_add_i32 s11, s4, s9
	s_lshl_b32 s3, s3, 1
	s_lshl_b64 s[8:9], s[10:11], 1
	s_and_b32 s10, s3, -4
	s_mov_b32 s5, 0
	s_mov_b64 s[12:13], -1
	v_lshlrev_b32_e32 v2, 2, v0
	s_waitcnt vmcnt(0)
	v_readfirstlane_b32 s3, v1
	s_and_b32 s4, s3, 0xffff
	s_add_u32 s8, s14, s8
	v_cmp_lt_i64_e32 vcc, s[4:5], v[4:5]
	s_addc_u32 s3, s15, s9
	s_and_b32 s9, s3, 0xffff
	s_cbranch_vccnz .LBB106_5
; %bb.1:
	v_cmp_gt_i32_e32 vcc, s6, v2
	s_and_saveexec_b64 s[12:13], vcc
	s_cbranch_execz .LBB106_4
; %bb.2:
	s_load_dword s3, s[0:1], 0x3c
	v_mov_b32_e32 v3, 0
	s_mov_b32 s15, 0
	v_lshlrev_b32_e32 v6, 3, v0
	s_mov_b64 s[16:17], 0
	s_waitcnt lgkmcnt(0)
	s_and_b32 s3, s3, 0xffff
	s_lshl_b32 s14, s3, 2
	s_lshl_b32 s3, s3, 3
	s_mov_b32 s11, 0x20000
	v_mov_b32_e32 v0, v3
	v_mov_b32_e32 v1, v3
	v_mov_b64_e32 v[4:5], v[2:3]
.LBB106_3:                              ; =>This Inner Loop Header: Depth=1
	v_lshl_add_u64 v[4:5], s[14:15], 0, v[4:5]
	v_cmp_le_i64_e32 vcc, s[6:7], v[4:5]
	buffer_store_dwordx2 v[0:1], v6, s[8:11], 0 offen
	s_or_b64 s[16:17], vcc, s[16:17]
	v_add_u32_e32 v6, s3, v6
	s_andn2_b64 exec, exec, s[16:17]
	s_cbranch_execnz .LBB106_3
.LBB106_4:
	s_or_b64 exec, exec, s[12:13]
	s_mov_b64 s[12:13], 0
.LBB106_5:
	s_andn2_b64 vcc, exec, s[12:13]
	s_cbranch_vccnz .LBB106_9
; %bb.6:
	v_cmp_gt_i32_e32 vcc, s6, v2
	s_and_saveexec_b64 s[12:13], vcc
	s_cbranch_execz .LBB106_9
; %bb.7:
	s_load_dwordx2 s[12:13], s[0:1], 0x18
	s_load_dwordx2 s[18:19], s[0:1], 0x8
	s_mul_hi_i32 s5, s6, s4
	s_mul_i32 s4, s6, s4
	s_lshl_b64 s[4:5], s[4:5], 3
	s_waitcnt lgkmcnt(0)
	s_add_u32 s12, s12, s4
	s_addc_u32 s3, s13, s5
	s_lshl_b64 s[4:5], s[6:7], 2
	s_add_u32 s16, s12, s4
	s_addc_u32 s4, s3, s5
	s_and_b32 s13, s3, 0xffff
	s_and_b32 s17, s4, 0xffff
	s_mul_i32 s3, s2, s7
	s_mul_hi_u32 s4, s2, s6
	s_add_i32 s3, s4, s3
	s_mul_i32 s2, s2, s6
	s_lshl_b32 s14, s6, 2
	s_lshl_b64 s[2:3], s[2:3], 2
	s_add_u32 s20, s18, s2
	s_addc_u32 s4, s19, s3
	s_lshl_b64 s[2:3], s[6:7], 1
	s_add_u32 s24, s20, s2
	s_addc_u32 s2, s4, s3
	s_and_b32 s21, s4, 0xffff
	s_and_b32 s25, s2, 0xffff
	s_mov_b32 s11, 0x20000
	s_add_u32 s28, s0, 48
	s_mov_b32 s15, s11
	v_mov_b32_e32 v3, 0
	s_addc_u32 s29, s1, 0
	s_mov_b64 s[30:31], 0
	s_mov_b32 s22, s10
	s_mov_b32 s23, s11
	;; [unrolled: 1-line block ×6, first 2 shown]
	v_mov_b32_e32 v0, 0x7f800000
	s_mov_b32 s38, 0x7060302
	s_mov_b32 s26, s10
	;; [unrolled: 1-line block ×3, first 2 shown]
.LBB106_8:                              ; =>This Inner Loop Header: Depth=1
	v_lshlrev_b32_e32 v1, 1, v2
	v_lshlrev_b32_e32 v16, 2, v2
	s_mov_b32 s18, s14
	s_mov_b32 s19, s15
	buffer_load_dwordx2 v[12:13], v1, s[24:27], 0 offen
	buffer_load_dwordx2 v[14:15], v1, s[20:23], 0 offen
	buffer_load_dwordx4 v[4:7], v16, s[12:15], 0 offen
	buffer_load_dwordx4 v[8:11], v16, s[16:19], 0 offen
	s_waitcnt vmcnt(3)
	v_and_b32_e32 v17, 0xffff0000, v12
	v_lshlrev_b32_e32 v16, 16, v12
	s_waitcnt vmcnt(2)
	v_and_b32_e32 v19, 0xffff0000, v14
	v_lshlrev_b32_e32 v18, 16, v14
	v_and_b32_e32 v21, 0xffff0000, v13
	v_lshlrev_b32_e32 v20, 16, v13
	;; [unrolled: 2-line block ×3, first 2 shown]
	s_waitcnt vmcnt(1)
	v_pk_add_f32 v[4:5], v[4:5], v[18:19]
	v_pk_add_f32 v[6:7], v[6:7], v[12:13]
	v_mul_f32_e32 v12, 0xbfb8aa3b, v4
	v_mul_f32_e32 v13, 0xbfb8aa3b, v5
	;; [unrolled: 1-line block ×4, first 2 shown]
	s_waitcnt vmcnt(0)
	v_pk_add_f32 v[8:9], v[8:9], v[16:17]
	v_pk_add_f32 v[10:11], v[10:11], v[20:21]
	v_fma_f32 v16, v4, s33, -v12
	v_rndne_f32_e32 v17, v12
	v_fma_f32 v18, v5, s33, -v13
	v_rndne_f32_e32 v19, v13
	;; [unrolled: 2-line block ×4, first 2 shown]
	v_fmac_f32_e32 v16, 0xb2a5705f, v4
	v_sub_f32_e32 v12, v12, v17
	v_fmac_f32_e32 v18, 0xb2a5705f, v5
	v_sub_f32_e32 v13, v13, v19
	v_fmac_f32_e32 v20, 0xb2a5705f, v6
	v_sub_f32_e32 v14, v14, v21
	v_fmac_f32_e32 v22, 0xb2a5705f, v7
	v_sub_f32_e32 v15, v15, v23
	v_add_f32_e32 v12, v12, v16
	v_add_f32_e32 v13, v13, v18
	;; [unrolled: 1-line block ×4, first 2 shown]
	v_cvt_i32_f32_e32 v17, v17
	v_cvt_i32_f32_e32 v19, v19
	;; [unrolled: 1-line block ×4, first 2 shown]
	v_exp_f32_e32 v12, v12
	v_exp_f32_e32 v13, v13
	;; [unrolled: 1-line block ×4, first 2 shown]
	v_ldexp_f32 v12, v12, v17
	v_ldexp_f32 v13, v13, v19
	v_cmp_nlt_f32_e32 vcc, s36, v5
	v_ldexp_f32 v14, v14, v21
	v_cmp_nlt_f32_e64 s[0:1], s36, v6
	v_ldexp_f32 v15, v15, v23
	v_cmp_nlt_f32_e64 s[2:3], s36, v7
	v_cmp_nlt_f32_e64 s[4:5], s36, v4
	v_cndmask_b32_e32 v13, 0, v13, vcc
	v_cmp_ngt_f32_e32 vcc, s37, v5
	v_cndmask_b32_e64 v12, 0, v12, s[4:5]
	v_cndmask_b32_e64 v14, 0, v14, s[0:1]
	v_cmp_ngt_f32_e64 s[0:1], s37, v6
	v_cndmask_b32_e64 v15, 0, v15, s[2:3]
	v_cmp_ngt_f32_e64 s[2:3], s37, v7
	v_cmp_ngt_f32_e64 s[4:5], s37, v4
	v_cndmask_b32_e32 v13, v0, v13, vcc
	v_cndmask_b32_e64 v14, v0, v14, s[0:1]
	v_cndmask_b32_e64 v12, v0, v12, s[4:5]
	;; [unrolled: 1-line block ×3, first 2 shown]
	v_add_f32_e32 v12, 1.0, v12
	v_add_f32_e32 v13, 1.0, v13
	;; [unrolled: 1-line block ×4, first 2 shown]
	v_rcp_f32_e32 v12, v12
	v_rcp_f32_e32 v13, v13
	;; [unrolled: 1-line block ×4, first 2 shown]
	v_pk_mul_f32 v[4:5], v[4:5], v[12:13]
	s_nop 0
	;;#ASMSTART
	v_pk_mul_f32 v[4:5], v[4:5], v[8:9]
	;;#ASMEND
	v_pk_mul_f32 v[6:7], v[6:7], v[14:15]
	s_nop 0
	;;#ASMSTART
	v_pk_mul_f32 v[6:7], v[6:7], v[10:11]
	;;#ASMEND
	s_load_dword s0, s[28:29], 0xc
	v_perm_b32 v7, v7, v6, s38
	v_perm_b32 v6, v5, v4, s38
	buffer_store_dwordx2 v[6:7], v1, s[8:11], 0 offen
	s_waitcnt lgkmcnt(0)
	s_and_b32 s0, s0, 0xffff
	s_lshl_b32 s34, s0, 2
	v_lshl_add_u64 v[2:3], s[34:35], 0, v[2:3]
	v_cmp_le_i64_e32 vcc, s[6:7], v[2:3]
	s_or_b64 s[30:31], vcc, s[30:31]
	s_andn2_b64 exec, exec, s[30:31]
	s_cbranch_execnz .LBB106_8
.LBB106_9:
	s_endpgm
	.section	.rodata,"a",@progbits
	.p2align	6, 0x0
	.amdhsa_kernel _ZN5aiter23act_and_mul_bias_kernelItthfTnPFfRKT2_EXadL_ZNS_11silu_kernelIfEEfRKT_EELi4EEEvPT0_PS8_PKT1_PS2_il
		.amdhsa_group_segment_fixed_size 0
		.amdhsa_private_segment_fixed_size 0
		.amdhsa_kernarg_size 304
		.amdhsa_user_sgpr_count 2
		.amdhsa_user_sgpr_dispatch_ptr 0
		.amdhsa_user_sgpr_queue_ptr 0
		.amdhsa_user_sgpr_kernarg_segment_ptr 1
		.amdhsa_user_sgpr_dispatch_id 0
		.amdhsa_user_sgpr_kernarg_preload_length 0
		.amdhsa_user_sgpr_kernarg_preload_offset 0
		.amdhsa_user_sgpr_private_segment_size 0
		.amdhsa_uses_dynamic_stack 0
		.amdhsa_enable_private_segment 0
		.amdhsa_system_sgpr_workgroup_id_x 1
		.amdhsa_system_sgpr_workgroup_id_y 0
		.amdhsa_system_sgpr_workgroup_id_z 0
		.amdhsa_system_sgpr_workgroup_info 0
		.amdhsa_system_vgpr_workitem_id 0
		.amdhsa_next_free_vgpr 24
		.amdhsa_next_free_sgpr 39
		.amdhsa_accum_offset 24
		.amdhsa_reserve_vcc 1
		.amdhsa_float_round_mode_32 0
		.amdhsa_float_round_mode_16_64 0
		.amdhsa_float_denorm_mode_32 3
		.amdhsa_float_denorm_mode_16_64 3
		.amdhsa_dx10_clamp 1
		.amdhsa_ieee_mode 1
		.amdhsa_fp16_overflow 0
		.amdhsa_tg_split 0
		.amdhsa_exception_fp_ieee_invalid_op 0
		.amdhsa_exception_fp_denorm_src 0
		.amdhsa_exception_fp_ieee_div_zero 0
		.amdhsa_exception_fp_ieee_overflow 0
		.amdhsa_exception_fp_ieee_underflow 0
		.amdhsa_exception_fp_ieee_inexact 0
		.amdhsa_exception_int_div_zero 0
	.end_amdhsa_kernel
	.section	.text._ZN5aiter23act_and_mul_bias_kernelItthfTnPFfRKT2_EXadL_ZNS_11silu_kernelIfEEfRKT_EELi4EEEvPT0_PS8_PKT1_PS2_il,"axG",@progbits,_ZN5aiter23act_and_mul_bias_kernelItthfTnPFfRKT2_EXadL_ZNS_11silu_kernelIfEEfRKT_EELi4EEEvPT0_PS8_PKT1_PS2_il,comdat
.Lfunc_end106:
	.size	_ZN5aiter23act_and_mul_bias_kernelItthfTnPFfRKT2_EXadL_ZNS_11silu_kernelIfEEfRKT_EELi4EEEvPT0_PS8_PKT1_PS2_il, .Lfunc_end106-_ZN5aiter23act_and_mul_bias_kernelItthfTnPFfRKT2_EXadL_ZNS_11silu_kernelIfEEfRKT_EELi4EEEvPT0_PS8_PKT1_PS2_il
                                        ; -- End function
	.section	.AMDGPU.csdata,"",@progbits
; Kernel info:
; codeLenInByte = 1116
; NumSgprs: 45
; NumVgprs: 24
; NumAgprs: 0
; TotalNumVgprs: 24
; ScratchSize: 0
; MemoryBound: 0
; FloatMode: 240
; IeeeMode: 1
; LDSByteSize: 0 bytes/workgroup (compile time only)
; SGPRBlocks: 5
; VGPRBlocks: 2
; NumSGPRsForWavesPerEU: 45
; NumVGPRsForWavesPerEU: 24
; AccumOffset: 24
; Occupancy: 8
; WaveLimiterHint : 0
; COMPUTE_PGM_RSRC2:SCRATCH_EN: 0
; COMPUTE_PGM_RSRC2:USER_SGPR: 2
; COMPUTE_PGM_RSRC2:TRAP_HANDLER: 0
; COMPUTE_PGM_RSRC2:TGID_X_EN: 1
; COMPUTE_PGM_RSRC2:TGID_Y_EN: 0
; COMPUTE_PGM_RSRC2:TGID_Z_EN: 0
; COMPUTE_PGM_RSRC2:TIDIG_COMP_CNT: 0
; COMPUTE_PGM_RSRC3_GFX90A:ACCUM_OFFSET: 5
; COMPUTE_PGM_RSRC3_GFX90A:TG_SPLIT: 0
	.section	.text._ZN5aiter23act_and_mul_bias_kernelItthfTnPFfRKT2_EXadL_ZNS_11silu_kernelIfEEfRKT_EELi2EEEvPT0_PS8_PKT1_PS2_il,"axG",@progbits,_ZN5aiter23act_and_mul_bias_kernelItthfTnPFfRKT2_EXadL_ZNS_11silu_kernelIfEEfRKT_EELi2EEEvPT0_PS8_PKT1_PS2_il,comdat
	.protected	_ZN5aiter23act_and_mul_bias_kernelItthfTnPFfRKT2_EXadL_ZNS_11silu_kernelIfEEfRKT_EELi2EEEvPT0_PS8_PKT1_PS2_il ; -- Begin function _ZN5aiter23act_and_mul_bias_kernelItthfTnPFfRKT2_EXadL_ZNS_11silu_kernelIfEEfRKT_EELi2EEEvPT0_PS8_PKT1_PS2_il
	.globl	_ZN5aiter23act_and_mul_bias_kernelItthfTnPFfRKT2_EXadL_ZNS_11silu_kernelIfEEfRKT_EELi2EEEvPT0_PS8_PKT1_PS2_il
	.p2align	8
	.type	_ZN5aiter23act_and_mul_bias_kernelItthfTnPFfRKT2_EXadL_ZNS_11silu_kernelIfEEfRKT_EELi2EEEvPT0_PS8_PKT1_PS2_il,@function
_ZN5aiter23act_and_mul_bias_kernelItthfTnPFfRKT2_EXadL_ZNS_11silu_kernelIfEEfRKT_EELi2EEEvPT0_PS8_PKT1_PS2_il: ; @_ZN5aiter23act_and_mul_bias_kernelItthfTnPFfRKT2_EXadL_ZNS_11silu_kernelIfEEfRKT_EELi2EEEvPT0_PS8_PKT1_PS2_il
; %bb.0:
	s_load_dwordx2 s[4:5], s[0:1], 0x10
	s_load_dword s24, s[0:1], 0x20
	s_load_dwordx2 s[6:7], s[0:1], 0x28
	v_mov_b32_e32 v1, s2
	s_mov_b32 s9, 0
	s_waitcnt lgkmcnt(0)
	global_load_ubyte v1, v1, s[4:5]
	s_add_i32 s3, s24, 1
	s_load_dwordx2 s[4:5], s[0:1], 0x0
	v_mov_b64_e32 v[4:5], s[6:7]
	s_lshr_b32 s6, s3, 31
	s_ashr_i32 s25, s24, 31
	s_add_i32 s3, s3, s6
	s_mul_hi_u32 s8, s24, s2
	s_mul_i32 s7, s25, s2
	s_lshl_b32 s3, s3, 1
	s_mul_i32 s12, s24, s2
	s_add_i32 s13, s8, s7
	s_and_b32 s6, s3, -4
	s_lshl_b64 s[12:13], s[12:13], 1
	s_mov_b64 s[10:11], -1
	v_lshlrev_b32_e32 v2, 1, v0
	s_waitcnt vmcnt(0)
	v_readfirstlane_b32 s3, v1
	s_and_b32 s8, s3, 0xffff
	s_waitcnt lgkmcnt(0)
	s_add_u32 s4, s4, s12
	v_cmp_lt_i64_e32 vcc, s[8:9], v[4:5]
	s_addc_u32 s3, s5, s13
	s_and_b32 s5, s3, 0xffff
	s_cbranch_vccnz .LBB107_5
; %bb.1:
	v_cmp_gt_i32_e32 vcc, s24, v2
	s_and_saveexec_b64 s[10:11], vcc
	s_cbranch_execz .LBB107_4
; %bb.2:
	s_load_dword s3, s[0:1], 0x3c
	v_mov_b32_e32 v3, 0
	s_mov_b32 s13, 0
	v_lshlrev_b32_e32 v4, 2, v0
	s_mov_b64 s[14:15], 0
	s_waitcnt lgkmcnt(0)
	s_and_b32 s3, s3, 0xffff
	s_lshl_b32 s12, s3, 1
	s_lshl_b32 s3, s3, 2
	s_mov_b32 s7, 0x20000
	v_mov_b64_e32 v[0:1], v[2:3]
.LBB107_3:                              ; =>This Inner Loop Header: Depth=1
	v_lshl_add_u64 v[0:1], s[12:13], 0, v[0:1]
	v_cmp_le_i64_e32 vcc, s[24:25], v[0:1]
	buffer_store_dword v3, v4, s[4:7], 0 offen
	s_or_b64 s[14:15], vcc, s[14:15]
	v_add_u32_e32 v4, s3, v4
	s_andn2_b64 exec, exec, s[14:15]
	s_cbranch_execnz .LBB107_3
.LBB107_4:
	s_or_b64 exec, exec, s[10:11]
	s_mov_b64 s[10:11], 0
.LBB107_5:
	s_andn2_b64 vcc, exec, s[10:11]
	s_cbranch_vccnz .LBB107_9
; %bb.6:
	v_cmp_gt_i32_e32 vcc, s24, v2
	s_and_saveexec_b64 s[10:11], vcc
	s_cbranch_execz .LBB107_9
; %bb.7:
	s_load_dwordx2 s[10:11], s[0:1], 0x18
	s_load_dwordx2 s[14:15], s[0:1], 0x8
	s_mul_hi_i32 s9, s24, s8
	s_mul_i32 s8, s24, s8
	s_lshl_b64 s[8:9], s[8:9], 3
	s_waitcnt lgkmcnt(0)
	s_add_u32 s8, s10, s8
	s_addc_u32 s3, s11, s9
	s_lshl_b64 s[10:11], s[24:25], 2
	s_add_u32 s12, s8, s10
	s_addc_u32 s13, s3, s11
	s_and_b32 s9, s3, 0xffff
	s_mul_i32 s3, s2, s25
	s_mul_hi_u32 s16, s2, s24
	s_add_i32 s3, s16, s3
	s_mul_i32 s2, s2, s24
	s_lshl_b32 s10, s24, 2
	s_and_b32 s13, s13, 0xffff
	s_lshl_b64 s[2:3], s[2:3], 2
	s_add_u32 s16, s14, s2
	s_addc_u32 s14, s15, s3
	s_lshl_b64 s[2:3], s[24:25], 1
	s_add_u32 s20, s16, s2
	s_addc_u32 s2, s14, s3
	s_and_b32 s17, s14, 0xffff
	s_and_b32 s21, s2, 0xffff
	s_mov_b32 s7, 0x20000
	s_add_u32 s2, s0, 48
	s_mov_b32 s11, s7
	v_mov_b32_e32 v3, 0
	s_addc_u32 s3, s1, 0
	s_mov_b64 s[26:27], 0
	s_mov_b32 s18, s6
	s_mov_b32 s19, s7
	;; [unrolled: 1-line block ×6, first 2 shown]
	v_mov_b32_e32 v0, 0x7f800000
	s_mov_b32 s34, 0x7060302
	s_mov_b32 s22, s6
	;; [unrolled: 1-line block ×3, first 2 shown]
.LBB107_8:                              ; =>This Inner Loop Header: Depth=1
	v_lshlrev_b32_e32 v8, 2, v2
	v_lshlrev_b32_e32 v1, 1, v2
	s_mov_b32 s14, s10
	s_mov_b32 s15, s11
	buffer_load_dwordx2 v[4:5], v8, s[8:11], 0 offen
	buffer_load_dword v10, v1, s[16:19], 0 offen
	buffer_load_dword v12, v1, s[20:23], 0 offen
	buffer_load_dwordx2 v[6:7], v8, s[12:15], 0 offen
	s_waitcnt vmcnt(2)
	v_and_b32_e32 v9, 0xffff0000, v10
	v_lshlrev_b32_e32 v8, 16, v10
	v_pk_add_f32 v[4:5], v[4:5], v[8:9]
	s_waitcnt vmcnt(1)
	v_and_b32_e32 v11, 0xffff0000, v12
	v_mul_f32_e32 v8, 0xbfb8aa3b, v5
	v_mul_f32_e32 v9, 0xbfb8aa3b, v4
	v_fma_f32 v10, v5, s30, -v8
	v_rndne_f32_e32 v13, v8
	v_fma_f32 v14, v4, s30, -v9
	v_rndne_f32_e32 v15, v9
	v_fmac_f32_e32 v10, 0xb2a5705f, v5
	v_sub_f32_e32 v8, v8, v13
	v_fmac_f32_e32 v14, 0xb2a5705f, v4
	v_sub_f32_e32 v9, v9, v15
	v_add_f32_e32 v8, v8, v10
	v_add_f32_e32 v9, v9, v14
	v_cvt_i32_f32_e32 v13, v13
	v_cvt_i32_f32_e32 v15, v15
	v_exp_f32_e32 v8, v8
	v_exp_f32_e32 v9, v9
	v_cmp_nlt_f32_e32 vcc, s31, v4
	v_cmp_nlt_f32_e64 s[0:1], s31, v5
	v_ldexp_f32 v8, v8, v13
	v_ldexp_f32 v9, v9, v15
	v_cndmask_b32_e64 v8, 0, v8, s[0:1]
	v_cndmask_b32_e32 v9, 0, v9, vcc
	v_cmp_ngt_f32_e32 vcc, s33, v4
	v_cmp_ngt_f32_e64 s[0:1], s33, v5
	s_nop 0
	v_cndmask_b32_e32 v9, v0, v9, vcc
	v_cndmask_b32_e64 v8, v0, v8, s[0:1]
	v_add_f32_e32 v8, 1.0, v8
	v_add_f32_e32 v10, 1.0, v9
	v_rcp_f32_e32 v9, v8
	v_rcp_f32_e32 v8, v10
	v_lshlrev_b32_e32 v10, 16, v12
	s_waitcnt vmcnt(0)
	v_pk_add_f32 v[6:7], v[6:7], v[10:11]
	v_pk_mul_f32 v[4:5], v[4:5], v[8:9]
	s_nop 0
	;;#ASMSTART
	v_pk_mul_f32 v[4:5], v[4:5], v[6:7]
	;;#ASMEND
	s_load_dword s0, s[2:3], 0xc
	v_perm_b32 v4, v5, v4, s34
	buffer_store_dword v4, v1, s[4:7], 0 offen
	s_waitcnt lgkmcnt(0)
	s_and_b32 s0, s0, 0xffff
	s_lshl_b32 s28, s0, 1
	v_lshl_add_u64 v[2:3], s[28:29], 0, v[2:3]
	v_cmp_le_i64_e32 vcc, s[24:25], v[2:3]
	s_or_b64 s[26:27], vcc, s[26:27]
	s_andn2_b64 exec, exec, s[26:27]
	s_cbranch_execnz .LBB107_8
.LBB107_9:
	s_endpgm
	.section	.rodata,"a",@progbits
	.p2align	6, 0x0
	.amdhsa_kernel _ZN5aiter23act_and_mul_bias_kernelItthfTnPFfRKT2_EXadL_ZNS_11silu_kernelIfEEfRKT_EELi2EEEvPT0_PS8_PKT1_PS2_il
		.amdhsa_group_segment_fixed_size 0
		.amdhsa_private_segment_fixed_size 0
		.amdhsa_kernarg_size 304
		.amdhsa_user_sgpr_count 2
		.amdhsa_user_sgpr_dispatch_ptr 0
		.amdhsa_user_sgpr_queue_ptr 0
		.amdhsa_user_sgpr_kernarg_segment_ptr 1
		.amdhsa_user_sgpr_dispatch_id 0
		.amdhsa_user_sgpr_kernarg_preload_length 0
		.amdhsa_user_sgpr_kernarg_preload_offset 0
		.amdhsa_user_sgpr_private_segment_size 0
		.amdhsa_uses_dynamic_stack 0
		.amdhsa_enable_private_segment 0
		.amdhsa_system_sgpr_workgroup_id_x 1
		.amdhsa_system_sgpr_workgroup_id_y 0
		.amdhsa_system_sgpr_workgroup_id_z 0
		.amdhsa_system_sgpr_workgroup_info 0
		.amdhsa_system_vgpr_workitem_id 0
		.amdhsa_next_free_vgpr 16
		.amdhsa_next_free_sgpr 35
		.amdhsa_accum_offset 16
		.amdhsa_reserve_vcc 1
		.amdhsa_float_round_mode_32 0
		.amdhsa_float_round_mode_16_64 0
		.amdhsa_float_denorm_mode_32 3
		.amdhsa_float_denorm_mode_16_64 3
		.amdhsa_dx10_clamp 1
		.amdhsa_ieee_mode 1
		.amdhsa_fp16_overflow 0
		.amdhsa_tg_split 0
		.amdhsa_exception_fp_ieee_invalid_op 0
		.amdhsa_exception_fp_denorm_src 0
		.amdhsa_exception_fp_ieee_div_zero 0
		.amdhsa_exception_fp_ieee_overflow 0
		.amdhsa_exception_fp_ieee_underflow 0
		.amdhsa_exception_fp_ieee_inexact 0
		.amdhsa_exception_int_div_zero 0
	.end_amdhsa_kernel
	.section	.text._ZN5aiter23act_and_mul_bias_kernelItthfTnPFfRKT2_EXadL_ZNS_11silu_kernelIfEEfRKT_EELi2EEEvPT0_PS8_PKT1_PS2_il,"axG",@progbits,_ZN5aiter23act_and_mul_bias_kernelItthfTnPFfRKT2_EXadL_ZNS_11silu_kernelIfEEfRKT_EELi2EEEvPT0_PS8_PKT1_PS2_il,comdat
.Lfunc_end107:
	.size	_ZN5aiter23act_and_mul_bias_kernelItthfTnPFfRKT2_EXadL_ZNS_11silu_kernelIfEEfRKT_EELi2EEEvPT0_PS8_PKT1_PS2_il, .Lfunc_end107-_ZN5aiter23act_and_mul_bias_kernelItthfTnPFfRKT2_EXadL_ZNS_11silu_kernelIfEEfRKT_EELi2EEEvPT0_PS8_PKT1_PS2_il
                                        ; -- End function
	.section	.AMDGPU.csdata,"",@progbits
; Kernel info:
; codeLenInByte = 860
; NumSgprs: 41
; NumVgprs: 16
; NumAgprs: 0
; TotalNumVgprs: 16
; ScratchSize: 0
; MemoryBound: 0
; FloatMode: 240
; IeeeMode: 1
; LDSByteSize: 0 bytes/workgroup (compile time only)
; SGPRBlocks: 5
; VGPRBlocks: 1
; NumSGPRsForWavesPerEU: 41
; NumVGPRsForWavesPerEU: 16
; AccumOffset: 16
; Occupancy: 8
; WaveLimiterHint : 0
; COMPUTE_PGM_RSRC2:SCRATCH_EN: 0
; COMPUTE_PGM_RSRC2:USER_SGPR: 2
; COMPUTE_PGM_RSRC2:TRAP_HANDLER: 0
; COMPUTE_PGM_RSRC2:TGID_X_EN: 1
; COMPUTE_PGM_RSRC2:TGID_Y_EN: 0
; COMPUTE_PGM_RSRC2:TGID_Z_EN: 0
; COMPUTE_PGM_RSRC2:TIDIG_COMP_CNT: 0
; COMPUTE_PGM_RSRC3_GFX90A:ACCUM_OFFSET: 3
; COMPUTE_PGM_RSRC3_GFX90A:TG_SPLIT: 0
	.section	.text._ZN5aiter23act_and_mul_bias_kernelItthfTnPFfRKT2_EXadL_ZNS_11silu_kernelIfEEfRKT_EELi1EEEvPT0_PS8_PKT1_PS2_il,"axG",@progbits,_ZN5aiter23act_and_mul_bias_kernelItthfTnPFfRKT2_EXadL_ZNS_11silu_kernelIfEEfRKT_EELi1EEEvPT0_PS8_PKT1_PS2_il,comdat
	.protected	_ZN5aiter23act_and_mul_bias_kernelItthfTnPFfRKT2_EXadL_ZNS_11silu_kernelIfEEfRKT_EELi1EEEvPT0_PS8_PKT1_PS2_il ; -- Begin function _ZN5aiter23act_and_mul_bias_kernelItthfTnPFfRKT2_EXadL_ZNS_11silu_kernelIfEEfRKT_EELi1EEEvPT0_PS8_PKT1_PS2_il
	.globl	_ZN5aiter23act_and_mul_bias_kernelItthfTnPFfRKT2_EXadL_ZNS_11silu_kernelIfEEfRKT_EELi1EEEvPT0_PS8_PKT1_PS2_il
	.p2align	8
	.type	_ZN5aiter23act_and_mul_bias_kernelItthfTnPFfRKT2_EXadL_ZNS_11silu_kernelIfEEfRKT_EELi1EEEvPT0_PS8_PKT1_PS2_il,@function
_ZN5aiter23act_and_mul_bias_kernelItthfTnPFfRKT2_EXadL_ZNS_11silu_kernelIfEEfRKT_EELi1EEEvPT0_PS8_PKT1_PS2_il: ; @_ZN5aiter23act_and_mul_bias_kernelItthfTnPFfRKT2_EXadL_ZNS_11silu_kernelIfEEfRKT_EELi1EEEvPT0_PS8_PKT1_PS2_il
; %bb.0:
	s_load_dwordx2 s[4:5], s[0:1], 0x10
	s_load_dword s20, s[0:1], 0x20
	s_load_dwordx2 s[8:9], s[0:1], 0x28
	v_mov_b32_e32 v1, s2
	s_load_dwordx2 s[14:15], s[0:1], 0x0
	s_waitcnt lgkmcnt(0)
	global_load_ubyte v1, v1, s[4:5]
	s_add_i32 s3, s20, 1
	s_ashr_i32 s21, s20, 31
	v_mov_b64_e32 v[2:3], s[8:9]
	s_lshr_b32 s8, s3, 31
	s_mul_hi_u32 s6, s20, s2
	s_mul_i32 s9, s21, s2
	s_add_i32 s3, s3, s8
	s_mul_i32 s10, s20, s2
	s_add_i32 s11, s6, s9
	s_lshl_b32 s3, s3, 1
	s_lshl_b64 s[8:9], s[10:11], 1
	s_and_b32 s10, s3, -4
	s_mov_b32 s7, 0
	s_mov_b64 s[12:13], -1
	v_cmp_gt_i32_e64 s[4:5], s20, v0
	s_waitcnt vmcnt(0)
	v_readfirstlane_b32 s3, v1
	s_and_b32 s6, s3, 0xffff
	s_add_u32 s8, s14, s8
	v_cmp_lt_i64_e32 vcc, s[6:7], v[2:3]
	s_addc_u32 s3, s15, s9
	s_and_b32 s9, s3, 0xffff
	s_cbranch_vccnz .LBB108_5
; %bb.1:
	s_and_saveexec_b64 s[12:13], s[4:5]
	s_cbranch_execz .LBB108_4
; %bb.2:
	s_load_dword s3, s[0:1], 0x3c
	v_mov_b32_e32 v1, 0
	s_mov_b32 s5, 0
	v_lshlrev_b32_e32 v4, 1, v0
	s_mov_b64 s[14:15], 0
	s_waitcnt lgkmcnt(0)
	s_and_b32 s4, s3, 0xffff
	s_lshl_b32 s3, s4, 1
	s_mov_b32 s11, 0x20000
	v_mov_b64_e32 v[2:3], v[0:1]
.LBB108_3:                              ; =>This Inner Loop Header: Depth=1
	v_lshl_add_u64 v[2:3], v[2:3], 0, s[4:5]
	v_cmp_le_i64_e32 vcc, s[20:21], v[2:3]
	buffer_store_short v1, v4, s[8:11], 0 offen
	s_or_b64 s[14:15], vcc, s[14:15]
	v_add_u32_e32 v4, s3, v4
	s_andn2_b64 exec, exec, s[14:15]
	s_cbranch_execnz .LBB108_3
.LBB108_4:
	s_or_b64 exec, exec, s[12:13]
	s_mov_b64 s[12:13], 0
.LBB108_5:
	s_andn2_b64 vcc, exec, s[12:13]
	s_cbranch_vccnz .LBB108_9
; %bb.6:
	v_cmp_gt_i32_e32 vcc, s20, v0
	s_and_saveexec_b64 s[4:5], vcc
	s_cbranch_execz .LBB108_9
; %bb.7:
	s_load_dwordx2 s[12:13], s[0:1], 0x8
	s_load_dwordx2 s[4:5], s[0:1], 0x18
	s_mul_hi_i32 s7, s20, s6
	s_mul_i32 s6, s20, s6
	s_lshl_b64 s[6:7], s[6:7], 3
	s_load_dword s14, s[0:1], 0x3c
	s_waitcnt lgkmcnt(0)
	s_add_u32 s4, s4, s6
	s_addc_u32 s3, s5, s7
	s_lshl_b64 s[0:1], s[20:21], 2
	s_add_u32 s0, s4, s0
	s_addc_u32 s1, s3, s1
	s_and_b32 s5, s3, 0xffff
	s_mul_i32 s3, s2, s21
	s_mul_hi_u32 s15, s2, s20
	s_add_i32 s3, s15, s3
	s_mul_i32 s2, s2, s20
	s_lshl_b32 s6, s20, 2
	s_and_b32 s1, s1, 0xffff
	s_lshl_b64 s[2:3], s[2:3], 2
	s_add_u32 s12, s12, s2
	s_addc_u32 s13, s13, s3
	s_lshl_b64 s[2:3], s[20:21], 1
	s_add_u32 s16, s12, s2
	s_mov_b32 s11, 0x20000
	s_addc_u32 s2, s13, s3
	s_and_b32 s22, s14, 0xffff
	s_mov_b32 s7, s11
	s_and_b32 s13, s13, 0xffff
	s_and_b32 s17, s2, 0xffff
	s_mov_b32 s23, 0
	v_mov_b32_e32 v1, 0
	v_lshlrev_b32_e32 v2, 2, v0
	s_lshl_b32 s26, s22, 2
	v_lshlrev_b32_e32 v3, 1, v0
	s_lshl_b32 s27, s22, 1
	s_mov_b64 s[24:25], 0
	s_mov_b32 s14, s10
	s_mov_b32 s15, s11
	;; [unrolled: 1-line block ×5, first 2 shown]
	v_mov_b32_e32 v4, 0x7f800000
	s_mov_b32 s18, s10
	s_mov_b32 s19, s11
.LBB108_8:                              ; =>This Inner Loop Header: Depth=1
	buffer_load_ushort v5, v3, s[12:15], 0 offen
	buffer_load_ushort v8, v3, s[16:19], 0 offen
	s_mov_b32 s2, s6
	s_mov_b32 s3, s7
	buffer_load_dword v7, v2, s[4:7], 0 offen
	buffer_load_dword v6, v2, s[0:3], 0 offen
	v_lshl_add_u64 v[0:1], v[0:1], 0, s[22:23]
	v_add_u32_e32 v2, s26, v2
	s_waitcnt vmcnt(3)
	v_lshlrev_b32_e32 v9, 16, v5
	s_waitcnt vmcnt(2)
	v_lshlrev_b32_e32 v8, 16, v8
	s_waitcnt vmcnt(0)
	v_pk_add_f32 v[6:7], v[8:9], v[6:7]
	s_nop 0
	v_mul_f32_e32 v5, 0xbfb8aa3b, v7
	v_fma_f32 v8, v7, s28, -v5
	v_rndne_f32_e32 v9, v5
	v_fmac_f32_e32 v8, 0xb2a5705f, v7
	v_sub_f32_e32 v5, v5, v9
	v_add_f32_e32 v5, v5, v8
	v_cvt_i32_f32_e32 v9, v9
	v_exp_f32_e32 v5, v5
	v_cmp_nlt_f32_e32 vcc, s29, v7
	v_ldexp_f32 v5, v5, v9
	s_nop 0
	v_cndmask_b32_e32 v5, 0, v5, vcc
	v_cmp_ngt_f32_e32 vcc, s30, v7
	s_nop 1
	v_cndmask_b32_e32 v5, v4, v5, vcc
	v_add_f32_e32 v5, 1.0, v5
	v_rcp_f32_e32 v5, v5
	v_cmp_le_i64_e32 vcc, s[20:21], v[0:1]
	s_or_b64 s[24:25], vcc, s[24:25]
	v_mul_f32_e32 v5, v7, v5
	v_mul_f32_e32 v5, v6, v5
	v_lshrrev_b32_e32 v5, 16, v5
	buffer_store_short v5, v3, s[8:11], 0 offen
	v_add_u32_e32 v3, s27, v3
	s_andn2_b64 exec, exec, s[24:25]
	s_cbranch_execnz .LBB108_8
.LBB108_9:
	s_endpgm
	.section	.rodata,"a",@progbits
	.p2align	6, 0x0
	.amdhsa_kernel _ZN5aiter23act_and_mul_bias_kernelItthfTnPFfRKT2_EXadL_ZNS_11silu_kernelIfEEfRKT_EELi1EEEvPT0_PS8_PKT1_PS2_il
		.amdhsa_group_segment_fixed_size 0
		.amdhsa_private_segment_fixed_size 0
		.amdhsa_kernarg_size 304
		.amdhsa_user_sgpr_count 2
		.amdhsa_user_sgpr_dispatch_ptr 0
		.amdhsa_user_sgpr_queue_ptr 0
		.amdhsa_user_sgpr_kernarg_segment_ptr 1
		.amdhsa_user_sgpr_dispatch_id 0
		.amdhsa_user_sgpr_kernarg_preload_length 0
		.amdhsa_user_sgpr_kernarg_preload_offset 0
		.amdhsa_user_sgpr_private_segment_size 0
		.amdhsa_uses_dynamic_stack 0
		.amdhsa_enable_private_segment 0
		.amdhsa_system_sgpr_workgroup_id_x 1
		.amdhsa_system_sgpr_workgroup_id_y 0
		.amdhsa_system_sgpr_workgroup_id_z 0
		.amdhsa_system_sgpr_workgroup_info 0
		.amdhsa_system_vgpr_workitem_id 0
		.amdhsa_next_free_vgpr 10
		.amdhsa_next_free_sgpr 31
		.amdhsa_accum_offset 12
		.amdhsa_reserve_vcc 1
		.amdhsa_float_round_mode_32 0
		.amdhsa_float_round_mode_16_64 0
		.amdhsa_float_denorm_mode_32 3
		.amdhsa_float_denorm_mode_16_64 3
		.amdhsa_dx10_clamp 1
		.amdhsa_ieee_mode 1
		.amdhsa_fp16_overflow 0
		.amdhsa_tg_split 0
		.amdhsa_exception_fp_ieee_invalid_op 0
		.amdhsa_exception_fp_denorm_src 0
		.amdhsa_exception_fp_ieee_div_zero 0
		.amdhsa_exception_fp_ieee_overflow 0
		.amdhsa_exception_fp_ieee_underflow 0
		.amdhsa_exception_fp_ieee_inexact 0
		.amdhsa_exception_int_div_zero 0
	.end_amdhsa_kernel
	.section	.text._ZN5aiter23act_and_mul_bias_kernelItthfTnPFfRKT2_EXadL_ZNS_11silu_kernelIfEEfRKT_EELi1EEEvPT0_PS8_PKT1_PS2_il,"axG",@progbits,_ZN5aiter23act_and_mul_bias_kernelItthfTnPFfRKT2_EXadL_ZNS_11silu_kernelIfEEfRKT_EELi1EEEvPT0_PS8_PKT1_PS2_il,comdat
.Lfunc_end108:
	.size	_ZN5aiter23act_and_mul_bias_kernelItthfTnPFfRKT2_EXadL_ZNS_11silu_kernelIfEEfRKT_EELi1EEEvPT0_PS8_PKT1_PS2_il, .Lfunc_end108-_ZN5aiter23act_and_mul_bias_kernelItthfTnPFfRKT2_EXadL_ZNS_11silu_kernelIfEEfRKT_EELi1EEEvPT0_PS8_PKT1_PS2_il
                                        ; -- End function
	.section	.AMDGPU.csdata,"",@progbits
; Kernel info:
; codeLenInByte = 720
; NumSgprs: 37
; NumVgprs: 10
; NumAgprs: 0
; TotalNumVgprs: 10
; ScratchSize: 0
; MemoryBound: 0
; FloatMode: 240
; IeeeMode: 1
; LDSByteSize: 0 bytes/workgroup (compile time only)
; SGPRBlocks: 4
; VGPRBlocks: 1
; NumSGPRsForWavesPerEU: 37
; NumVGPRsForWavesPerEU: 10
; AccumOffset: 12
; Occupancy: 8
; WaveLimiterHint : 0
; COMPUTE_PGM_RSRC2:SCRATCH_EN: 0
; COMPUTE_PGM_RSRC2:USER_SGPR: 2
; COMPUTE_PGM_RSRC2:TRAP_HANDLER: 0
; COMPUTE_PGM_RSRC2:TGID_X_EN: 1
; COMPUTE_PGM_RSRC2:TGID_Y_EN: 0
; COMPUTE_PGM_RSRC2:TGID_Z_EN: 0
; COMPUTE_PGM_RSRC2:TIDIG_COMP_CNT: 0
; COMPUTE_PGM_RSRC3_GFX90A:ACCUM_OFFSET: 2
; COMPUTE_PGM_RSRC3_GFX90A:TG_SPLIT: 0
	.section	.text._ZN5aiter23act_and_mul_bias_kernelIftafTnPFfRKT2_EXadL_ZNS_11silu_kernelIfEEfRKT_EELi16EEEvPT0_PS8_PKT1_PS2_il,"axG",@progbits,_ZN5aiter23act_and_mul_bias_kernelIftafTnPFfRKT2_EXadL_ZNS_11silu_kernelIfEEfRKT_EELi16EEEvPT0_PS8_PKT1_PS2_il,comdat
	.protected	_ZN5aiter23act_and_mul_bias_kernelIftafTnPFfRKT2_EXadL_ZNS_11silu_kernelIfEEfRKT_EELi16EEEvPT0_PS8_PKT1_PS2_il ; -- Begin function _ZN5aiter23act_and_mul_bias_kernelIftafTnPFfRKT2_EXadL_ZNS_11silu_kernelIfEEfRKT_EELi16EEEvPT0_PS8_PKT1_PS2_il
	.globl	_ZN5aiter23act_and_mul_bias_kernelIftafTnPFfRKT2_EXadL_ZNS_11silu_kernelIfEEfRKT_EELi16EEEvPT0_PS8_PKT1_PS2_il
	.p2align	8
	.type	_ZN5aiter23act_and_mul_bias_kernelIftafTnPFfRKT2_EXadL_ZNS_11silu_kernelIfEEfRKT_EELi16EEEvPT0_PS8_PKT1_PS2_il,@function
_ZN5aiter23act_and_mul_bias_kernelIftafTnPFfRKT2_EXadL_ZNS_11silu_kernelIfEEfRKT_EELi16EEEvPT0_PS8_PKT1_PS2_il: ; @_ZN5aiter23act_and_mul_bias_kernelIftafTnPFfRKT2_EXadL_ZNS_11silu_kernelIfEEfRKT_EELi16EEEvPT0_PS8_PKT1_PS2_il
; %bb.0:
	s_load_dwordx2 s[4:5], s[0:1], 0x10
	s_load_dword s30, s[0:1], 0x20
	s_load_dwordx2 s[8:9], s[0:1], 0x28
	v_mov_b32_e32 v1, s2
	s_load_dwordx2 s[10:11], s[0:1], 0x0
	s_waitcnt lgkmcnt(0)
	global_load_ubyte v1, v1, s[4:5]
	s_ashr_i32 s31, s30, 31
	s_mul_hi_u32 s3, s30, s2
	s_mul_i32 s4, s31, s2
	s_add_i32 s13, s3, s4
	s_mov_b32 s5, 0
	s_mul_i32 s12, s30, s2
	v_mov_b64_e32 v[2:3], s[8:9]
	s_lshl_b64 s[8:9], s[12:13], 1
	s_mov_b64 s[6:7], -1
	v_lshlrev_b32_e32 v52, 4, v0
	s_waitcnt vmcnt(0)
	v_readfirstlane_b32 s3, v1
	s_nop 1
	v_mov_b32_e32 v4, s3
	s_sext_i32_i8 s3, s3
	v_readfirstlane_b32 s4, v4
	s_bfe_i64 s[4:5], s[4:5], 0x80000
	s_add_u32 s36, s10, s8
	v_cmp_lt_i64_e32 vcc, s[4:5], v[2:3]
	s_addc_u32 s5, s11, s9
	s_add_i32 s8, s30, 1
	s_lshr_b32 s9, s8, 31
	s_add_i32 s8, s8, s9
	s_and_b32 s37, s5, 0xffff
	s_lshl_b32 s5, s8, 1
	s_and_b32 s38, s5, -4
	s_cmp_gt_i32 s3, -1
	s_cselect_b64 s[8:9], -1, 0
	s_and_b64 s[8:9], s[8:9], vcc
	s_and_b64 vcc, exec, s[8:9]
	s_cbranch_vccnz .LBB109_5
; %bb.1:
	v_cmp_gt_i32_e32 vcc, s30, v52
	s_and_saveexec_b64 s[6:7], vcc
	s_cbranch_execz .LBB109_4
; %bb.2:
	s_load_dword s3, s[0:1], 0x3c
	s_mov_b32 s9, 0
	s_mov_b32 s12, s9
	;; [unrolled: 1-line block ×3, first 2 shown]
	v_mov_b32_e32 v53, 0
	v_lshlrev_b32_e32 v6, 5, v0
	s_waitcnt lgkmcnt(0)
	s_and_b32 s3, s3, 0xffff
	s_mov_b32 s14, s9
	s_mov_b32 s15, s9
	v_mov_b64_e32 v[0:1], s[12:13]
	s_lshl_b32 s8, s3, 4
	s_lshl_b32 s3, s3, 5
	s_mov_b64 s[10:11], 0
	s_mov_b32 s39, 0x20000
	v_mov_b64_e32 v[2:3], s[14:15]
	v_mov_b64_e32 v[4:5], v[52:53]
.LBB109_3:                              ; =>This Inner Loop Header: Depth=1
	v_lshl_add_u64 v[4:5], s[8:9], 0, v[4:5]
	v_cmp_le_i64_e32 vcc, s[30:31], v[4:5]
	buffer_store_dwordx4 v[0:3], v6, s[36:39], 0 offen
	buffer_store_dwordx4 v[0:3], v6, s[36:39], 16 offen
	s_or_b64 s[10:11], vcc, s[10:11]
	v_add_u32_e32 v6, s3, v6
	s_andn2_b64 exec, exec, s[10:11]
	s_cbranch_execnz .LBB109_3
.LBB109_4:
	s_or_b64 exec, exec, s[6:7]
	s_mov_b64 s[6:7], 0
.LBB109_5:
	s_andn2_b64 vcc, exec, s[6:7]
	s_cbranch_vccnz .LBB109_9
; %bb.6:
	v_cmp_gt_i32_e32 vcc, s30, v52
	s_and_saveexec_b64 s[6:7], vcc
	s_cbranch_execz .LBB109_9
; %bb.7:
	s_load_dwordx2 s[6:7], s[0:1], 0x8
	s_load_dwordx2 s[8:9], s[0:1], 0x18
	s_mul_hi_i32 s5, s30, s4
	s_mul_i32 s4, s30, s4
	s_lshl_b32 s42, s30, 2
	s_lshl_b64 s[4:5], s[4:5], 3
	s_waitcnt lgkmcnt(0)
	s_add_u32 s44, s8, s4
	s_addc_u32 s3, s9, s5
	s_lshl_b64 s[4:5], s[30:31], 2
	s_add_u32 s48, s44, s4
	s_addc_u32 s8, s3, s5
	s_and_b32 s45, s3, 0xffff
	s_and_b32 s49, s8, 0xffff
	s_mul_i32 s3, s2, s31
	s_mul_hi_u32 s8, s2, s30
	s_add_i32 s3, s8, s3
	s_mul_i32 s2, s2, s30
	s_lshl_b64 s[2:3], s[2:3], 3
	s_add_u32 s40, s6, s2
	s_addc_u32 s2, s7, s3
	s_add_u32 s52, s40, s4
	s_addc_u32 s3, s2, s5
	s_and_b32 s41, s2, 0xffff
	s_and_b32 s53, s3, 0xffff
	s_mov_b32 s39, 0x20000
	s_add_u32 s56, s0, 48
	s_mov_b32 s35, 0
	s_mov_b32 s43, s39
	v_mov_b32_e32 v53, 0
	s_addc_u32 s57, s1, 0
	s_mov_b64 s[58:59], 0
	s_mov_b32 s33, 0xbfb8aa3b
	s_mov_b32 s60, 0x42ce8ed0
	;; [unrolled: 1-line block ×3, first 2 shown]
	v_mov_b32_e32 v54, 0x7f800000
	s_mov_b32 s62, 0x7060302
	s_mov_b32 s54, s42
	s_mov_b32 s55, s39
	s_mov_b32 s46, s42
	s_mov_b32 s47, s39
	s_mov_b32 s50, s42
	s_mov_b32 s51, s39
.LBB109_8:                              ; =>This Inner Loop Header: Depth=1
	v_lshlrev_b32_e32 v55, 2, v52
	buffer_load_dwordx4 v[24:27], v55, s[48:51], 0 offen
	buffer_load_dwordx4 v[36:39], v55, s[52:55], 0 offen
	;; [unrolled: 1-line block ×15, first 2 shown]
	s_waitcnt vmcnt(13)
	v_pk_add_f32 v[38:39], v[38:39], v[26:27]
	v_pk_add_f32 v[36:37], v[36:37], v[24:25]
	buffer_load_dwordx4 v[24:27], v55, s[44:47], 48 offen
	s_waitcnt vmcnt(11)
	v_pk_add_f32 v[28:29], v[28:29], v[44:45]
	s_waitcnt vmcnt(10)
	v_pk_add_f32 v[32:33], v[48:49], v[32:33]
	v_pk_add_f32 v[34:35], v[50:51], v[34:35]
	s_waitcnt vmcnt(8)
	v_pk_add_f32 v[42:43], v[42:43], v[58:59]
	v_pk_add_f32 v[40:41], v[40:41], v[56:57]
	;; [unrolled: 1-line block ×3, first 2 shown]
	v_cmp_nlt_f32_e32 vcc, s60, v34
	s_waitcnt vmcnt(4)
	v_pk_add_f32 v[6:7], v[6:7], v[22:23]
	s_waitcnt vmcnt(3)
	v_pk_add_f32 v[2:3], v[2:3], v[14:15]
	;; [unrolled: 2-line block ×3, first 2 shown]
	v_pk_add_f32 v[4:5], v[4:5], v[20:21]
	v_pk_add_f32 v[0:1], v[0:1], v[12:13]
	v_mul_f32_e32 v20, 0xbfb8aa3b, v40
	v_mul_f32_e32 v21, 0xbfb8aa3b, v41
	;; [unrolled: 1-line block ×4, first 2 shown]
	v_pk_add_f32 v[10:11], v[62:63], v[10:11]
	v_fma_f32 v59, v40, s33, -v20
	v_rndne_f32_e32 v60, v20
	v_fma_f32 v61, v41, s33, -v21
	v_rndne_f32_e32 v62, v21
	;; [unrolled: 2-line block ×4, first 2 shown]
	v_fmac_f32_e32 v59, 0xb2a5705f, v40
	v_sub_f32_e32 v20, v20, v60
	v_fmac_f32_e32 v61, 0xb2a5705f, v41
	v_sub_f32_e32 v21, v21, v62
	;; [unrolled: 2-line block ×4, first 2 shown]
	v_add_f32_e32 v20, v20, v59
	v_add_f32_e32 v21, v21, v61
	;; [unrolled: 1-line block ×4, first 2 shown]
	v_cvt_i32_f32_e32 v60, v60
	v_cvt_i32_f32_e32 v62, v62
	;; [unrolled: 1-line block ×4, first 2 shown]
	v_exp_f32_e32 v20, v20
	v_exp_f32_e32 v21, v21
	;; [unrolled: 1-line block ×4, first 2 shown]
	v_ldexp_f32 v20, v20, v60
	v_ldexp_f32 v21, v21, v62
	;; [unrolled: 1-line block ×4, first 2 shown]
	v_cmp_nlt_f32_e64 s[0:1], s60, v35
	v_cmp_nlt_f32_e64 s[2:3], s60, v40
	v_cmp_nlt_f32_e64 s[4:5], s60, v41
	v_cmp_nlt_f32_e64 s[6:7], s60, v42
	v_cmp_nlt_f32_e64 s[8:9], s60, v43
	v_cmp_nlt_f32_e64 s[10:11], s60, v8
	v_cmp_nlt_f32_e64 s[12:13], s60, v9
	v_cmp_nlt_f32_e64 s[14:15], s60, v10
	v_cmp_nlt_f32_e64 s[16:17], s60, v11
	v_cmp_nlt_f32_e64 s[26:27], s60, v32
	v_cmp_nlt_f32_e64 s[28:29], s60, v33
	v_cndmask_b32_e64 v20, 0, v20, s[2:3]
	v_cmp_ngt_f32_e64 s[2:3], s61, v40
	v_cndmask_b32_e64 v21, 0, v21, s[4:5]
	v_cmp_ngt_f32_e64 s[4:5], s61, v41
	;; [unrolled: 2-line block ×4, first 2 shown]
	v_cndmask_b32_e64 v20, v54, v20, s[2:3]
	v_cndmask_b32_e64 v21, v54, v21, s[4:5]
	;; [unrolled: 1-line block ×4, first 2 shown]
	v_add_f32_e32 v20, 1.0, v20
	v_add_f32_e32 v21, 1.0, v21
	;; [unrolled: 1-line block ×4, first 2 shown]
	v_rcp_f32_e32 v20, v20
	v_rcp_f32_e32 v21, v21
	;; [unrolled: 1-line block ×3, first 2 shown]
	s_waitcnt vmcnt(0)
	v_pk_add_f32 v[14:15], v[16:17], v[24:25]
	v_mul_f32_e32 v16, 0xbfb8aa3b, v32
	v_fma_f32 v48, v32, s33, -v16
	v_rndne_f32_e32 v49, v16
	v_pk_add_f32 v[12:13], v[18:19], v[26:27]
	v_mul_f32_e32 v17, 0xbfb8aa3b, v33
	v_mul_f32_e32 v18, 0xbfb8aa3b, v34
	;; [unrolled: 1-line block ×4, first 2 shown]
	v_fmac_f32_e32 v48, 0xb2a5705f, v32
	v_sub_f32_e32 v16, v16, v49
	v_fma_f32 v50, v33, s33, -v17
	v_rndne_f32_e32 v51, v17
	v_fma_f32 v55, v34, s33, -v18
	v_rndne_f32_e32 v56, v18
	;; [unrolled: 2-line block ×3, first 2 shown]
	v_fma_f32 v67, v8, s33, -v24
	v_add_f32_e32 v16, v16, v48
	v_rndne_f32_e32 v48, v24
	v_mul_f32_e32 v25, 0xbfb8aa3b, v9
	v_mul_f32_e32 v26, 0xbfb8aa3b, v10
	;; [unrolled: 1-line block ×4, first 2 shown]
	v_fmac_f32_e32 v50, 0xb2a5705f, v33
	v_sub_f32_e32 v17, v17, v51
	v_fmac_f32_e32 v55, 0xb2a5705f, v34
	v_sub_f32_e32 v18, v18, v56
	;; [unrolled: 2-line block ×4, first 2 shown]
	v_add_f32_e32 v17, v17, v50
	v_fma_f32 v50, v9, s33, -v25
	v_add_f32_e32 v18, v18, v55
	v_rndne_f32_e32 v55, v25
	v_add_f32_e32 v19, v19, v57
	v_fma_f32 v57, v10, s33, -v26
	v_rndne_f32_e32 v59, v26
	v_fma_f32 v61, v11, s33, -v27
	v_rndne_f32_e32 v63, v27
	v_fma_f32 v65, v14, s33, -v44
	v_add_f32_e32 v24, v24, v67
	v_rndne_f32_e32 v67, v44
	v_mul_f32_e32 v45, 0xbfb8aa3b, v15
	v_mul_f32_e32 v46, 0xbfb8aa3b, v12
	v_fmac_f32_e32 v50, 0xb2a5705f, v9
	v_sub_f32_e32 v25, v25, v55
	v_fmac_f32_e32 v57, 0xb2a5705f, v10
	v_sub_f32_e32 v26, v26, v59
	;; [unrolled: 2-line block ×4, first 2 shown]
	v_add_f32_e32 v25, v25, v50
	v_fma_f32 v50, v15, s33, -v45
	v_add_f32_e32 v26, v26, v57
	v_rndne_f32_e32 v57, v45
	v_add_f32_e32 v27, v27, v61
	v_fma_f32 v61, v12, s33, -v46
	v_add_f32_e32 v44, v44, v65
	v_rndne_f32_e32 v65, v46
	v_mul_f32_e32 v47, 0xbfb8aa3b, v13
	v_fmac_f32_e32 v50, 0xb2a5705f, v15
	v_sub_f32_e32 v45, v45, v57
	v_fmac_f32_e32 v61, 0xb2a5705f, v12
	v_sub_f32_e32 v46, v46, v65
	v_add_f32_e32 v45, v45, v50
	v_fma_f32 v50, v13, s33, -v47
	v_add_f32_e32 v46, v46, v61
	v_rndne_f32_e32 v61, v47
	v_fmac_f32_e32 v50, 0xb2a5705f, v13
	v_sub_f32_e32 v47, v47, v61
	v_add_f32_e32 v47, v47, v50
	v_cvt_i32_f32_e32 v49, v49
	v_cvt_i32_f32_e32 v51, v51
	;; [unrolled: 1-line block ×8, first 2 shown]
	v_exp_f32_e32 v16, v16
	v_exp_f32_e32 v17, v17
	;; [unrolled: 1-line block ×8, first 2 shown]
	v_cvt_i32_f32_e32 v67, v67
	v_cvt_i32_f32_e32 v57, v57
	;; [unrolled: 1-line block ×4, first 2 shown]
	v_exp_f32_e32 v44, v44
	v_exp_f32_e32 v45, v45
	;; [unrolled: 1-line block ×4, first 2 shown]
	v_ldexp_f32 v16, v16, v49
	v_ldexp_f32 v17, v17, v51
	;; [unrolled: 1-line block ×11, first 2 shown]
	v_cmp_nlt_f32_e64 s[18:19], s60, v14
	v_cmp_nlt_f32_e64 s[20:21], s60, v15
	;; [unrolled: 1-line block ×3, first 2 shown]
	v_ldexp_f32 v47, v47, v61
	v_cmp_nlt_f32_e64 s[24:25], s60, v13
	v_cndmask_b32_e64 v17, 0, v17, s[28:29]
	v_cmp_ngt_f32_e64 s[28:29], s61, v33
	v_cndmask_b32_e32 v18, 0, v18, vcc
	v_cmp_ngt_f32_e32 vcc, s61, v34
	v_cndmask_b32_e64 v16, 0, v16, s[26:27]
	v_cndmask_b32_e64 v19, 0, v19, s[0:1]
	v_cmp_ngt_f32_e64 s[0:1], s61, v35
	v_cndmask_b32_e64 v24, 0, v24, s[10:11]
	v_cmp_ngt_f32_e64 s[10:11], s61, v8
	;; [unrolled: 2-line block ×5, first 2 shown]
	v_cmp_ngt_f32_e64 s[26:27], s61, v32
	v_cndmask_b32_e64 v44, 0, v44, s[18:19]
	v_cmp_ngt_f32_e64 s[18:19], s61, v14
	v_cndmask_b32_e64 v45, 0, v45, s[20:21]
	;; [unrolled: 2-line block ×5, first 2 shown]
	v_cndmask_b32_e64 v17, v54, v17, s[28:29]
	v_cndmask_b32_e32 v18, v54, v18, vcc
	v_cndmask_b32_e64 v19, v54, v19, s[0:1]
	v_cndmask_b32_e64 v24, v54, v24, s[10:11]
	;; [unrolled: 1-line block ×9, first 2 shown]
	v_add_f32_e32 v16, 1.0, v16
	v_add_f32_e32 v17, 1.0, v17
	;; [unrolled: 1-line block ×12, first 2 shown]
	v_rcp_f32_e32 v16, v16
	v_rcp_f32_e32 v17, v17
	;; [unrolled: 1-line block ×13, first 2 shown]
	v_pk_mul_f32 v[16:17], v[32:33], v[16:17]
	v_pk_mul_f32 v[18:19], v[34:35], v[18:19]
	;; [unrolled: 1-line block ×8, first 2 shown]
	;;#ASMSTART
	v_pk_mul_f32 v[16:17], v[16:17], v[36:37]
	;;#ASMEND
	;;#ASMSTART
	v_pk_mul_f32 v[18:19], v[18:19], v[38:39]
	;;#ASMEND
	;; [unrolled: 3-line block ×7, first 2 shown]
	s_nop 0
	;;#ASMSTART
	v_pk_mul_f32 v[6:7], v[12:13], v[2:3]
	;;#ASMEND
	s_load_dword s0, s[56:57], 0xc
	v_lshlrev_b32_e32 v50, 1, v52
	v_perm_b32 v1, v19, v18, s62
	v_perm_b32 v3, v23, v22, s62
	;; [unrolled: 1-line block ×3, first 2 shown]
	s_waitcnt lgkmcnt(0)
	s_and_b32 s0, s0, 0xffff
	s_lshl_b32 s34, s0, 4
	v_lshl_add_u64 v[52:53], s[34:35], 0, v[52:53]
	v_cmp_le_i64_e32 vcc, s[30:31], v[52:53]
	v_perm_b32 v2, v21, v20, s62
	v_perm_b32 v5, v5, v4, s62
	;; [unrolled: 1-line block ×5, first 2 shown]
	s_or_b64 s[58:59], vcc, s[58:59]
	buffer_store_dwordx4 v[0:3], v50, s[36:39], 0 offen
	buffer_store_dwordx4 v[4:7], v50, s[36:39], 16 offen
	s_andn2_b64 exec, exec, s[58:59]
	s_cbranch_execnz .LBB109_8
.LBB109_9:
	s_endpgm
	.section	.rodata,"a",@progbits
	.p2align	6, 0x0
	.amdhsa_kernel _ZN5aiter23act_and_mul_bias_kernelIftafTnPFfRKT2_EXadL_ZNS_11silu_kernelIfEEfRKT_EELi16EEEvPT0_PS8_PKT1_PS2_il
		.amdhsa_group_segment_fixed_size 0
		.amdhsa_private_segment_fixed_size 0
		.amdhsa_kernarg_size 304
		.amdhsa_user_sgpr_count 2
		.amdhsa_user_sgpr_dispatch_ptr 0
		.amdhsa_user_sgpr_queue_ptr 0
		.amdhsa_user_sgpr_kernarg_segment_ptr 1
		.amdhsa_user_sgpr_dispatch_id 0
		.amdhsa_user_sgpr_kernarg_preload_length 0
		.amdhsa_user_sgpr_kernarg_preload_offset 0
		.amdhsa_user_sgpr_private_segment_size 0
		.amdhsa_uses_dynamic_stack 0
		.amdhsa_enable_private_segment 0
		.amdhsa_system_sgpr_workgroup_id_x 1
		.amdhsa_system_sgpr_workgroup_id_y 0
		.amdhsa_system_sgpr_workgroup_id_z 0
		.amdhsa_system_sgpr_workgroup_info 0
		.amdhsa_system_vgpr_workitem_id 0
		.amdhsa_next_free_vgpr 68
		.amdhsa_next_free_sgpr 63
		.amdhsa_accum_offset 68
		.amdhsa_reserve_vcc 1
		.amdhsa_float_round_mode_32 0
		.amdhsa_float_round_mode_16_64 0
		.amdhsa_float_denorm_mode_32 3
		.amdhsa_float_denorm_mode_16_64 3
		.amdhsa_dx10_clamp 1
		.amdhsa_ieee_mode 1
		.amdhsa_fp16_overflow 0
		.amdhsa_tg_split 0
		.amdhsa_exception_fp_ieee_invalid_op 0
		.amdhsa_exception_fp_denorm_src 0
		.amdhsa_exception_fp_ieee_div_zero 0
		.amdhsa_exception_fp_ieee_overflow 0
		.amdhsa_exception_fp_ieee_underflow 0
		.amdhsa_exception_fp_ieee_inexact 0
		.amdhsa_exception_int_div_zero 0
	.end_amdhsa_kernel
	.section	.text._ZN5aiter23act_and_mul_bias_kernelIftafTnPFfRKT2_EXadL_ZNS_11silu_kernelIfEEfRKT_EELi16EEEvPT0_PS8_PKT1_PS2_il,"axG",@progbits,_ZN5aiter23act_and_mul_bias_kernelIftafTnPFfRKT2_EXadL_ZNS_11silu_kernelIfEEfRKT_EELi16EEEvPT0_PS8_PKT1_PS2_il,comdat
.Lfunc_end109:
	.size	_ZN5aiter23act_and_mul_bias_kernelIftafTnPFfRKT2_EXadL_ZNS_11silu_kernelIfEEfRKT_EELi16EEEvPT0_PS8_PKT1_PS2_il, .Lfunc_end109-_ZN5aiter23act_and_mul_bias_kernelIftafTnPFfRKT2_EXadL_ZNS_11silu_kernelIfEEfRKT_EELi16EEEvPT0_PS8_PKT1_PS2_il
                                        ; -- End function
	.section	.AMDGPU.csdata,"",@progbits
; Kernel info:
; codeLenInByte = 2580
; NumSgprs: 69
; NumVgprs: 68
; NumAgprs: 0
; TotalNumVgprs: 68
; ScratchSize: 0
; MemoryBound: 0
; FloatMode: 240
; IeeeMode: 1
; LDSByteSize: 0 bytes/workgroup (compile time only)
; SGPRBlocks: 8
; VGPRBlocks: 8
; NumSGPRsForWavesPerEU: 69
; NumVGPRsForWavesPerEU: 68
; AccumOffset: 68
; Occupancy: 7
; WaveLimiterHint : 0
; COMPUTE_PGM_RSRC2:SCRATCH_EN: 0
; COMPUTE_PGM_RSRC2:USER_SGPR: 2
; COMPUTE_PGM_RSRC2:TRAP_HANDLER: 0
; COMPUTE_PGM_RSRC2:TGID_X_EN: 1
; COMPUTE_PGM_RSRC2:TGID_Y_EN: 0
; COMPUTE_PGM_RSRC2:TGID_Z_EN: 0
; COMPUTE_PGM_RSRC2:TIDIG_COMP_CNT: 0
; COMPUTE_PGM_RSRC3_GFX90A:ACCUM_OFFSET: 16
; COMPUTE_PGM_RSRC3_GFX90A:TG_SPLIT: 0
	.section	.text._ZN5aiter23act_and_mul_bias_kernelIftafTnPFfRKT2_EXadL_ZNS_11silu_kernelIfEEfRKT_EELi8EEEvPT0_PS8_PKT1_PS2_il,"axG",@progbits,_ZN5aiter23act_and_mul_bias_kernelIftafTnPFfRKT2_EXadL_ZNS_11silu_kernelIfEEfRKT_EELi8EEEvPT0_PS8_PKT1_PS2_il,comdat
	.protected	_ZN5aiter23act_and_mul_bias_kernelIftafTnPFfRKT2_EXadL_ZNS_11silu_kernelIfEEfRKT_EELi8EEEvPT0_PS8_PKT1_PS2_il ; -- Begin function _ZN5aiter23act_and_mul_bias_kernelIftafTnPFfRKT2_EXadL_ZNS_11silu_kernelIfEEfRKT_EELi8EEEvPT0_PS8_PKT1_PS2_il
	.globl	_ZN5aiter23act_and_mul_bias_kernelIftafTnPFfRKT2_EXadL_ZNS_11silu_kernelIfEEfRKT_EELi8EEEvPT0_PS8_PKT1_PS2_il
	.p2align	8
	.type	_ZN5aiter23act_and_mul_bias_kernelIftafTnPFfRKT2_EXadL_ZNS_11silu_kernelIfEEfRKT_EELi8EEEvPT0_PS8_PKT1_PS2_il,@function
_ZN5aiter23act_and_mul_bias_kernelIftafTnPFfRKT2_EXadL_ZNS_11silu_kernelIfEEfRKT_EELi8EEEvPT0_PS8_PKT1_PS2_il: ; @_ZN5aiter23act_and_mul_bias_kernelIftafTnPFfRKT2_EXadL_ZNS_11silu_kernelIfEEfRKT_EELi8EEEvPT0_PS8_PKT1_PS2_il
; %bb.0:
	s_load_dwordx2 s[4:5], s[0:1], 0x10
	s_load_dword s14, s[0:1], 0x20
	s_load_dwordx2 s[8:9], s[0:1], 0x28
	v_mov_b32_e32 v1, s2
	s_load_dwordx2 s[10:11], s[0:1], 0x0
	s_waitcnt lgkmcnt(0)
	global_load_ubyte v1, v1, s[4:5]
	s_ashr_i32 s15, s14, 31
	s_mul_hi_u32 s3, s14, s2
	s_mul_i32 s4, s15, s2
	s_add_i32 s13, s3, s4
	s_mov_b32 s5, 0
	s_mul_i32 s12, s14, s2
	v_mov_b64_e32 v[2:3], s[8:9]
	s_lshl_b64 s[8:9], s[12:13], 1
	s_mov_b64 s[6:7], -1
	s_waitcnt vmcnt(0)
	v_readfirstlane_b32 s3, v1
	s_nop 1
	v_mov_b32_e32 v4, s3
	s_sext_i32_i8 s3, s3
	v_readfirstlane_b32 s4, v4
	s_bfe_i64 s[4:5], s[4:5], 0x80000
	s_add_u32 s16, s10, s8
	v_cmp_lt_i64_e32 vcc, s[4:5], v[2:3]
	s_addc_u32 s5, s11, s9
	s_add_i32 s8, s14, 1
	s_lshr_b32 s9, s8, 31
	s_add_i32 s8, s8, s9
	s_and_b32 s17, s5, 0xffff
	s_lshl_b32 s5, s8, 1
	s_and_b32 s18, s5, -4
	s_cmp_gt_i32 s3, -1
	s_cselect_b64 s[8:9], -1, 0
	s_and_b64 s[8:9], s[8:9], vcc
	s_and_b64 vcc, exec, s[8:9]
	v_lshlrev_b32_e32 v4, 3, v0
	s_cbranch_vccnz .LBB110_5
; %bb.1:
	v_cmp_gt_i32_e32 vcc, s14, v4
	s_and_saveexec_b64 s[6:7], vcc
	s_cbranch_execz .LBB110_4
; %bb.2:
	s_load_dword s3, s[0:1], 0x3c
	v_mov_b32_e32 v5, 0
	s_mov_b32 s9, 0
	v_lshlrev_b32_e32 v8, 4, v0
	s_mov_b64 s[10:11], 0
	s_waitcnt lgkmcnt(0)
	s_and_b32 s3, s3, 0xffff
	s_lshl_b32 s8, s3, 3
	s_lshl_b32 s3, s3, 4
	s_mov_b32 s19, 0x20000
	v_mov_b32_e32 v0, v5
	v_mov_b32_e32 v1, v5
	;; [unrolled: 1-line block ×4, first 2 shown]
	v_mov_b64_e32 v[6:7], v[4:5]
.LBB110_3:                              ; =>This Inner Loop Header: Depth=1
	v_lshl_add_u64 v[6:7], s[8:9], 0, v[6:7]
	v_cmp_le_i64_e32 vcc, s[14:15], v[6:7]
	buffer_store_dwordx4 v[0:3], v8, s[16:19], 0 offen
	s_or_b64 s[10:11], vcc, s[10:11]
	v_add_u32_e32 v8, s3, v8
	s_andn2_b64 exec, exec, s[10:11]
	s_cbranch_execnz .LBB110_3
.LBB110_4:
	s_or_b64 exec, exec, s[6:7]
	s_mov_b64 s[6:7], 0
.LBB110_5:
	s_andn2_b64 vcc, exec, s[6:7]
	s_cbranch_vccnz .LBB110_9
; %bb.6:
	v_cmp_gt_i32_e32 vcc, s14, v4
	s_and_saveexec_b64 s[6:7], vcc
	s_cbranch_execz .LBB110_9
; %bb.7:
	s_load_dwordx2 s[6:7], s[0:1], 0x8
	s_load_dwordx2 s[8:9], s[0:1], 0x18
	s_mul_hi_i32 s5, s14, s4
	s_mul_i32 s4, s14, s4
	s_lshl_b32 s22, s14, 2
	s_lshl_b64 s[4:5], s[4:5], 3
	s_waitcnt lgkmcnt(0)
	s_add_u32 s24, s8, s4
	s_addc_u32 s3, s9, s5
	s_lshl_b64 s[4:5], s[14:15], 2
	s_add_u32 s28, s24, s4
	s_addc_u32 s8, s3, s5
	s_and_b32 s25, s3, 0xffff
	s_and_b32 s29, s8, 0xffff
	s_mul_i32 s3, s2, s15
	s_mul_hi_u32 s8, s2, s14
	s_add_i32 s3, s8, s3
	s_mul_i32 s2, s2, s14
	s_lshl_b64 s[2:3], s[2:3], 3
	s_add_u32 s20, s6, s2
	s_addc_u32 s2, s7, s3
	s_add_u32 s36, s20, s4
	s_addc_u32 s3, s2, s5
	s_and_b32 s21, s2, 0xffff
	s_and_b32 s37, s3, 0xffff
	s_mov_b32 s19, 0x20000
	s_add_u32 s40, s0, 48
	s_mov_b32 s35, 0
	s_mov_b32 s23, s19
	v_mov_b32_e32 v5, 0
	s_addc_u32 s41, s1, 0
	s_mov_b64 s[42:43], 0
	s_mov_b32 s33, 0xbfb8aa3b
	s_mov_b32 s44, 0x42ce8ed0
	;; [unrolled: 1-line block ×3, first 2 shown]
	v_mov_b32_e32 v10, 0x7f800000
	s_mov_b32 s46, 0x7060302
	s_mov_b32 s38, s22
	;; [unrolled: 1-line block ×7, first 2 shown]
.LBB110_8:                              ; =>This Inner Loop Header: Depth=1
	v_lshlrev_b32_e32 v0, 2, v4
	buffer_load_dwordx4 v[6:9], v0, s[28:31], 0 offen
	buffer_load_dwordx4 v[12:15], v0, s[36:39], 0 offen
	;; [unrolled: 1-line block ×8, first 2 shown]
	v_lshlrev_b32_e32 v11, 1, v4
	s_waitcnt vmcnt(6)
	v_pk_add_f32 v[0:1], v[14:15], v[8:9]
	v_pk_add_f32 v[2:3], v[12:13], v[6:7]
	s_waitcnt vmcnt(4)
	v_pk_add_f32 v[14:15], v[16:17], v[20:21]
	v_pk_add_f32 v[12:13], v[18:19], v[22:23]
	v_mul_f32_e32 v20, 0xbfb8aa3b, v14
	v_mul_f32_e32 v21, 0xbfb8aa3b, v15
	s_waitcnt vmcnt(0)
	v_pk_add_f32 v[16:17], v[34:35], v[38:39]
	v_pk_add_f32 v[18:19], v[32:33], v[36:37]
	;; [unrolled: 1-line block ×4, first 2 shown]
	v_mul_f32_e32 v22, 0xbfb8aa3b, v12
	v_mul_f32_e32 v23, 0xbfb8aa3b, v13
	;; [unrolled: 1-line block ×6, first 2 shown]
	v_fma_f32 v28, v14, s33, -v20
	v_rndne_f32_e32 v29, v20
	v_fma_f32 v30, v15, s33, -v21
	v_rndne_f32_e32 v31, v21
	;; [unrolled: 2-line block ×8, first 2 shown]
	v_fmac_f32_e32 v28, 0xb2a5705f, v14
	v_sub_f32_e32 v20, v20, v29
	v_fmac_f32_e32 v30, 0xb2a5705f, v15
	v_sub_f32_e32 v21, v21, v31
	;; [unrolled: 2-line block ×8, first 2 shown]
	v_add_f32_e32 v20, v20, v28
	v_add_f32_e32 v21, v21, v30
	v_cvt_i32_f32_e32 v29, v29
	v_cvt_i32_f32_e32 v31, v31
	v_add_f32_e32 v22, v22, v32
	v_add_f32_e32 v23, v23, v34
	;; [unrolled: 1-line block ×6, first 2 shown]
	v_exp_f32_e32 v20, v20
	v_exp_f32_e32 v21, v21
	v_cvt_i32_f32_e32 v33, v33
	v_cvt_i32_f32_e32 v35, v35
	;; [unrolled: 1-line block ×6, first 2 shown]
	v_exp_f32_e32 v22, v22
	v_exp_f32_e32 v23, v23
	;; [unrolled: 1-line block ×6, first 2 shown]
	v_ldexp_f32 v20, v20, v29
	v_ldexp_f32 v21, v21, v31
	v_cmp_nlt_f32_e32 vcc, s44, v15
	v_cmp_nlt_f32_e64 s[12:13], s44, v14
	v_ldexp_f32 v22, v22, v33
	v_cmp_nlt_f32_e64 s[0:1], s44, v12
	v_ldexp_f32 v23, v23, v35
	;; [unrolled: 2-line block ×6, first 2 shown]
	v_cmp_nlt_f32_e64 s[10:11], s44, v17
	v_cndmask_b32_e64 v20, 0, v20, s[12:13]
	v_cndmask_b32_e32 v21, 0, v21, vcc
	v_cmp_ngt_f32_e32 vcc, s45, v15
	v_cmp_ngt_f32_e64 s[12:13], s45, v14
	v_cndmask_b32_e64 v22, 0, v22, s[0:1]
	v_cmp_ngt_f32_e64 s[0:1], s45, v12
	v_cndmask_b32_e64 v23, 0, v23, s[2:3]
	;; [unrolled: 2-line block ×7, first 2 shown]
	v_cndmask_b32_e32 v21, v10, v21, vcc
	v_cndmask_b32_e64 v22, v10, v22, s[0:1]
	v_cndmask_b32_e64 v23, v10, v23, s[2:3]
	;; [unrolled: 1-line block ×6, first 2 shown]
	v_add_f32_e32 v20, 1.0, v20
	v_add_f32_e32 v21, 1.0, v21
	;; [unrolled: 1-line block ×8, first 2 shown]
	v_rcp_f32_e32 v20, v20
	v_rcp_f32_e32 v21, v21
	;; [unrolled: 1-line block ×8, first 2 shown]
	v_pk_mul_f32 v[14:15], v[14:15], v[20:21]
	v_pk_mul_f32 v[12:13], v[12:13], v[22:23]
	;; [unrolled: 1-line block ×4, first 2 shown]
	;;#ASMSTART
	v_pk_mul_f32 v[14:15], v[14:15], v[2:3]
	;;#ASMEND
	;;#ASMSTART
	v_pk_mul_f32 v[0:1], v[12:13], v[0:1]
	;;#ASMEND
	;; [unrolled: 3-line block ×3, first 2 shown]
	s_nop 0
	;;#ASMSTART
	v_pk_mul_f32 v[2:3], v[16:17], v[6:7]
	;;#ASMEND
	s_load_dword s0, s[40:41], 0xc
	v_perm_b32 v1, v1, v0, s46
	v_perm_b32 v3, v3, v2, s46
	;; [unrolled: 1-line block ×4, first 2 shown]
	s_waitcnt lgkmcnt(0)
	s_and_b32 s0, s0, 0xffff
	s_lshl_b32 s34, s0, 3
	v_lshl_add_u64 v[4:5], s[34:35], 0, v[4:5]
	v_cmp_le_i64_e32 vcc, s[14:15], v[4:5]
	s_or_b64 s[42:43], vcc, s[42:43]
	buffer_store_dwordx4 v[0:3], v11, s[16:19], 0 offen
	s_andn2_b64 exec, exec, s[42:43]
	s_cbranch_execnz .LBB110_8
.LBB110_9:
	s_endpgm
	.section	.rodata,"a",@progbits
	.p2align	6, 0x0
	.amdhsa_kernel _ZN5aiter23act_and_mul_bias_kernelIftafTnPFfRKT2_EXadL_ZNS_11silu_kernelIfEEfRKT_EELi8EEEvPT0_PS8_PKT1_PS2_il
		.amdhsa_group_segment_fixed_size 0
		.amdhsa_private_segment_fixed_size 0
		.amdhsa_kernarg_size 304
		.amdhsa_user_sgpr_count 2
		.amdhsa_user_sgpr_dispatch_ptr 0
		.amdhsa_user_sgpr_queue_ptr 0
		.amdhsa_user_sgpr_kernarg_segment_ptr 1
		.amdhsa_user_sgpr_dispatch_id 0
		.amdhsa_user_sgpr_kernarg_preload_length 0
		.amdhsa_user_sgpr_kernarg_preload_offset 0
		.amdhsa_user_sgpr_private_segment_size 0
		.amdhsa_uses_dynamic_stack 0
		.amdhsa_enable_private_segment 0
		.amdhsa_system_sgpr_workgroup_id_x 1
		.amdhsa_system_sgpr_workgroup_id_y 0
		.amdhsa_system_sgpr_workgroup_id_z 0
		.amdhsa_system_sgpr_workgroup_info 0
		.amdhsa_system_vgpr_workitem_id 0
		.amdhsa_next_free_vgpr 44
		.amdhsa_next_free_sgpr 47
		.amdhsa_accum_offset 44
		.amdhsa_reserve_vcc 1
		.amdhsa_float_round_mode_32 0
		.amdhsa_float_round_mode_16_64 0
		.amdhsa_float_denorm_mode_32 3
		.amdhsa_float_denorm_mode_16_64 3
		.amdhsa_dx10_clamp 1
		.amdhsa_ieee_mode 1
		.amdhsa_fp16_overflow 0
		.amdhsa_tg_split 0
		.amdhsa_exception_fp_ieee_invalid_op 0
		.amdhsa_exception_fp_denorm_src 0
		.amdhsa_exception_fp_ieee_div_zero 0
		.amdhsa_exception_fp_ieee_overflow 0
		.amdhsa_exception_fp_ieee_underflow 0
		.amdhsa_exception_fp_ieee_inexact 0
		.amdhsa_exception_int_div_zero 0
	.end_amdhsa_kernel
	.section	.text._ZN5aiter23act_and_mul_bias_kernelIftafTnPFfRKT2_EXadL_ZNS_11silu_kernelIfEEfRKT_EELi8EEEvPT0_PS8_PKT1_PS2_il,"axG",@progbits,_ZN5aiter23act_and_mul_bias_kernelIftafTnPFfRKT2_EXadL_ZNS_11silu_kernelIfEEfRKT_EELi8EEEvPT0_PS8_PKT1_PS2_il,comdat
.Lfunc_end110:
	.size	_ZN5aiter23act_and_mul_bias_kernelIftafTnPFfRKT2_EXadL_ZNS_11silu_kernelIfEEfRKT_EELi8EEEvPT0_PS8_PKT1_PS2_il, .Lfunc_end110-_ZN5aiter23act_and_mul_bias_kernelIftafTnPFfRKT2_EXadL_ZNS_11silu_kernelIfEEfRKT_EELi8EEEvPT0_PS8_PKT1_PS2_il
                                        ; -- End function
	.section	.AMDGPU.csdata,"",@progbits
; Kernel info:
; codeLenInByte = 1576
; NumSgprs: 53
; NumVgprs: 44
; NumAgprs: 0
; TotalNumVgprs: 44
; ScratchSize: 0
; MemoryBound: 0
; FloatMode: 240
; IeeeMode: 1
; LDSByteSize: 0 bytes/workgroup (compile time only)
; SGPRBlocks: 6
; VGPRBlocks: 5
; NumSGPRsForWavesPerEU: 53
; NumVGPRsForWavesPerEU: 44
; AccumOffset: 44
; Occupancy: 8
; WaveLimiterHint : 0
; COMPUTE_PGM_RSRC2:SCRATCH_EN: 0
; COMPUTE_PGM_RSRC2:USER_SGPR: 2
; COMPUTE_PGM_RSRC2:TRAP_HANDLER: 0
; COMPUTE_PGM_RSRC2:TGID_X_EN: 1
; COMPUTE_PGM_RSRC2:TGID_Y_EN: 0
; COMPUTE_PGM_RSRC2:TGID_Z_EN: 0
; COMPUTE_PGM_RSRC2:TIDIG_COMP_CNT: 0
; COMPUTE_PGM_RSRC3_GFX90A:ACCUM_OFFSET: 10
; COMPUTE_PGM_RSRC3_GFX90A:TG_SPLIT: 0
	.section	.text._ZN5aiter23act_and_mul_bias_kernelIftafTnPFfRKT2_EXadL_ZNS_11silu_kernelIfEEfRKT_EELi4EEEvPT0_PS8_PKT1_PS2_il,"axG",@progbits,_ZN5aiter23act_and_mul_bias_kernelIftafTnPFfRKT2_EXadL_ZNS_11silu_kernelIfEEfRKT_EELi4EEEvPT0_PS8_PKT1_PS2_il,comdat
	.protected	_ZN5aiter23act_and_mul_bias_kernelIftafTnPFfRKT2_EXadL_ZNS_11silu_kernelIfEEfRKT_EELi4EEEvPT0_PS8_PKT1_PS2_il ; -- Begin function _ZN5aiter23act_and_mul_bias_kernelIftafTnPFfRKT2_EXadL_ZNS_11silu_kernelIfEEfRKT_EELi4EEEvPT0_PS8_PKT1_PS2_il
	.globl	_ZN5aiter23act_and_mul_bias_kernelIftafTnPFfRKT2_EXadL_ZNS_11silu_kernelIfEEfRKT_EELi4EEEvPT0_PS8_PKT1_PS2_il
	.p2align	8
	.type	_ZN5aiter23act_and_mul_bias_kernelIftafTnPFfRKT2_EXadL_ZNS_11silu_kernelIfEEfRKT_EELi4EEEvPT0_PS8_PKT1_PS2_il,@function
_ZN5aiter23act_and_mul_bias_kernelIftafTnPFfRKT2_EXadL_ZNS_11silu_kernelIfEEfRKT_EELi4EEEvPT0_PS8_PKT1_PS2_il: ; @_ZN5aiter23act_and_mul_bias_kernelIftafTnPFfRKT2_EXadL_ZNS_11silu_kernelIfEEfRKT_EELi4EEEvPT0_PS8_PKT1_PS2_il
; %bb.0:
	s_load_dwordx2 s[4:5], s[0:1], 0x10
	s_load_dword s6, s[0:1], 0x20
	s_load_dwordx2 s[8:9], s[0:1], 0x28
	v_mov_b32_e32 v1, s2
	s_load_dwordx2 s[10:11], s[0:1], 0x0
	s_waitcnt lgkmcnt(0)
	global_load_ubyte v1, v1, s[4:5]
	s_ashr_i32 s7, s6, 31
	s_mul_hi_u32 s3, s6, s2
	s_mul_i32 s4, s7, s2
	s_add_i32 s15, s3, s4
	s_mov_b32 s5, 0
	s_mul_i32 s14, s6, s2
	v_mov_b64_e32 v[2:3], s[8:9]
	s_lshl_b64 s[8:9], s[14:15], 1
	s_mov_b64 s[12:13], -1
	s_waitcnt vmcnt(0)
	v_readfirstlane_b32 s3, v1
	s_nop 1
	v_mov_b32_e32 v4, s3
	s_sext_i32_i8 s3, s3
	v_readfirstlane_b32 s4, v4
	s_bfe_i64 s[4:5], s[4:5], 0x80000
	s_add_u32 s8, s10, s8
	v_cmp_lt_i64_e32 vcc, s[4:5], v[2:3]
	s_addc_u32 s5, s11, s9
	s_add_i32 s10, s6, 1
	s_lshr_b32 s11, s10, 31
	s_add_i32 s10, s10, s11
	s_and_b32 s9, s5, 0xffff
	s_lshl_b32 s5, s10, 1
	s_and_b32 s10, s5, -4
	s_cmp_gt_i32 s3, -1
	s_cselect_b64 s[14:15], -1, 0
	s_and_b64 s[14:15], s[14:15], vcc
	s_and_b64 vcc, exec, s[14:15]
	v_lshlrev_b32_e32 v2, 2, v0
	s_cbranch_vccnz .LBB111_5
; %bb.1:
	v_cmp_gt_i32_e32 vcc, s6, v2
	s_and_saveexec_b64 s[12:13], vcc
	s_cbranch_execz .LBB111_4
; %bb.2:
	s_load_dword s3, s[0:1], 0x3c
	v_mov_b32_e32 v3, 0
	s_mov_b32 s15, 0
	v_lshlrev_b32_e32 v6, 3, v0
	s_mov_b64 s[16:17], 0
	s_waitcnt lgkmcnt(0)
	s_and_b32 s3, s3, 0xffff
	s_lshl_b32 s14, s3, 2
	s_lshl_b32 s3, s3, 3
	s_mov_b32 s11, 0x20000
	v_mov_b32_e32 v0, v3
	v_mov_b32_e32 v1, v3
	v_mov_b64_e32 v[4:5], v[2:3]
.LBB111_3:                              ; =>This Inner Loop Header: Depth=1
	v_lshl_add_u64 v[4:5], s[14:15], 0, v[4:5]
	v_cmp_le_i64_e32 vcc, s[6:7], v[4:5]
	buffer_store_dwordx2 v[0:1], v6, s[8:11], 0 offen
	s_or_b64 s[16:17], vcc, s[16:17]
	v_add_u32_e32 v6, s3, v6
	s_andn2_b64 exec, exec, s[16:17]
	s_cbranch_execnz .LBB111_3
.LBB111_4:
	s_or_b64 exec, exec, s[12:13]
	s_mov_b64 s[12:13], 0
.LBB111_5:
	s_andn2_b64 vcc, exec, s[12:13]
	s_cbranch_vccnz .LBB111_9
; %bb.6:
	v_cmp_gt_i32_e32 vcc, s6, v2
	s_and_saveexec_b64 s[12:13], vcc
	s_cbranch_execz .LBB111_9
; %bb.7:
	s_load_dwordx2 s[12:13], s[0:1], 0x8
	s_load_dwordx2 s[16:17], s[0:1], 0x18
	s_mul_hi_i32 s5, s6, s4
	s_mul_i32 s4, s6, s4
	s_lshl_b32 s14, s6, 2
	s_lshl_b64 s[4:5], s[4:5], 3
	s_waitcnt lgkmcnt(0)
	s_add_u32 s16, s16, s4
	s_addc_u32 s3, s17, s5
	s_lshl_b64 s[4:5], s[6:7], 2
	s_add_u32 s20, s16, s4
	s_addc_u32 s18, s3, s5
	s_and_b32 s17, s3, 0xffff
	s_and_b32 s21, s18, 0xffff
	s_mul_i32 s3, s2, s7
	s_mul_hi_u32 s18, s2, s6
	s_add_i32 s3, s18, s3
	s_mul_i32 s2, s2, s6
	s_lshl_b64 s[2:3], s[2:3], 3
	s_add_u32 s12, s12, s2
	s_addc_u32 s2, s13, s3
	s_add_u32 s24, s12, s4
	s_addc_u32 s3, s2, s5
	s_and_b32 s13, s2, 0xffff
	s_and_b32 s25, s3, 0xffff
	s_mov_b32 s11, 0x20000
	s_add_u32 s30, s0, 48
	s_mov_b32 s29, 0
	s_mov_b32 s15, s11
	v_mov_b32_e32 v3, 0
	s_addc_u32 s31, s1, 0
	s_mov_b64 s[34:35], 0
	s_mov_b32 s33, 0xbfb8aa3b
	s_mov_b32 s36, 0x42ce8ed0
	;; [unrolled: 1-line block ×3, first 2 shown]
	v_mov_b32_e32 v0, 0x7f800000
	s_mov_b32 s38, 0x7060302
	s_mov_b32 s26, s14
	;; [unrolled: 1-line block ×7, first 2 shown]
.LBB111_8:                              ; =>This Inner Loop Header: Depth=1
	v_lshlrev_b32_e32 v1, 2, v2
	buffer_load_dwordx4 v[4:7], v1, s[12:15], 0 offen
	buffer_load_dwordx4 v[8:11], v1, s[24:27], 0 offen
	;; [unrolled: 1-line block ×4, first 2 shown]
	s_waitcnt vmcnt(1)
	v_pk_add_f32 v[6:7], v[6:7], v[14:15]
	v_pk_add_f32 v[4:5], v[4:5], v[12:13]
	v_mul_f32_e32 v13, 0xbfb8aa3b, v6
	v_mul_f32_e32 v1, 0xbfb8aa3b, v4
	;; [unrolled: 1-line block ×4, first 2 shown]
	s_waitcnt vmcnt(0)
	v_pk_add_f32 v[10:11], v[10:11], v[18:19]
	v_pk_add_f32 v[8:9], v[8:9], v[16:17]
	v_fma_f32 v15, v4, s33, -v1
	v_rndne_f32_e32 v16, v1
	v_fma_f32 v17, v5, s33, -v12
	v_rndne_f32_e32 v18, v12
	v_fma_f32 v19, v6, s33, -v13
	v_rndne_f32_e32 v20, v13
	v_fma_f32 v21, v7, s33, -v14
	v_rndne_f32_e32 v22, v14
	v_fmac_f32_e32 v15, 0xb2a5705f, v4
	v_sub_f32_e32 v1, v1, v16
	v_fmac_f32_e32 v17, 0xb2a5705f, v5
	v_sub_f32_e32 v12, v12, v18
	;; [unrolled: 2-line block ×4, first 2 shown]
	v_add_f32_e32 v1, v1, v15
	v_add_f32_e32 v12, v12, v17
	;; [unrolled: 1-line block ×4, first 2 shown]
	v_cvt_i32_f32_e32 v16, v16
	v_cvt_i32_f32_e32 v18, v18
	;; [unrolled: 1-line block ×4, first 2 shown]
	v_exp_f32_e32 v1, v1
	v_exp_f32_e32 v12, v12
	v_exp_f32_e32 v13, v13
	v_exp_f32_e32 v14, v14
	v_ldexp_f32 v1, v1, v16
	v_ldexp_f32 v12, v12, v18
	v_cmp_nlt_f32_e32 vcc, s36, v5
	v_ldexp_f32 v13, v13, v20
	v_cmp_nlt_f32_e64 s[0:1], s36, v6
	v_ldexp_f32 v14, v14, v22
	v_cmp_nlt_f32_e64 s[2:3], s36, v7
	v_cmp_nlt_f32_e64 s[4:5], s36, v4
	v_cndmask_b32_e32 v12, 0, v12, vcc
	v_cmp_ngt_f32_e32 vcc, s37, v5
	v_cndmask_b32_e64 v1, 0, v1, s[4:5]
	v_cndmask_b32_e64 v13, 0, v13, s[0:1]
	v_cmp_ngt_f32_e64 s[0:1], s37, v6
	v_cndmask_b32_e64 v14, 0, v14, s[2:3]
	v_cmp_ngt_f32_e64 s[2:3], s37, v7
	v_cmp_ngt_f32_e64 s[4:5], s37, v4
	v_cndmask_b32_e32 v12, v0, v12, vcc
	v_cndmask_b32_e64 v13, v0, v13, s[0:1]
	v_cndmask_b32_e64 v1, v0, v1, s[4:5]
	;; [unrolled: 1-line block ×3, first 2 shown]
	v_add_f32_e32 v1, 1.0, v1
	v_add_f32_e32 v15, 1.0, v12
	;; [unrolled: 1-line block ×4, first 2 shown]
	v_rcp_f32_e32 v12, v1
	v_rcp_f32_e32 v13, v15
	;; [unrolled: 1-line block ×4, first 2 shown]
	v_lshlrev_b32_e32 v1, 1, v2
	v_pk_mul_f32 v[4:5], v[4:5], v[12:13]
	v_pk_mul_f32 v[6:7], v[6:7], v[14:15]
	;;#ASMSTART
	v_pk_mul_f32 v[4:5], v[4:5], v[8:9]
	;;#ASMEND
	s_nop 0
	;;#ASMSTART
	v_pk_mul_f32 v[6:7], v[6:7], v[10:11]
	;;#ASMEND
	s_load_dword s0, s[30:31], 0xc
	v_perm_b32 v7, v7, v6, s38
	v_perm_b32 v6, v5, v4, s38
	buffer_store_dwordx2 v[6:7], v1, s[8:11], 0 offen
	s_waitcnt lgkmcnt(0)
	s_and_b32 s0, s0, 0xffff
	s_lshl_b32 s28, s0, 2
	v_lshl_add_u64 v[2:3], s[28:29], 0, v[2:3]
	v_cmp_le_i64_e32 vcc, s[6:7], v[2:3]
	s_or_b64 s[34:35], vcc, s[34:35]
	s_andn2_b64 exec, exec, s[34:35]
	s_cbranch_execnz .LBB111_8
.LBB111_9:
	s_endpgm
	.section	.rodata,"a",@progbits
	.p2align	6, 0x0
	.amdhsa_kernel _ZN5aiter23act_and_mul_bias_kernelIftafTnPFfRKT2_EXadL_ZNS_11silu_kernelIfEEfRKT_EELi4EEEvPT0_PS8_PKT1_PS2_il
		.amdhsa_group_segment_fixed_size 0
		.amdhsa_private_segment_fixed_size 0
		.amdhsa_kernarg_size 304
		.amdhsa_user_sgpr_count 2
		.amdhsa_user_sgpr_dispatch_ptr 0
		.amdhsa_user_sgpr_queue_ptr 0
		.amdhsa_user_sgpr_kernarg_segment_ptr 1
		.amdhsa_user_sgpr_dispatch_id 0
		.amdhsa_user_sgpr_kernarg_preload_length 0
		.amdhsa_user_sgpr_kernarg_preload_offset 0
		.amdhsa_user_sgpr_private_segment_size 0
		.amdhsa_uses_dynamic_stack 0
		.amdhsa_enable_private_segment 0
		.amdhsa_system_sgpr_workgroup_id_x 1
		.amdhsa_system_sgpr_workgroup_id_y 0
		.amdhsa_system_sgpr_workgroup_id_z 0
		.amdhsa_system_sgpr_workgroup_info 0
		.amdhsa_system_vgpr_workitem_id 0
		.amdhsa_next_free_vgpr 23
		.amdhsa_next_free_sgpr 39
		.amdhsa_accum_offset 24
		.amdhsa_reserve_vcc 1
		.amdhsa_float_round_mode_32 0
		.amdhsa_float_round_mode_16_64 0
		.amdhsa_float_denorm_mode_32 3
		.amdhsa_float_denorm_mode_16_64 3
		.amdhsa_dx10_clamp 1
		.amdhsa_ieee_mode 1
		.amdhsa_fp16_overflow 0
		.amdhsa_tg_split 0
		.amdhsa_exception_fp_ieee_invalid_op 0
		.amdhsa_exception_fp_denorm_src 0
		.amdhsa_exception_fp_ieee_div_zero 0
		.amdhsa_exception_fp_ieee_overflow 0
		.amdhsa_exception_fp_ieee_underflow 0
		.amdhsa_exception_fp_ieee_inexact 0
		.amdhsa_exception_int_div_zero 0
	.end_amdhsa_kernel
	.section	.text._ZN5aiter23act_and_mul_bias_kernelIftafTnPFfRKT2_EXadL_ZNS_11silu_kernelIfEEfRKT_EELi4EEEvPT0_PS8_PKT1_PS2_il,"axG",@progbits,_ZN5aiter23act_and_mul_bias_kernelIftafTnPFfRKT2_EXadL_ZNS_11silu_kernelIfEEfRKT_EELi4EEEvPT0_PS8_PKT1_PS2_il,comdat
.Lfunc_end111:
	.size	_ZN5aiter23act_and_mul_bias_kernelIftafTnPFfRKT2_EXadL_ZNS_11silu_kernelIfEEfRKT_EELi4EEEvPT0_PS8_PKT1_PS2_il, .Lfunc_end111-_ZN5aiter23act_and_mul_bias_kernelIftafTnPFfRKT2_EXadL_ZNS_11silu_kernelIfEEfRKT_EELi4EEEvPT0_PS8_PKT1_PS2_il
                                        ; -- End function
	.section	.AMDGPU.csdata,"",@progbits
; Kernel info:
; codeLenInByte = 1084
; NumSgprs: 45
; NumVgprs: 23
; NumAgprs: 0
; TotalNumVgprs: 23
; ScratchSize: 0
; MemoryBound: 0
; FloatMode: 240
; IeeeMode: 1
; LDSByteSize: 0 bytes/workgroup (compile time only)
; SGPRBlocks: 5
; VGPRBlocks: 2
; NumSGPRsForWavesPerEU: 45
; NumVGPRsForWavesPerEU: 23
; AccumOffset: 24
; Occupancy: 8
; WaveLimiterHint : 0
; COMPUTE_PGM_RSRC2:SCRATCH_EN: 0
; COMPUTE_PGM_RSRC2:USER_SGPR: 2
; COMPUTE_PGM_RSRC2:TRAP_HANDLER: 0
; COMPUTE_PGM_RSRC2:TGID_X_EN: 1
; COMPUTE_PGM_RSRC2:TGID_Y_EN: 0
; COMPUTE_PGM_RSRC2:TGID_Z_EN: 0
; COMPUTE_PGM_RSRC2:TIDIG_COMP_CNT: 0
; COMPUTE_PGM_RSRC3_GFX90A:ACCUM_OFFSET: 5
; COMPUTE_PGM_RSRC3_GFX90A:TG_SPLIT: 0
	.section	.text._ZN5aiter23act_and_mul_bias_kernelIftafTnPFfRKT2_EXadL_ZNS_11silu_kernelIfEEfRKT_EELi2EEEvPT0_PS8_PKT1_PS2_il,"axG",@progbits,_ZN5aiter23act_and_mul_bias_kernelIftafTnPFfRKT2_EXadL_ZNS_11silu_kernelIfEEfRKT_EELi2EEEvPT0_PS8_PKT1_PS2_il,comdat
	.protected	_ZN5aiter23act_and_mul_bias_kernelIftafTnPFfRKT2_EXadL_ZNS_11silu_kernelIfEEfRKT_EELi2EEEvPT0_PS8_PKT1_PS2_il ; -- Begin function _ZN5aiter23act_and_mul_bias_kernelIftafTnPFfRKT2_EXadL_ZNS_11silu_kernelIfEEfRKT_EELi2EEEvPT0_PS8_PKT1_PS2_il
	.globl	_ZN5aiter23act_and_mul_bias_kernelIftafTnPFfRKT2_EXadL_ZNS_11silu_kernelIfEEfRKT_EELi2EEEvPT0_PS8_PKT1_PS2_il
	.p2align	8
	.type	_ZN5aiter23act_and_mul_bias_kernelIftafTnPFfRKT2_EXadL_ZNS_11silu_kernelIfEEfRKT_EELi2EEEvPT0_PS8_PKT1_PS2_il,@function
_ZN5aiter23act_and_mul_bias_kernelIftafTnPFfRKT2_EXadL_ZNS_11silu_kernelIfEEfRKT_EELi2EEEvPT0_PS8_PKT1_PS2_il: ; @_ZN5aiter23act_and_mul_bias_kernelIftafTnPFfRKT2_EXadL_ZNS_11silu_kernelIfEEfRKT_EELi2EEEvPT0_PS8_PKT1_PS2_il
; %bb.0:
	s_load_dwordx2 s[4:5], s[0:1], 0x10
	s_load_dword s24, s[0:1], 0x20
	s_load_dwordx2 s[6:7], s[0:1], 0x28
	v_mov_b32_e32 v1, s2
	s_mov_b32 s9, 0
	s_waitcnt lgkmcnt(0)
	global_load_ubyte v1, v1, s[4:5]
	s_ashr_i32 s25, s24, 31
	s_load_dwordx2 s[4:5], s[0:1], 0x0
	s_mul_hi_u32 s3, s24, s2
	v_mov_b64_e32 v[2:3], s[6:7]
	s_mul_i32 s6, s25, s2
	s_add_i32 s13, s3, s6
	s_mul_i32 s12, s24, s2
	s_lshl_b64 s[6:7], s[12:13], 1
	s_mov_b64 s[10:11], -1
	s_waitcnt vmcnt(0)
	v_readfirstlane_b32 s3, v1
	s_nop 1
	v_mov_b32_e32 v4, s3
	s_sext_i32_i8 s3, s3
	v_readfirstlane_b32 s8, v4
	s_bfe_i64 s[8:9], s[8:9], 0x80000
	s_waitcnt lgkmcnt(0)
	s_add_u32 s4, s4, s6
	s_addc_u32 s5, s5, s7
	s_add_i32 s6, s24, 1
	s_lshr_b32 s7, s6, 31
	s_add_i32 s6, s6, s7
	s_lshl_b32 s6, s6, 1
	s_and_b32 s5, s5, 0xffff
	s_and_b32 s6, s6, -4
	s_cmp_gt_i32 s3, -1
	v_cmp_lt_i64_e32 vcc, s[8:9], v[2:3]
	s_cselect_b64 s[12:13], -1, 0
	s_and_b64 s[12:13], s[12:13], vcc
	s_and_b64 vcc, exec, s[12:13]
	v_lshlrev_b32_e32 v2, 1, v0
	s_cbranch_vccnz .LBB112_5
; %bb.1:
	v_cmp_gt_i32_e32 vcc, s24, v2
	s_and_saveexec_b64 s[10:11], vcc
	s_cbranch_execz .LBB112_4
; %bb.2:
	s_load_dword s3, s[0:1], 0x3c
	v_mov_b32_e32 v3, 0
	s_mov_b32 s13, 0
	v_lshlrev_b32_e32 v4, 2, v0
	s_mov_b64 s[14:15], 0
	s_waitcnt lgkmcnt(0)
	s_and_b32 s3, s3, 0xffff
	s_lshl_b32 s12, s3, 1
	s_lshl_b32 s3, s3, 2
	s_mov_b32 s7, 0x20000
	v_mov_b64_e32 v[0:1], v[2:3]
.LBB112_3:                              ; =>This Inner Loop Header: Depth=1
	v_lshl_add_u64 v[0:1], s[12:13], 0, v[0:1]
	v_cmp_le_i64_e32 vcc, s[24:25], v[0:1]
	buffer_store_dword v3, v4, s[4:7], 0 offen
	s_or_b64 s[14:15], vcc, s[14:15]
	v_add_u32_e32 v4, s3, v4
	s_andn2_b64 exec, exec, s[14:15]
	s_cbranch_execnz .LBB112_3
.LBB112_4:
	s_or_b64 exec, exec, s[10:11]
	s_mov_b64 s[10:11], 0
.LBB112_5:
	s_andn2_b64 vcc, exec, s[10:11]
	s_cbranch_vccnz .LBB112_9
; %bb.6:
	v_cmp_gt_i32_e32 vcc, s24, v2
	s_and_saveexec_b64 s[10:11], vcc
	s_cbranch_execz .LBB112_9
; %bb.7:
	s_load_dwordx2 s[14:15], s[0:1], 0x8
	s_load_dwordx2 s[12:13], s[0:1], 0x18
	s_mul_hi_i32 s9, s24, s8
	s_mul_i32 s8, s24, s8
	s_lshl_b32 s10, s24, 2
	s_lshl_b64 s[8:9], s[8:9], 3
	s_waitcnt lgkmcnt(0)
	s_add_u32 s12, s12, s8
	s_addc_u32 s7, s13, s9
	s_lshl_b64 s[18:19], s[24:25], 2
	s_add_u32 s16, s12, s18
	s_addc_u32 s8, s7, s19
	s_and_b32 s17, s8, 0xffff
	s_mul_i32 s8, s2, s25
	s_mul_hi_u32 s9, s2, s24
	s_add_i32 s9, s9, s8
	s_mul_i32 s8, s2, s24
	s_and_b32 s13, s7, 0xffff
	s_lshl_b64 s[8:9], s[8:9], 3
	s_add_u32 s8, s14, s8
	s_addc_u32 s2, s15, s9
	s_add_u32 s20, s8, s18
	s_addc_u32 s14, s2, s19
	s_and_b32 s9, s2, 0xffff
	s_and_b32 s21, s14, 0xffff
	s_mov_b32 s7, 0x20000
	s_add_u32 s26, s0, 48
	s_mov_b32 s3, 0
	s_mov_b32 s11, s7
	v_mov_b32_e32 v3, 0
	s_addc_u32 s27, s1, 0
	s_mov_b64 s[28:29], 0
	s_mov_b32 s30, 0xbfb8aa3b
	s_mov_b32 s31, 0x42ce8ed0
	;; [unrolled: 1-line block ×3, first 2 shown]
	v_mov_b32_e32 v0, 0x7f800000
	s_mov_b32 s34, 0x7060302
	s_mov_b32 s22, s10
	s_mov_b32 s23, s7
	s_mov_b32 s14, s10
	s_mov_b32 s15, s7
	s_mov_b32 s18, s10
	s_mov_b32 s19, s7
.LBB112_8:                              ; =>This Inner Loop Header: Depth=1
	v_lshlrev_b32_e32 v1, 2, v2
	buffer_load_dwordx2 v[4:5], v1, s[12:15], 0 offen
	buffer_load_dwordx2 v[6:7], v1, s[8:11], 0 offen
	buffer_load_dwordx2 v[8:9], v1, s[20:23], 0 offen
	buffer_load_dwordx2 v[10:11], v1, s[16:19], 0 offen
	s_waitcnt vmcnt(2)
	v_pk_add_f32 v[4:5], v[6:7], v[4:5]
	s_nop 0
	v_mul_f32_e32 v1, 0xbfb8aa3b, v5
	v_mul_f32_e32 v6, 0xbfb8aa3b, v4
	v_fma_f32 v7, v5, s30, -v1
	v_rndne_f32_e32 v12, v1
	v_fma_f32 v13, v4, s30, -v6
	v_rndne_f32_e32 v14, v6
	v_fmac_f32_e32 v7, 0xb2a5705f, v5
	v_sub_f32_e32 v1, v1, v12
	v_fmac_f32_e32 v13, 0xb2a5705f, v4
	v_sub_f32_e32 v6, v6, v14
	v_add_f32_e32 v1, v1, v7
	v_add_f32_e32 v6, v6, v13
	v_cvt_i32_f32_e32 v12, v12
	v_cvt_i32_f32_e32 v14, v14
	v_exp_f32_e32 v1, v1
	v_exp_f32_e32 v6, v6
	v_cmp_nlt_f32_e32 vcc, s31, v4
	v_cmp_nlt_f32_e64 s[0:1], s31, v5
	v_ldexp_f32 v1, v1, v12
	v_ldexp_f32 v6, v6, v14
	v_cndmask_b32_e64 v1, 0, v1, s[0:1]
	v_cndmask_b32_e32 v6, 0, v6, vcc
	v_cmp_ngt_f32_e32 vcc, s33, v4
	v_cmp_ngt_f32_e64 s[0:1], s33, v5
	s_waitcnt vmcnt(0)
	v_pk_add_f32 v[8:9], v[8:9], v[10:11]
	v_cndmask_b32_e32 v6, v0, v6, vcc
	v_cndmask_b32_e64 v1, v0, v1, s[0:1]
	v_add_f32_e32 v1, 1.0, v1
	v_add_f32_e32 v6, 1.0, v6
	v_rcp_f32_e32 v7, v1
	v_rcp_f32_e32 v6, v6
	v_lshlrev_b32_e32 v1, 1, v2
	v_pk_mul_f32 v[4:5], v[4:5], v[6:7]
	s_nop 0
	;;#ASMSTART
	v_pk_mul_f32 v[4:5], v[4:5], v[8:9]
	;;#ASMEND
	s_load_dword s0, s[26:27], 0xc
	v_perm_b32 v4, v5, v4, s34
	buffer_store_dword v4, v1, s[4:7], 0 offen
	s_waitcnt lgkmcnt(0)
	s_and_b32 s0, s0, 0xffff
	s_lshl_b32 s2, s0, 1
	v_lshl_add_u64 v[2:3], s[2:3], 0, v[2:3]
	v_cmp_le_i64_e32 vcc, s[24:25], v[2:3]
	s_or_b64 s[28:29], vcc, s[28:29]
	s_andn2_b64 exec, exec, s[28:29]
	s_cbranch_execnz .LBB112_8
.LBB112_9:
	s_endpgm
	.section	.rodata,"a",@progbits
	.p2align	6, 0x0
	.amdhsa_kernel _ZN5aiter23act_and_mul_bias_kernelIftafTnPFfRKT2_EXadL_ZNS_11silu_kernelIfEEfRKT_EELi2EEEvPT0_PS8_PKT1_PS2_il
		.amdhsa_group_segment_fixed_size 0
		.amdhsa_private_segment_fixed_size 0
		.amdhsa_kernarg_size 304
		.amdhsa_user_sgpr_count 2
		.amdhsa_user_sgpr_dispatch_ptr 0
		.amdhsa_user_sgpr_queue_ptr 0
		.amdhsa_user_sgpr_kernarg_segment_ptr 1
		.amdhsa_user_sgpr_dispatch_id 0
		.amdhsa_user_sgpr_kernarg_preload_length 0
		.amdhsa_user_sgpr_kernarg_preload_offset 0
		.amdhsa_user_sgpr_private_segment_size 0
		.amdhsa_uses_dynamic_stack 0
		.amdhsa_enable_private_segment 0
		.amdhsa_system_sgpr_workgroup_id_x 1
		.amdhsa_system_sgpr_workgroup_id_y 0
		.amdhsa_system_sgpr_workgroup_id_z 0
		.amdhsa_system_sgpr_workgroup_info 0
		.amdhsa_system_vgpr_workitem_id 0
		.amdhsa_next_free_vgpr 15
		.amdhsa_next_free_sgpr 35
		.amdhsa_accum_offset 16
		.amdhsa_reserve_vcc 1
		.amdhsa_float_round_mode_32 0
		.amdhsa_float_round_mode_16_64 0
		.amdhsa_float_denorm_mode_32 3
		.amdhsa_float_denorm_mode_16_64 3
		.amdhsa_dx10_clamp 1
		.amdhsa_ieee_mode 1
		.amdhsa_fp16_overflow 0
		.amdhsa_tg_split 0
		.amdhsa_exception_fp_ieee_invalid_op 0
		.amdhsa_exception_fp_denorm_src 0
		.amdhsa_exception_fp_ieee_div_zero 0
		.amdhsa_exception_fp_ieee_overflow 0
		.amdhsa_exception_fp_ieee_underflow 0
		.amdhsa_exception_fp_ieee_inexact 0
		.amdhsa_exception_int_div_zero 0
	.end_amdhsa_kernel
	.section	.text._ZN5aiter23act_and_mul_bias_kernelIftafTnPFfRKT2_EXadL_ZNS_11silu_kernelIfEEfRKT_EELi2EEEvPT0_PS8_PKT1_PS2_il,"axG",@progbits,_ZN5aiter23act_and_mul_bias_kernelIftafTnPFfRKT2_EXadL_ZNS_11silu_kernelIfEEfRKT_EELi2EEEvPT0_PS8_PKT1_PS2_il,comdat
.Lfunc_end112:
	.size	_ZN5aiter23act_and_mul_bias_kernelIftafTnPFfRKT2_EXadL_ZNS_11silu_kernelIfEEfRKT_EELi2EEEvPT0_PS8_PKT1_PS2_il, .Lfunc_end112-_ZN5aiter23act_and_mul_bias_kernelIftafTnPFfRKT2_EXadL_ZNS_11silu_kernelIfEEfRKT_EELi2EEEvPT0_PS8_PKT1_PS2_il
                                        ; -- End function
	.section	.AMDGPU.csdata,"",@progbits
; Kernel info:
; codeLenInByte = 860
; NumSgprs: 41
; NumVgprs: 15
; NumAgprs: 0
; TotalNumVgprs: 15
; ScratchSize: 0
; MemoryBound: 0
; FloatMode: 240
; IeeeMode: 1
; LDSByteSize: 0 bytes/workgroup (compile time only)
; SGPRBlocks: 5
; VGPRBlocks: 1
; NumSGPRsForWavesPerEU: 41
; NumVGPRsForWavesPerEU: 15
; AccumOffset: 16
; Occupancy: 8
; WaveLimiterHint : 0
; COMPUTE_PGM_RSRC2:SCRATCH_EN: 0
; COMPUTE_PGM_RSRC2:USER_SGPR: 2
; COMPUTE_PGM_RSRC2:TRAP_HANDLER: 0
; COMPUTE_PGM_RSRC2:TGID_X_EN: 1
; COMPUTE_PGM_RSRC2:TGID_Y_EN: 0
; COMPUTE_PGM_RSRC2:TGID_Z_EN: 0
; COMPUTE_PGM_RSRC2:TIDIG_COMP_CNT: 0
; COMPUTE_PGM_RSRC3_GFX90A:ACCUM_OFFSET: 3
; COMPUTE_PGM_RSRC3_GFX90A:TG_SPLIT: 0
	.section	.text._ZN5aiter23act_and_mul_bias_kernelIftafTnPFfRKT2_EXadL_ZNS_11silu_kernelIfEEfRKT_EELi1EEEvPT0_PS8_PKT1_PS2_il,"axG",@progbits,_ZN5aiter23act_and_mul_bias_kernelIftafTnPFfRKT2_EXadL_ZNS_11silu_kernelIfEEfRKT_EELi1EEEvPT0_PS8_PKT1_PS2_il,comdat
	.protected	_ZN5aiter23act_and_mul_bias_kernelIftafTnPFfRKT2_EXadL_ZNS_11silu_kernelIfEEfRKT_EELi1EEEvPT0_PS8_PKT1_PS2_il ; -- Begin function _ZN5aiter23act_and_mul_bias_kernelIftafTnPFfRKT2_EXadL_ZNS_11silu_kernelIfEEfRKT_EELi1EEEvPT0_PS8_PKT1_PS2_il
	.globl	_ZN5aiter23act_and_mul_bias_kernelIftafTnPFfRKT2_EXadL_ZNS_11silu_kernelIfEEfRKT_EELi1EEEvPT0_PS8_PKT1_PS2_il
	.p2align	8
	.type	_ZN5aiter23act_and_mul_bias_kernelIftafTnPFfRKT2_EXadL_ZNS_11silu_kernelIfEEfRKT_EELi1EEEvPT0_PS8_PKT1_PS2_il,@function
_ZN5aiter23act_and_mul_bias_kernelIftafTnPFfRKT2_EXadL_ZNS_11silu_kernelIfEEfRKT_EELi1EEEvPT0_PS8_PKT1_PS2_il: ; @_ZN5aiter23act_and_mul_bias_kernelIftafTnPFfRKT2_EXadL_ZNS_11silu_kernelIfEEfRKT_EELi1EEEvPT0_PS8_PKT1_PS2_il
; %bb.0:
	s_load_dwordx2 s[4:5], s[0:1], 0x10
	s_load_dword s20, s[0:1], 0x20
	s_load_dwordx2 s[8:9], s[0:1], 0x28
	v_mov_b32_e32 v1, s2
	s_mov_b32 s11, 0
	s_waitcnt lgkmcnt(0)
	global_load_ubyte v1, v1, s[4:5]
	s_ashr_i32 s21, s20, 31
	s_load_dwordx2 s[4:5], s[0:1], 0x0
	s_mul_hi_u32 s3, s20, s2
	v_mov_b64_e32 v[2:3], s[8:9]
	s_mul_i32 s8, s21, s2
	s_add_i32 s13, s3, s8
	s_mul_i32 s12, s20, s2
	s_lshl_b64 s[8:9], s[12:13], 1
	s_mov_b64 s[6:7], -1
	s_waitcnt vmcnt(0)
	v_readfirstlane_b32 s3, v1
	s_nop 1
	v_mov_b32_e32 v4, s3
	s_sext_i32_i8 s3, s3
	v_readfirstlane_b32 s10, v4
	s_bfe_i64 s[12:13], s[10:11], 0x80000
	s_waitcnt lgkmcnt(0)
	s_add_u32 s8, s4, s8
	s_addc_u32 s4, s5, s9
	s_add_i32 s5, s20, 1
	s_lshr_b32 s10, s5, 31
	s_add_i32 s5, s5, s10
	s_and_b32 s9, s4, 0xffff
	s_lshl_b32 s4, s5, 1
	s_and_b32 s10, s4, -4
	s_cmp_gt_i32 s3, -1
	v_cmp_lt_i64_e32 vcc, s[12:13], v[2:3]
	s_cselect_b64 s[4:5], -1, 0
	s_and_b64 s[4:5], s[4:5], vcc
	s_and_b64 vcc, exec, s[4:5]
	v_cmp_gt_i32_e64 s[4:5], s20, v0
	s_cbranch_vccnz .LBB113_5
; %bb.1:
	s_and_saveexec_b64 s[6:7], s[4:5]
	s_cbranch_execz .LBB113_4
; %bb.2:
	s_load_dword s3, s[0:1], 0x3c
	v_mov_b32_e32 v1, 0
	s_mov_b32 s5, 0
	v_lshlrev_b32_e32 v4, 1, v0
	s_mov_b64 s[14:15], 0
	s_waitcnt lgkmcnt(0)
	s_and_b32 s4, s3, 0xffff
	s_lshl_b32 s3, s4, 1
	s_mov_b32 s11, 0x20000
	v_mov_b64_e32 v[2:3], v[0:1]
.LBB113_3:                              ; =>This Inner Loop Header: Depth=1
	v_lshl_add_u64 v[2:3], v[2:3], 0, s[4:5]
	v_cmp_le_i64_e32 vcc, s[20:21], v[2:3]
	buffer_store_short v1, v4, s[8:11], 0 offen
	s_or_b64 s[14:15], vcc, s[14:15]
	v_add_u32_e32 v4, s3, v4
	s_andn2_b64 exec, exec, s[14:15]
	s_cbranch_execnz .LBB113_3
.LBB113_4:
	s_or_b64 exec, exec, s[6:7]
	s_mov_b64 s[6:7], 0
.LBB113_5:
	s_andn2_b64 vcc, exec, s[6:7]
	s_cbranch_vccnz .LBB113_9
; %bb.6:
	v_cmp_gt_i32_e32 vcc, s20, v0
	s_and_saveexec_b64 s[4:5], vcc
	s_cbranch_execz .LBB113_9
; %bb.7:
	s_load_dwordx2 s[14:15], s[0:1], 0x8
	s_load_dwordx2 s[4:5], s[0:1], 0x18
	s_mul_hi_i32 s13, s20, s12
	s_mul_i32 s12, s20, s12
	s_lshl_b32 s6, s20, 2
	s_lshl_b64 s[12:13], s[12:13], 3
	s_load_dword s18, s[0:1], 0x3c
	s_waitcnt lgkmcnt(0)
	s_add_u32 s0, s4, s12
	s_addc_u32 s1, s5, s13
	s_lshl_b64 s[16:17], s[20:21], 2
	s_add_u32 s4, s0, s16
	s_addc_u32 s3, s1, s17
	s_and_b32 s5, s3, 0xffff
	s_mul_i32 s3, s2, s21
	s_mul_hi_u32 s12, s2, s20
	s_add_i32 s3, s12, s3
	s_mul_i32 s2, s2, s20
	s_and_b32 s1, s1, 0xffff
	s_lshl_b64 s[2:3], s[2:3], 3
	s_add_u32 s12, s14, s2
	s_addc_u32 s2, s15, s3
	s_add_u32 s16, s12, s16
	s_mov_b32 s11, 0x20000
	s_addc_u32 s3, s2, s17
	s_and_b32 s22, s18, 0xffff
	s_mov_b32 s23, 0
	s_mov_b32 s7, s11
	s_and_b32 s13, s2, 0xffff
	s_and_b32 s17, s3, 0xffff
	v_mov_b32_e32 v1, 0
	v_lshlrev_b32_e32 v2, 1, v0
	s_lshl_b32 s26, s22, 1
	v_lshlrev_b32_e32 v3, 2, v0
	s_lshl_b32 s27, s22, 2
	s_mov_b64 s[24:25], 0
	s_mov_b32 s14, s6
	s_mov_b32 s15, s11
	;; [unrolled: 1-line block ×5, first 2 shown]
	v_mov_b32_e32 v4, 0x7f800000
	s_mov_b32 s18, s6
	s_mov_b32 s19, s11
	;; [unrolled: 1-line block ×4, first 2 shown]
.LBB113_8:                              ; =>This Inner Loop Header: Depth=1
	buffer_load_dword v7, v3, s[12:15], 0 offen
	buffer_load_dword v6, v3, s[16:19], 0 offen
	;; [unrolled: 1-line block ×4, first 2 shown]
	v_lshl_add_u64 v[0:1], v[0:1], 0, s[22:23]
	v_add_u32_e32 v3, s27, v3
	s_waitcnt vmcnt(0)
	v_pk_add_f32 v[6:7], v[6:7], v[8:9]
	s_nop 0
	v_mul_f32_e32 v5, 0xbfb8aa3b, v7
	v_fma_f32 v8, v7, s28, -v5
	v_rndne_f32_e32 v9, v5
	v_fmac_f32_e32 v8, 0xb2a5705f, v7
	v_sub_f32_e32 v5, v5, v9
	v_add_f32_e32 v5, v5, v8
	v_cvt_i32_f32_e32 v9, v9
	v_exp_f32_e32 v5, v5
	v_cmp_nlt_f32_e32 vcc, s29, v7
	v_ldexp_f32 v5, v5, v9
	s_nop 0
	v_cndmask_b32_e32 v5, 0, v5, vcc
	v_cmp_ngt_f32_e32 vcc, s30, v7
	s_nop 1
	v_cndmask_b32_e32 v5, v4, v5, vcc
	v_add_f32_e32 v5, 1.0, v5
	v_rcp_f32_e32 v5, v5
	v_cmp_le_i64_e32 vcc, s[20:21], v[0:1]
	s_or_b64 s[24:25], vcc, s[24:25]
	v_mul_f32_e32 v5, v7, v5
	v_mul_f32_e32 v5, v6, v5
	v_lshrrev_b32_e32 v5, 16, v5
	buffer_store_short v5, v2, s[8:11], 0 offen
	v_add_u32_e32 v2, s26, v2
	s_andn2_b64 exec, exec, s[24:25]
	s_cbranch_execnz .LBB113_8
.LBB113_9:
	s_endpgm
	.section	.rodata,"a",@progbits
	.p2align	6, 0x0
	.amdhsa_kernel _ZN5aiter23act_and_mul_bias_kernelIftafTnPFfRKT2_EXadL_ZNS_11silu_kernelIfEEfRKT_EELi1EEEvPT0_PS8_PKT1_PS2_il
		.amdhsa_group_segment_fixed_size 0
		.amdhsa_private_segment_fixed_size 0
		.amdhsa_kernarg_size 304
		.amdhsa_user_sgpr_count 2
		.amdhsa_user_sgpr_dispatch_ptr 0
		.amdhsa_user_sgpr_queue_ptr 0
		.amdhsa_user_sgpr_kernarg_segment_ptr 1
		.amdhsa_user_sgpr_dispatch_id 0
		.amdhsa_user_sgpr_kernarg_preload_length 0
		.amdhsa_user_sgpr_kernarg_preload_offset 0
		.amdhsa_user_sgpr_private_segment_size 0
		.amdhsa_uses_dynamic_stack 0
		.amdhsa_enable_private_segment 0
		.amdhsa_system_sgpr_workgroup_id_x 1
		.amdhsa_system_sgpr_workgroup_id_y 0
		.amdhsa_system_sgpr_workgroup_id_z 0
		.amdhsa_system_sgpr_workgroup_info 0
		.amdhsa_system_vgpr_workitem_id 0
		.amdhsa_next_free_vgpr 10
		.amdhsa_next_free_sgpr 31
		.amdhsa_accum_offset 12
		.amdhsa_reserve_vcc 1
		.amdhsa_float_round_mode_32 0
		.amdhsa_float_round_mode_16_64 0
		.amdhsa_float_denorm_mode_32 3
		.amdhsa_float_denorm_mode_16_64 3
		.amdhsa_dx10_clamp 1
		.amdhsa_ieee_mode 1
		.amdhsa_fp16_overflow 0
		.amdhsa_tg_split 0
		.amdhsa_exception_fp_ieee_invalid_op 0
		.amdhsa_exception_fp_denorm_src 0
		.amdhsa_exception_fp_ieee_div_zero 0
		.amdhsa_exception_fp_ieee_overflow 0
		.amdhsa_exception_fp_ieee_underflow 0
		.amdhsa_exception_fp_ieee_inexact 0
		.amdhsa_exception_int_div_zero 0
	.end_amdhsa_kernel
	.section	.text._ZN5aiter23act_and_mul_bias_kernelIftafTnPFfRKT2_EXadL_ZNS_11silu_kernelIfEEfRKT_EELi1EEEvPT0_PS8_PKT1_PS2_il,"axG",@progbits,_ZN5aiter23act_and_mul_bias_kernelIftafTnPFfRKT2_EXadL_ZNS_11silu_kernelIfEEfRKT_EELi1EEEvPT0_PS8_PKT1_PS2_il,comdat
.Lfunc_end113:
	.size	_ZN5aiter23act_and_mul_bias_kernelIftafTnPFfRKT2_EXadL_ZNS_11silu_kernelIfEEfRKT_EELi1EEEvPT0_PS8_PKT1_PS2_il, .Lfunc_end113-_ZN5aiter23act_and_mul_bias_kernelIftafTnPFfRKT2_EXadL_ZNS_11silu_kernelIfEEfRKT_EELi1EEEvPT0_PS8_PKT1_PS2_il
                                        ; -- End function
	.section	.AMDGPU.csdata,"",@progbits
; Kernel info:
; codeLenInByte = 736
; NumSgprs: 37
; NumVgprs: 10
; NumAgprs: 0
; TotalNumVgprs: 10
; ScratchSize: 0
; MemoryBound: 0
; FloatMode: 240
; IeeeMode: 1
; LDSByteSize: 0 bytes/workgroup (compile time only)
; SGPRBlocks: 4
; VGPRBlocks: 1
; NumSGPRsForWavesPerEU: 37
; NumVGPRsForWavesPerEU: 10
; AccumOffset: 12
; Occupancy: 8
; WaveLimiterHint : 0
; COMPUTE_PGM_RSRC2:SCRATCH_EN: 0
; COMPUTE_PGM_RSRC2:USER_SGPR: 2
; COMPUTE_PGM_RSRC2:TRAP_HANDLER: 0
; COMPUTE_PGM_RSRC2:TGID_X_EN: 1
; COMPUTE_PGM_RSRC2:TGID_Y_EN: 0
; COMPUTE_PGM_RSRC2:TGID_Z_EN: 0
; COMPUTE_PGM_RSRC2:TIDIG_COMP_CNT: 0
; COMPUTE_PGM_RSRC3_GFX90A:ACCUM_OFFSET: 2
; COMPUTE_PGM_RSRC3_GFX90A:TG_SPLIT: 0
	.section	.text._ZN5aiter23act_and_mul_bias_kernelIfDF16_afTnPFfRKT2_EXadL_ZNS_11silu_kernelIfEEfRKT_EELi16EEEvPT0_PS8_PKT1_PS2_il,"axG",@progbits,_ZN5aiter23act_and_mul_bias_kernelIfDF16_afTnPFfRKT2_EXadL_ZNS_11silu_kernelIfEEfRKT_EELi16EEEvPT0_PS8_PKT1_PS2_il,comdat
	.protected	_ZN5aiter23act_and_mul_bias_kernelIfDF16_afTnPFfRKT2_EXadL_ZNS_11silu_kernelIfEEfRKT_EELi16EEEvPT0_PS8_PKT1_PS2_il ; -- Begin function _ZN5aiter23act_and_mul_bias_kernelIfDF16_afTnPFfRKT2_EXadL_ZNS_11silu_kernelIfEEfRKT_EELi16EEEvPT0_PS8_PKT1_PS2_il
	.globl	_ZN5aiter23act_and_mul_bias_kernelIfDF16_afTnPFfRKT2_EXadL_ZNS_11silu_kernelIfEEfRKT_EELi16EEEvPT0_PS8_PKT1_PS2_il
	.p2align	8
	.type	_ZN5aiter23act_and_mul_bias_kernelIfDF16_afTnPFfRKT2_EXadL_ZNS_11silu_kernelIfEEfRKT_EELi16EEEvPT0_PS8_PKT1_PS2_il,@function
_ZN5aiter23act_and_mul_bias_kernelIfDF16_afTnPFfRKT2_EXadL_ZNS_11silu_kernelIfEEfRKT_EELi16EEEvPT0_PS8_PKT1_PS2_il: ; @_ZN5aiter23act_and_mul_bias_kernelIfDF16_afTnPFfRKT2_EXadL_ZNS_11silu_kernelIfEEfRKT_EELi16EEEvPT0_PS8_PKT1_PS2_il
; %bb.0:
	s_load_dwordx2 s[4:5], s[0:1], 0x10
	s_load_dword s30, s[0:1], 0x20
	s_load_dwordx2 s[8:9], s[0:1], 0x28
	v_mov_b32_e32 v1, s2
	s_load_dwordx2 s[10:11], s[0:1], 0x0
	s_waitcnt lgkmcnt(0)
	global_load_ubyte v1, v1, s[4:5]
	s_ashr_i32 s31, s30, 31
	s_mul_hi_u32 s3, s30, s2
	s_mul_i32 s4, s31, s2
	s_add_i32 s13, s3, s4
	s_mov_b32 s5, 0
	s_mul_i32 s12, s30, s2
	v_mov_b64_e32 v[2:3], s[8:9]
	s_lshl_b64 s[8:9], s[12:13], 1
	s_mov_b64 s[6:7], -1
	v_lshlrev_b32_e32 v56, 4, v0
	s_waitcnt vmcnt(0)
	v_readfirstlane_b32 s3, v1
	s_nop 1
	v_mov_b32_e32 v4, s3
	s_sext_i32_i8 s3, s3
	v_readfirstlane_b32 s4, v4
	s_bfe_i64 s[4:5], s[4:5], 0x80000
	s_add_u32 s36, s10, s8
	v_cmp_lt_i64_e32 vcc, s[4:5], v[2:3]
	s_addc_u32 s5, s11, s9
	s_add_i32 s8, s30, 1
	s_lshr_b32 s9, s8, 31
	s_add_i32 s8, s8, s9
	s_and_b32 s37, s5, 0xffff
	s_lshl_b32 s5, s8, 1
	s_and_b32 s38, s5, -4
	s_cmp_gt_i32 s3, -1
	s_cselect_b64 s[8:9], -1, 0
	s_and_b64 s[8:9], s[8:9], vcc
	s_and_b64 vcc, exec, s[8:9]
	s_cbranch_vccnz .LBB114_5
; %bb.1:
	v_cmp_gt_i32_e32 vcc, s30, v56
	s_and_saveexec_b64 s[6:7], vcc
	s_cbranch_execz .LBB114_4
; %bb.2:
	s_load_dword s3, s[0:1], 0x3c
	s_mov_b32 s9, 0
	s_mov_b32 s12, s9
	;; [unrolled: 1-line block ×3, first 2 shown]
	v_mov_b32_e32 v57, 0
	v_lshlrev_b32_e32 v6, 5, v0
	s_waitcnt lgkmcnt(0)
	s_and_b32 s3, s3, 0xffff
	s_mov_b32 s14, s9
	s_mov_b32 s15, s9
	v_mov_b64_e32 v[0:1], s[12:13]
	s_lshl_b32 s8, s3, 4
	s_lshl_b32 s3, s3, 5
	s_mov_b64 s[10:11], 0
	s_mov_b32 s39, 0x20000
	v_mov_b64_e32 v[2:3], s[14:15]
	v_mov_b64_e32 v[4:5], v[56:57]
.LBB114_3:                              ; =>This Inner Loop Header: Depth=1
	v_lshl_add_u64 v[4:5], s[8:9], 0, v[4:5]
	v_cmp_le_i64_e32 vcc, s[30:31], v[4:5]
	buffer_store_dwordx4 v[0:3], v6, s[36:39], 0 offen
	buffer_store_dwordx4 v[0:3], v6, s[36:39], 16 offen
	s_or_b64 s[10:11], vcc, s[10:11]
	v_add_u32_e32 v6, s3, v6
	s_andn2_b64 exec, exec, s[10:11]
	s_cbranch_execnz .LBB114_3
.LBB114_4:
	s_or_b64 exec, exec, s[6:7]
	s_mov_b64 s[6:7], 0
.LBB114_5:
	s_andn2_b64 vcc, exec, s[6:7]
	s_cbranch_vccnz .LBB114_9
; %bb.6:
	v_cmp_gt_i32_e32 vcc, s30, v56
	s_and_saveexec_b64 s[6:7], vcc
	s_cbranch_execz .LBB114_9
; %bb.7:
	s_load_dwordx2 s[6:7], s[0:1], 0x8
	s_load_dwordx2 s[8:9], s[0:1], 0x18
	s_mul_hi_i32 s5, s30, s4
	s_mul_i32 s4, s30, s4
	s_lshl_b32 s42, s30, 2
	s_lshl_b64 s[4:5], s[4:5], 3
	s_waitcnt lgkmcnt(0)
	s_add_u32 s44, s8, s4
	s_addc_u32 s3, s9, s5
	s_lshl_b64 s[4:5], s[30:31], 2
	s_add_u32 s48, s44, s4
	s_addc_u32 s8, s3, s5
	s_and_b32 s45, s3, 0xffff
	s_and_b32 s49, s8, 0xffff
	s_mul_i32 s3, s2, s31
	s_mul_hi_u32 s8, s2, s30
	s_add_i32 s3, s8, s3
	s_mul_i32 s2, s2, s30
	s_lshl_b64 s[2:3], s[2:3], 3
	s_add_u32 s40, s6, s2
	s_addc_u32 s2, s7, s3
	s_add_u32 s52, s40, s4
	s_addc_u32 s3, s2, s5
	s_and_b32 s41, s2, 0xffff
	s_and_b32 s53, s3, 0xffff
	s_mov_b32 s39, 0x20000
	s_add_u32 s56, s0, 48
	s_mov_b32 s35, 0
	s_mov_b32 s43, s39
	v_mov_b32_e32 v57, 0
	s_addc_u32 s57, s1, 0
	s_mov_b64 s[58:59], 0
	s_mov_b32 s33, 0xbfb8aa3b
	s_mov_b32 s60, 0x42ce8ed0
	;; [unrolled: 1-line block ×3, first 2 shown]
	v_mov_b32_e32 v58, 0x7f800000
	s_mov_b32 s54, s42
	s_mov_b32 s55, s39
	;; [unrolled: 1-line block ×6, first 2 shown]
.LBB114_8:                              ; =>This Inner Loop Header: Depth=1
	v_lshlrev_b32_e32 v59, 2, v56
	buffer_load_dwordx4 v[24:27], v59, s[48:51], 0 offen
	buffer_load_dwordx4 v[36:39], v59, s[52:55], 0 offen
	;; [unrolled: 1-line block ×15, first 2 shown]
	s_waitcnt vmcnt(13)
	v_pk_add_f32 v[38:39], v[38:39], v[26:27]
	v_pk_add_f32 v[36:37], v[36:37], v[24:25]
	buffer_load_dwordx4 v[24:27], v59, s[44:47], 48 offen
	s_waitcnt vmcnt(11)
	v_pk_add_f32 v[28:29], v[28:29], v[44:45]
	s_waitcnt vmcnt(10)
	v_pk_add_f32 v[32:33], v[48:49], v[32:33]
	v_pk_add_f32 v[34:35], v[50:51], v[34:35]
	s_waitcnt vmcnt(8)
	v_pk_add_f32 v[42:43], v[42:43], v[54:55]
	v_pk_add_f32 v[40:41], v[40:41], v[52:53]
	;; [unrolled: 1-line block ×3, first 2 shown]
	v_cmp_nlt_f32_e32 vcc, s60, v34
	s_waitcnt vmcnt(4)
	v_pk_add_f32 v[6:7], v[6:7], v[22:23]
	s_waitcnt vmcnt(3)
	v_pk_add_f32 v[2:3], v[2:3], v[14:15]
	v_pk_add_f32 v[4:5], v[4:5], v[20:21]
	;; [unrolled: 1-line block ×3, first 2 shown]
	v_mul_f32_e32 v20, 0xbfb8aa3b, v40
	v_mul_f32_e32 v21, 0xbfb8aa3b, v41
	;; [unrolled: 1-line block ×4, first 2 shown]
	s_waitcnt vmcnt(2)
	v_pk_add_f32 v[10:11], v[62:63], v[10:11]
	v_pk_add_f32 v[8:9], v[60:61], v[8:9]
	v_fma_f32 v59, v40, s33, -v20
	v_rndne_f32_e32 v60, v20
	v_fma_f32 v61, v41, s33, -v21
	v_rndne_f32_e32 v62, v21
	v_fma_f32 v63, v42, s33, -v22
	v_rndne_f32_e32 v64, v22
	v_fma_f32 v65, v43, s33, -v23
	v_rndne_f32_e32 v66, v23
	v_fmac_f32_e32 v59, 0xb2a5705f, v40
	v_sub_f32_e32 v20, v20, v60
	v_fmac_f32_e32 v61, 0xb2a5705f, v41
	v_sub_f32_e32 v21, v21, v62
	;; [unrolled: 2-line block ×4, first 2 shown]
	v_add_f32_e32 v20, v20, v59
	v_add_f32_e32 v21, v21, v61
	;; [unrolled: 1-line block ×4, first 2 shown]
	v_cvt_i32_f32_e32 v60, v60
	v_cvt_i32_f32_e32 v62, v62
	;; [unrolled: 1-line block ×4, first 2 shown]
	v_exp_f32_e32 v20, v20
	v_exp_f32_e32 v21, v21
	;; [unrolled: 1-line block ×4, first 2 shown]
	v_ldexp_f32 v20, v20, v60
	v_ldexp_f32 v21, v21, v62
	;; [unrolled: 1-line block ×4, first 2 shown]
	v_cmp_nlt_f32_e64 s[0:1], s60, v35
	v_cmp_nlt_f32_e64 s[2:3], s60, v40
	;; [unrolled: 1-line block ×11, first 2 shown]
	v_cndmask_b32_e64 v20, 0, v20, s[2:3]
	v_cmp_ngt_f32_e64 s[2:3], s61, v40
	v_cndmask_b32_e64 v21, 0, v21, s[4:5]
	v_cmp_ngt_f32_e64 s[4:5], s61, v41
	;; [unrolled: 2-line block ×4, first 2 shown]
	v_cndmask_b32_e64 v20, v58, v20, s[2:3]
	v_cndmask_b32_e64 v21, v58, v21, s[4:5]
	;; [unrolled: 1-line block ×4, first 2 shown]
	s_waitcnt vmcnt(0)
	v_pk_add_f32 v[14:15], v[16:17], v[24:25]
	v_mul_f32_e32 v16, 0xbfb8aa3b, v32
	v_pk_add_f32 v[12:13], v[18:19], v[26:27]
	v_mul_f32_e32 v17, 0xbfb8aa3b, v33
	v_mul_f32_e32 v18, 0xbfb8aa3b, v34
	;; [unrolled: 1-line block ×3, first 2 shown]
	v_fma_f32 v48, v32, s33, -v16
	v_rndne_f32_e32 v49, v16
	v_fma_f32 v50, v33, s33, -v17
	v_rndne_f32_e32 v51, v17
	;; [unrolled: 2-line block ×4, first 2 shown]
	v_fmac_f32_e32 v48, 0xb2a5705f, v32
	v_sub_f32_e32 v16, v16, v49
	v_mul_f32_e32 v25, 0xbfb8aa3b, v9
	v_mul_f32_e32 v26, 0xbfb8aa3b, v10
	v_mul_f32_e32 v27, 0xbfb8aa3b, v11
	v_mul_f32_e32 v44, 0xbfb8aa3b, v14
	v_add_f32_e32 v48, v16, v48
	v_fmac_f32_e32 v50, 0xb2a5705f, v33
	v_sub_f32_e32 v16, v17, v51
	v_fmac_f32_e32 v52, 0xb2a5705f, v34
	v_sub_f32_e32 v18, v18, v53
	;; [unrolled: 2-line block ×3, first 2 shown]
	v_add_f32_e32 v17, v16, v50
	v_fma_f32 v16, v9, s33, -v25
	v_add_f32_e32 v18, v18, v52
	v_rndne_f32_e32 v50, v25
	v_add_f32_e32 v19, v19, v54
	v_fma_f32 v52, v10, s33, -v26
	v_rndne_f32_e32 v54, v26
	v_fma_f32 v59, v11, s33, -v27
	v_rndne_f32_e32 v61, v27
	;; [unrolled: 2-line block ×3, first 2 shown]
	v_mul_f32_e32 v45, 0xbfb8aa3b, v15
	v_mul_f32_e32 v46, 0xbfb8aa3b, v12
	v_fmac_f32_e32 v16, 0xb2a5705f, v9
	v_sub_f32_e32 v25, v25, v50
	v_fmac_f32_e32 v52, 0xb2a5705f, v10
	v_sub_f32_e32 v26, v26, v54
	;; [unrolled: 2-line block ×4, first 2 shown]
	v_add_f32_e32 v25, v25, v16
	v_fma_f32 v16, v15, s33, -v45
	v_add_f32_e32 v26, v26, v52
	v_rndne_f32_e32 v52, v45
	v_add_f32_e32 v27, v27, v59
	v_fma_f32 v59, v12, s33, -v46
	v_add_f32_e32 v44, v44, v63
	v_rndne_f32_e32 v63, v46
	v_mul_f32_e32 v24, 0xbfb8aa3b, v8
	v_mul_f32_e32 v47, 0xbfb8aa3b, v13
	v_fmac_f32_e32 v16, 0xb2a5705f, v15
	v_sub_f32_e32 v45, v45, v52
	v_fmac_f32_e32 v59, 0xb2a5705f, v12
	v_sub_f32_e32 v46, v46, v63
	v_fma_f32 v67, v8, s33, -v24
	v_rndne_f32_e32 v68, v24
	v_add_f32_e32 v45, v45, v16
	v_fma_f32 v16, v13, s33, -v47
	v_add_f32_e32 v46, v46, v59
	v_rndne_f32_e32 v59, v47
	v_fmac_f32_e32 v67, 0xb2a5705f, v8
	v_sub_f32_e32 v24, v24, v68
	v_fmac_f32_e32 v16, 0xb2a5705f, v13
	v_sub_f32_e32 v47, v47, v59
	v_add_f32_e32 v24, v24, v67
	v_add_f32_e32 v47, v47, v16
	v_cvt_i32_f32_e32 v49, v49
	v_cvt_i32_f32_e32 v51, v51
	;; [unrolled: 1-line block ×4, first 2 shown]
	v_exp_f32_e32 v48, v48
	v_exp_f32_e32 v17, v17
	;; [unrolled: 1-line block ×4, first 2 shown]
	v_cvt_i32_f32_e32 v67, v68
	v_cvt_i32_f32_e32 v50, v50
	;; [unrolled: 1-line block ×8, first 2 shown]
	v_exp_f32_e32 v24, v24
	v_exp_f32_e32 v25, v25
	;; [unrolled: 1-line block ×8, first 2 shown]
	v_ldexp_f32 v48, v48, v49
	v_ldexp_f32 v17, v17, v51
	;; [unrolled: 1-line block ×11, first 2 shown]
	v_cmp_nlt_f32_e64 s[18:19], s60, v14
	v_cmp_nlt_f32_e64 s[20:21], s60, v15
	;; [unrolled: 1-line block ×3, first 2 shown]
	v_ldexp_f32 v47, v47, v59
	v_cmp_nlt_f32_e64 s[24:25], s60, v13
	v_cndmask_b32_e64 v17, 0, v17, s[28:29]
	v_cmp_ngt_f32_e64 s[28:29], s61, v33
	v_cndmask_b32_e32 v18, 0, v18, vcc
	v_cmp_ngt_f32_e32 vcc, s61, v34
	v_cndmask_b32_e64 v19, 0, v19, s[0:1]
	v_cmp_ngt_f32_e64 s[0:1], s61, v35
	v_cndmask_b32_e64 v48, 0, v48, s[26:27]
	v_cmp_ngt_f32_e64 s[26:27], s61, v32
	;; [unrolled: 2-line block ×10, first 2 shown]
	v_cndmask_b32_e64 v48, v58, v48, s[26:27]
	v_cndmask_b32_e64 v17, v58, v17, s[28:29]
	v_cndmask_b32_e32 v18, v58, v18, vcc
	v_cndmask_b32_e64 v19, v58, v19, s[0:1]
	v_cndmask_b32_e64 v24, v58, v24, s[10:11]
	;; [unrolled: 1-line block ×9, first 2 shown]
	v_add_f32_e32 v48, 1.0, v48
	v_add_f32_e32 v17, 1.0, v17
	;; [unrolled: 1-line block ×16, first 2 shown]
	v_rcp_f32_e32 v18, v48
	v_rcp_f32_e32 v19, v17
	;; [unrolled: 1-line block ×16, first 2 shown]
	v_pk_mul_f32 v[18:19], v[32:33], v[18:19]
	v_pk_mul_f32 v[20:21], v[34:35], v[20:21]
	;; [unrolled: 1-line block ×8, first 2 shown]
	;;#ASMSTART
	v_pk_mul_f32 v[18:19], v[18:19], v[36:37]
	;;#ASMEND
	;;#ASMSTART
	v_pk_mul_f32 v[20:21], v[20:21], v[38:39]
	;;#ASMEND
	;; [unrolled: 3-line block ×7, first 2 shown]
	s_nop 0
	;;#ASMSTART
	v_pk_mul_f32 v[2:3], v[12:13], v[2:3]
	;;#ASMEND
	s_load_dword s0, s[56:57], 0xc
	v_cvt_f16_f32_e32 v8, v18
	v_cvt_f16_f32_e32 v9, v19
	;; [unrolled: 1-line block ×16, first 2 shown]
	s_waitcnt lgkmcnt(0)
	s_and_b32 s0, s0, 0xffff
	s_lshl_b32 s34, s0, 4
	v_lshlrev_b32_e32 v16, 1, v56
	v_lshl_add_u64 v[56:57], s[34:35], 0, v[56:57]
	v_cmp_le_i64_e32 vcc, s[30:31], v[56:57]
	v_pack_b32_f16 v1, v10, v11
	v_pack_b32_f16 v3, v14, v15
	;; [unrolled: 1-line block ×8, first 2 shown]
	s_or_b64 s[58:59], vcc, s[58:59]
	buffer_store_dwordx4 v[0:3], v16, s[36:39], 0 offen
	buffer_store_dwordx4 v[4:7], v16, s[36:39], 16 offen
	s_andn2_b64 exec, exec, s[58:59]
	s_cbranch_execnz .LBB114_8
.LBB114_9:
	s_endpgm
	.section	.rodata,"a",@progbits
	.p2align	6, 0x0
	.amdhsa_kernel _ZN5aiter23act_and_mul_bias_kernelIfDF16_afTnPFfRKT2_EXadL_ZNS_11silu_kernelIfEEfRKT_EELi16EEEvPT0_PS8_PKT1_PS2_il
		.amdhsa_group_segment_fixed_size 0
		.amdhsa_private_segment_fixed_size 0
		.amdhsa_kernarg_size 304
		.amdhsa_user_sgpr_count 2
		.amdhsa_user_sgpr_dispatch_ptr 0
		.amdhsa_user_sgpr_queue_ptr 0
		.amdhsa_user_sgpr_kernarg_segment_ptr 1
		.amdhsa_user_sgpr_dispatch_id 0
		.amdhsa_user_sgpr_kernarg_preload_length 0
		.amdhsa_user_sgpr_kernarg_preload_offset 0
		.amdhsa_user_sgpr_private_segment_size 0
		.amdhsa_uses_dynamic_stack 0
		.amdhsa_enable_private_segment 0
		.amdhsa_system_sgpr_workgroup_id_x 1
		.amdhsa_system_sgpr_workgroup_id_y 0
		.amdhsa_system_sgpr_workgroup_id_z 0
		.amdhsa_system_sgpr_workgroup_info 0
		.amdhsa_system_vgpr_workitem_id 0
		.amdhsa_next_free_vgpr 69
		.amdhsa_next_free_sgpr 62
		.amdhsa_accum_offset 72
		.amdhsa_reserve_vcc 1
		.amdhsa_float_round_mode_32 0
		.amdhsa_float_round_mode_16_64 0
		.amdhsa_float_denorm_mode_32 3
		.amdhsa_float_denorm_mode_16_64 3
		.amdhsa_dx10_clamp 1
		.amdhsa_ieee_mode 1
		.amdhsa_fp16_overflow 0
		.amdhsa_tg_split 0
		.amdhsa_exception_fp_ieee_invalid_op 0
		.amdhsa_exception_fp_denorm_src 0
		.amdhsa_exception_fp_ieee_div_zero 0
		.amdhsa_exception_fp_ieee_overflow 0
		.amdhsa_exception_fp_ieee_underflow 0
		.amdhsa_exception_fp_ieee_inexact 0
		.amdhsa_exception_int_div_zero 0
	.end_amdhsa_kernel
	.section	.text._ZN5aiter23act_and_mul_bias_kernelIfDF16_afTnPFfRKT2_EXadL_ZNS_11silu_kernelIfEEfRKT_EELi16EEEvPT0_PS8_PKT1_PS2_il,"axG",@progbits,_ZN5aiter23act_and_mul_bias_kernelIfDF16_afTnPFfRKT2_EXadL_ZNS_11silu_kernelIfEEfRKT_EELi16EEEvPT0_PS8_PKT1_PS2_il,comdat
.Lfunc_end114:
	.size	_ZN5aiter23act_and_mul_bias_kernelIfDF16_afTnPFfRKT2_EXadL_ZNS_11silu_kernelIfEEfRKT_EELi16EEEvPT0_PS8_PKT1_PS2_il, .Lfunc_end114-_ZN5aiter23act_and_mul_bias_kernelIfDF16_afTnPFfRKT2_EXadL_ZNS_11silu_kernelIfEEfRKT_EELi16EEEvPT0_PS8_PKT1_PS2_il
                                        ; -- End function
	.section	.AMDGPU.csdata,"",@progbits
; Kernel info:
; codeLenInByte = 2636
; NumSgprs: 68
; NumVgprs: 69
; NumAgprs: 0
; TotalNumVgprs: 69
; ScratchSize: 0
; MemoryBound: 0
; FloatMode: 240
; IeeeMode: 1
; LDSByteSize: 0 bytes/workgroup (compile time only)
; SGPRBlocks: 8
; VGPRBlocks: 8
; NumSGPRsForWavesPerEU: 68
; NumVGPRsForWavesPerEU: 69
; AccumOffset: 72
; Occupancy: 7
; WaveLimiterHint : 0
; COMPUTE_PGM_RSRC2:SCRATCH_EN: 0
; COMPUTE_PGM_RSRC2:USER_SGPR: 2
; COMPUTE_PGM_RSRC2:TRAP_HANDLER: 0
; COMPUTE_PGM_RSRC2:TGID_X_EN: 1
; COMPUTE_PGM_RSRC2:TGID_Y_EN: 0
; COMPUTE_PGM_RSRC2:TGID_Z_EN: 0
; COMPUTE_PGM_RSRC2:TIDIG_COMP_CNT: 0
; COMPUTE_PGM_RSRC3_GFX90A:ACCUM_OFFSET: 17
; COMPUTE_PGM_RSRC3_GFX90A:TG_SPLIT: 0
	.section	.text._ZN5aiter23act_and_mul_bias_kernelIfDF16_afTnPFfRKT2_EXadL_ZNS_11silu_kernelIfEEfRKT_EELi8EEEvPT0_PS8_PKT1_PS2_il,"axG",@progbits,_ZN5aiter23act_and_mul_bias_kernelIfDF16_afTnPFfRKT2_EXadL_ZNS_11silu_kernelIfEEfRKT_EELi8EEEvPT0_PS8_PKT1_PS2_il,comdat
	.protected	_ZN5aiter23act_and_mul_bias_kernelIfDF16_afTnPFfRKT2_EXadL_ZNS_11silu_kernelIfEEfRKT_EELi8EEEvPT0_PS8_PKT1_PS2_il ; -- Begin function _ZN5aiter23act_and_mul_bias_kernelIfDF16_afTnPFfRKT2_EXadL_ZNS_11silu_kernelIfEEfRKT_EELi8EEEvPT0_PS8_PKT1_PS2_il
	.globl	_ZN5aiter23act_and_mul_bias_kernelIfDF16_afTnPFfRKT2_EXadL_ZNS_11silu_kernelIfEEfRKT_EELi8EEEvPT0_PS8_PKT1_PS2_il
	.p2align	8
	.type	_ZN5aiter23act_and_mul_bias_kernelIfDF16_afTnPFfRKT2_EXadL_ZNS_11silu_kernelIfEEfRKT_EELi8EEEvPT0_PS8_PKT1_PS2_il,@function
_ZN5aiter23act_and_mul_bias_kernelIfDF16_afTnPFfRKT2_EXadL_ZNS_11silu_kernelIfEEfRKT_EELi8EEEvPT0_PS8_PKT1_PS2_il: ; @_ZN5aiter23act_and_mul_bias_kernelIfDF16_afTnPFfRKT2_EXadL_ZNS_11silu_kernelIfEEfRKT_EELi8EEEvPT0_PS8_PKT1_PS2_il
; %bb.0:
	s_load_dwordx2 s[4:5], s[0:1], 0x10
	s_load_dword s14, s[0:1], 0x20
	s_load_dwordx2 s[8:9], s[0:1], 0x28
	v_mov_b32_e32 v1, s2
	s_load_dwordx2 s[10:11], s[0:1], 0x0
	s_waitcnt lgkmcnt(0)
	global_load_ubyte v1, v1, s[4:5]
	s_ashr_i32 s15, s14, 31
	s_mul_hi_u32 s3, s14, s2
	s_mul_i32 s4, s15, s2
	s_add_i32 s13, s3, s4
	s_mov_b32 s5, 0
	s_mul_i32 s12, s14, s2
	v_mov_b64_e32 v[2:3], s[8:9]
	s_lshl_b64 s[8:9], s[12:13], 1
	s_mov_b64 s[6:7], -1
	s_waitcnt vmcnt(0)
	v_readfirstlane_b32 s3, v1
	s_nop 1
	v_mov_b32_e32 v4, s3
	s_sext_i32_i8 s3, s3
	v_readfirstlane_b32 s4, v4
	s_bfe_i64 s[4:5], s[4:5], 0x80000
	s_add_u32 s16, s10, s8
	v_cmp_lt_i64_e32 vcc, s[4:5], v[2:3]
	s_addc_u32 s5, s11, s9
	s_add_i32 s8, s14, 1
	s_lshr_b32 s9, s8, 31
	s_add_i32 s8, s8, s9
	s_and_b32 s17, s5, 0xffff
	s_lshl_b32 s5, s8, 1
	s_and_b32 s18, s5, -4
	s_cmp_gt_i32 s3, -1
	s_cselect_b64 s[8:9], -1, 0
	s_and_b64 s[8:9], s[8:9], vcc
	s_and_b64 vcc, exec, s[8:9]
	v_lshlrev_b32_e32 v4, 3, v0
	s_cbranch_vccnz .LBB115_5
; %bb.1:
	v_cmp_gt_i32_e32 vcc, s14, v4
	s_and_saveexec_b64 s[6:7], vcc
	s_cbranch_execz .LBB115_4
; %bb.2:
	s_load_dword s3, s[0:1], 0x3c
	v_mov_b32_e32 v5, 0
	s_mov_b32 s9, 0
	v_lshlrev_b32_e32 v8, 4, v0
	s_mov_b64 s[10:11], 0
	s_waitcnt lgkmcnt(0)
	s_and_b32 s3, s3, 0xffff
	s_lshl_b32 s8, s3, 3
	s_lshl_b32 s3, s3, 4
	s_mov_b32 s19, 0x20000
	v_mov_b32_e32 v0, v5
	v_mov_b32_e32 v1, v5
	;; [unrolled: 1-line block ×4, first 2 shown]
	v_mov_b64_e32 v[6:7], v[4:5]
.LBB115_3:                              ; =>This Inner Loop Header: Depth=1
	v_lshl_add_u64 v[6:7], s[8:9], 0, v[6:7]
	v_cmp_le_i64_e32 vcc, s[14:15], v[6:7]
	buffer_store_dwordx4 v[0:3], v8, s[16:19], 0 offen
	s_or_b64 s[10:11], vcc, s[10:11]
	v_add_u32_e32 v8, s3, v8
	s_andn2_b64 exec, exec, s[10:11]
	s_cbranch_execnz .LBB115_3
.LBB115_4:
	s_or_b64 exec, exec, s[6:7]
	s_mov_b64 s[6:7], 0
.LBB115_5:
	s_andn2_b64 vcc, exec, s[6:7]
	s_cbranch_vccnz .LBB115_9
; %bb.6:
	v_cmp_gt_i32_e32 vcc, s14, v4
	s_and_saveexec_b64 s[6:7], vcc
	s_cbranch_execz .LBB115_9
; %bb.7:
	s_load_dwordx2 s[6:7], s[0:1], 0x8
	s_load_dwordx2 s[8:9], s[0:1], 0x18
	s_mul_hi_i32 s5, s14, s4
	s_mul_i32 s4, s14, s4
	s_lshl_b32 s22, s14, 2
	s_lshl_b64 s[4:5], s[4:5], 3
	s_waitcnt lgkmcnt(0)
	s_add_u32 s24, s8, s4
	s_addc_u32 s3, s9, s5
	s_lshl_b64 s[4:5], s[14:15], 2
	s_add_u32 s28, s24, s4
	s_addc_u32 s8, s3, s5
	s_and_b32 s25, s3, 0xffff
	s_and_b32 s29, s8, 0xffff
	s_mul_i32 s3, s2, s15
	s_mul_hi_u32 s8, s2, s14
	s_add_i32 s3, s8, s3
	s_mul_i32 s2, s2, s14
	s_lshl_b64 s[2:3], s[2:3], 3
	s_add_u32 s20, s6, s2
	s_addc_u32 s2, s7, s3
	s_add_u32 s36, s20, s4
	s_addc_u32 s3, s2, s5
	s_and_b32 s21, s2, 0xffff
	s_and_b32 s37, s3, 0xffff
	s_mov_b32 s19, 0x20000
	s_add_u32 s40, s0, 48
	s_mov_b32 s35, 0
	s_mov_b32 s23, s19
	v_mov_b32_e32 v5, 0
	s_addc_u32 s41, s1, 0
	s_mov_b64 s[42:43], 0
	s_mov_b32 s33, 0xbfb8aa3b
	s_mov_b32 s44, 0x42ce8ed0
	;; [unrolled: 1-line block ×3, first 2 shown]
	v_mov_b32_e32 v10, 0x7f800000
	s_mov_b32 s38, s22
	s_mov_b32 s39, s19
	s_mov_b32 s26, s22
	s_mov_b32 s27, s19
	s_mov_b32 s30, s22
	s_mov_b32 s31, s19
.LBB115_8:                              ; =>This Inner Loop Header: Depth=1
	v_lshlrev_b32_e32 v0, 2, v4
	buffer_load_dwordx4 v[6:9], v0, s[28:31], 0 offen
	buffer_load_dwordx4 v[12:15], v0, s[36:39], 0 offen
	;; [unrolled: 1-line block ×8, first 2 shown]
	v_lshlrev_b32_e32 v11, 1, v4
	s_waitcnt vmcnt(6)
	v_pk_add_f32 v[0:1], v[14:15], v[8:9]
	v_pk_add_f32 v[2:3], v[12:13], v[6:7]
	s_waitcnt vmcnt(4)
	v_pk_add_f32 v[12:13], v[18:19], v[22:23]
	v_pk_add_f32 v[14:15], v[16:17], v[20:21]
	;; [unrolled: 3-line block ×4, first 2 shown]
	v_mul_f32_e32 v20, 0xbfb8aa3b, v14
	v_mul_f32_e32 v21, 0xbfb8aa3b, v15
	;; [unrolled: 1-line block ×8, first 2 shown]
	v_fma_f32 v28, v14, s33, -v20
	v_rndne_f32_e32 v29, v20
	v_fma_f32 v30, v15, s33, -v21
	v_rndne_f32_e32 v31, v21
	;; [unrolled: 2-line block ×8, first 2 shown]
	v_fmac_f32_e32 v28, 0xb2a5705f, v14
	v_sub_f32_e32 v20, v20, v29
	v_fmac_f32_e32 v30, 0xb2a5705f, v15
	v_sub_f32_e32 v21, v21, v31
	;; [unrolled: 2-line block ×8, first 2 shown]
	v_add_f32_e32 v20, v20, v28
	v_add_f32_e32 v21, v21, v30
	;; [unrolled: 1-line block ×8, first 2 shown]
	v_cvt_i32_f32_e32 v29, v29
	v_cvt_i32_f32_e32 v31, v31
	;; [unrolled: 1-line block ×8, first 2 shown]
	v_exp_f32_e32 v20, v20
	v_exp_f32_e32 v21, v21
	;; [unrolled: 1-line block ×8, first 2 shown]
	v_ldexp_f32 v20, v20, v29
	v_ldexp_f32 v21, v21, v31
	v_cmp_nlt_f32_e32 vcc, s44, v15
	v_ldexp_f32 v22, v22, v33
	v_cmp_nlt_f32_e64 s[0:1], s44, v12
	v_ldexp_f32 v23, v23, v35
	v_cmp_nlt_f32_e64 s[2:3], s44, v13
	;; [unrolled: 2-line block ×6, first 2 shown]
	v_cmp_nlt_f32_e64 s[12:13], s44, v14
	v_cndmask_b32_e32 v21, 0, v21, vcc
	v_cmp_ngt_f32_e32 vcc, s45, v15
	v_cndmask_b32_e64 v20, 0, v20, s[12:13]
	v_cndmask_b32_e64 v22, 0, v22, s[0:1]
	v_cmp_ngt_f32_e64 s[0:1], s45, v12
	v_cndmask_b32_e64 v23, 0, v23, s[2:3]
	v_cmp_ngt_f32_e64 s[2:3], s45, v13
	;; [unrolled: 2-line block ×6, first 2 shown]
	v_cmp_ngt_f32_e64 s[12:13], s45, v14
	v_cndmask_b32_e32 v21, v10, v21, vcc
	v_cndmask_b32_e64 v22, v10, v22, s[0:1]
	v_cndmask_b32_e64 v20, v10, v20, s[12:13]
	;; [unrolled: 1-line block ×7, first 2 shown]
	v_add_f32_e32 v20, 1.0, v20
	v_add_f32_e32 v21, 1.0, v21
	;; [unrolled: 1-line block ×8, first 2 shown]
	v_rcp_f32_e32 v20, v20
	v_rcp_f32_e32 v21, v21
	;; [unrolled: 1-line block ×8, first 2 shown]
	v_pk_mul_f32 v[14:15], v[14:15], v[20:21]
	v_pk_mul_f32 v[12:13], v[12:13], v[22:23]
	;; [unrolled: 1-line block ×4, first 2 shown]
	;;#ASMSTART
	v_pk_mul_f32 v[2:3], v[14:15], v[2:3]
	;;#ASMEND
	;;#ASMSTART
	v_pk_mul_f32 v[0:1], v[12:13], v[0:1]
	;;#ASMEND
	;; [unrolled: 3-line block ×3, first 2 shown]
	s_nop 0
	;;#ASMSTART
	v_pk_mul_f32 v[6:7], v[16:17], v[6:7]
	;;#ASMEND
	s_load_dword s0, s[40:41], 0xc
	v_cvt_f16_f32_e32 v2, v2
	v_cvt_f16_f32_e32 v12, v3
	;; [unrolled: 1-line block ×8, first 2 shown]
	s_waitcnt lgkmcnt(0)
	s_and_b32 s0, s0, 0xffff
	s_lshl_b32 s34, s0, 3
	v_lshl_add_u64 v[4:5], s[34:35], 0, v[4:5]
	v_cmp_le_i64_e32 vcc, s[14:15], v[4:5]
	v_pack_b32_f16 v1, v0, v1
	v_pack_b32_f16 v3, v3, v6
	v_pack_b32_f16 v0, v2, v12
	v_pack_b32_f16 v2, v7, v8
	s_or_b64 s[42:43], vcc, s[42:43]
	buffer_store_dwordx4 v[0:3], v11, s[16:19], 0 offen
	s_andn2_b64 exec, exec, s[42:43]
	s_cbranch_execnz .LBB115_8
.LBB115_9:
	s_endpgm
	.section	.rodata,"a",@progbits
	.p2align	6, 0x0
	.amdhsa_kernel _ZN5aiter23act_and_mul_bias_kernelIfDF16_afTnPFfRKT2_EXadL_ZNS_11silu_kernelIfEEfRKT_EELi8EEEvPT0_PS8_PKT1_PS2_il
		.amdhsa_group_segment_fixed_size 0
		.amdhsa_private_segment_fixed_size 0
		.amdhsa_kernarg_size 304
		.amdhsa_user_sgpr_count 2
		.amdhsa_user_sgpr_dispatch_ptr 0
		.amdhsa_user_sgpr_queue_ptr 0
		.amdhsa_user_sgpr_kernarg_segment_ptr 1
		.amdhsa_user_sgpr_dispatch_id 0
		.amdhsa_user_sgpr_kernarg_preload_length 0
		.amdhsa_user_sgpr_kernarg_preload_offset 0
		.amdhsa_user_sgpr_private_segment_size 0
		.amdhsa_uses_dynamic_stack 0
		.amdhsa_enable_private_segment 0
		.amdhsa_system_sgpr_workgroup_id_x 1
		.amdhsa_system_sgpr_workgroup_id_y 0
		.amdhsa_system_sgpr_workgroup_id_z 0
		.amdhsa_system_sgpr_workgroup_info 0
		.amdhsa_system_vgpr_workitem_id 0
		.amdhsa_next_free_vgpr 44
		.amdhsa_next_free_sgpr 46
		.amdhsa_accum_offset 44
		.amdhsa_reserve_vcc 1
		.amdhsa_float_round_mode_32 0
		.amdhsa_float_round_mode_16_64 0
		.amdhsa_float_denorm_mode_32 3
		.amdhsa_float_denorm_mode_16_64 3
		.amdhsa_dx10_clamp 1
		.amdhsa_ieee_mode 1
		.amdhsa_fp16_overflow 0
		.amdhsa_tg_split 0
		.amdhsa_exception_fp_ieee_invalid_op 0
		.amdhsa_exception_fp_denorm_src 0
		.amdhsa_exception_fp_ieee_div_zero 0
		.amdhsa_exception_fp_ieee_overflow 0
		.amdhsa_exception_fp_ieee_underflow 0
		.amdhsa_exception_fp_ieee_inexact 0
		.amdhsa_exception_int_div_zero 0
	.end_amdhsa_kernel
	.section	.text._ZN5aiter23act_and_mul_bias_kernelIfDF16_afTnPFfRKT2_EXadL_ZNS_11silu_kernelIfEEfRKT_EELi8EEEvPT0_PS8_PKT1_PS2_il,"axG",@progbits,_ZN5aiter23act_and_mul_bias_kernelIfDF16_afTnPFfRKT2_EXadL_ZNS_11silu_kernelIfEEfRKT_EELi8EEEvPT0_PS8_PKT1_PS2_il,comdat
.Lfunc_end115:
	.size	_ZN5aiter23act_and_mul_bias_kernelIfDF16_afTnPFfRKT2_EXadL_ZNS_11silu_kernelIfEEfRKT_EELi8EEEvPT0_PS8_PKT1_PS2_il, .Lfunc_end115-_ZN5aiter23act_and_mul_bias_kernelIfDF16_afTnPFfRKT2_EXadL_ZNS_11silu_kernelIfEEfRKT_EELi8EEEvPT0_PS8_PKT1_PS2_il
                                        ; -- End function
	.section	.AMDGPU.csdata,"",@progbits
; Kernel info:
; codeLenInByte = 1604
; NumSgprs: 52
; NumVgprs: 44
; NumAgprs: 0
; TotalNumVgprs: 44
; ScratchSize: 0
; MemoryBound: 0
; FloatMode: 240
; IeeeMode: 1
; LDSByteSize: 0 bytes/workgroup (compile time only)
; SGPRBlocks: 6
; VGPRBlocks: 5
; NumSGPRsForWavesPerEU: 52
; NumVGPRsForWavesPerEU: 44
; AccumOffset: 44
; Occupancy: 8
; WaveLimiterHint : 0
; COMPUTE_PGM_RSRC2:SCRATCH_EN: 0
; COMPUTE_PGM_RSRC2:USER_SGPR: 2
; COMPUTE_PGM_RSRC2:TRAP_HANDLER: 0
; COMPUTE_PGM_RSRC2:TGID_X_EN: 1
; COMPUTE_PGM_RSRC2:TGID_Y_EN: 0
; COMPUTE_PGM_RSRC2:TGID_Z_EN: 0
; COMPUTE_PGM_RSRC2:TIDIG_COMP_CNT: 0
; COMPUTE_PGM_RSRC3_GFX90A:ACCUM_OFFSET: 10
; COMPUTE_PGM_RSRC3_GFX90A:TG_SPLIT: 0
	.section	.text._ZN5aiter23act_and_mul_bias_kernelIfDF16_afTnPFfRKT2_EXadL_ZNS_11silu_kernelIfEEfRKT_EELi4EEEvPT0_PS8_PKT1_PS2_il,"axG",@progbits,_ZN5aiter23act_and_mul_bias_kernelIfDF16_afTnPFfRKT2_EXadL_ZNS_11silu_kernelIfEEfRKT_EELi4EEEvPT0_PS8_PKT1_PS2_il,comdat
	.protected	_ZN5aiter23act_and_mul_bias_kernelIfDF16_afTnPFfRKT2_EXadL_ZNS_11silu_kernelIfEEfRKT_EELi4EEEvPT0_PS8_PKT1_PS2_il ; -- Begin function _ZN5aiter23act_and_mul_bias_kernelIfDF16_afTnPFfRKT2_EXadL_ZNS_11silu_kernelIfEEfRKT_EELi4EEEvPT0_PS8_PKT1_PS2_il
	.globl	_ZN5aiter23act_and_mul_bias_kernelIfDF16_afTnPFfRKT2_EXadL_ZNS_11silu_kernelIfEEfRKT_EELi4EEEvPT0_PS8_PKT1_PS2_il
	.p2align	8
	.type	_ZN5aiter23act_and_mul_bias_kernelIfDF16_afTnPFfRKT2_EXadL_ZNS_11silu_kernelIfEEfRKT_EELi4EEEvPT0_PS8_PKT1_PS2_il,@function
_ZN5aiter23act_and_mul_bias_kernelIfDF16_afTnPFfRKT2_EXadL_ZNS_11silu_kernelIfEEfRKT_EELi4EEEvPT0_PS8_PKT1_PS2_il: ; @_ZN5aiter23act_and_mul_bias_kernelIfDF16_afTnPFfRKT2_EXadL_ZNS_11silu_kernelIfEEfRKT_EELi4EEEvPT0_PS8_PKT1_PS2_il
; %bb.0:
	s_load_dwordx2 s[4:5], s[0:1], 0x10
	s_load_dword s6, s[0:1], 0x20
	s_load_dwordx2 s[8:9], s[0:1], 0x28
	v_mov_b32_e32 v1, s2
	s_load_dwordx2 s[10:11], s[0:1], 0x0
	s_waitcnt lgkmcnt(0)
	global_load_ubyte v1, v1, s[4:5]
	s_ashr_i32 s7, s6, 31
	s_mul_hi_u32 s3, s6, s2
	s_mul_i32 s4, s7, s2
	s_add_i32 s15, s3, s4
	s_mov_b32 s5, 0
	s_mul_i32 s14, s6, s2
	v_mov_b64_e32 v[2:3], s[8:9]
	s_lshl_b64 s[8:9], s[14:15], 1
	s_mov_b64 s[12:13], -1
	s_waitcnt vmcnt(0)
	v_readfirstlane_b32 s3, v1
	s_nop 1
	v_mov_b32_e32 v4, s3
	s_sext_i32_i8 s3, s3
	v_readfirstlane_b32 s4, v4
	s_bfe_i64 s[4:5], s[4:5], 0x80000
	s_add_u32 s8, s10, s8
	v_cmp_lt_i64_e32 vcc, s[4:5], v[2:3]
	s_addc_u32 s5, s11, s9
	s_add_i32 s10, s6, 1
	s_lshr_b32 s11, s10, 31
	s_add_i32 s10, s10, s11
	s_and_b32 s9, s5, 0xffff
	s_lshl_b32 s5, s10, 1
	s_and_b32 s10, s5, -4
	s_cmp_gt_i32 s3, -1
	s_cselect_b64 s[14:15], -1, 0
	s_and_b64 s[14:15], s[14:15], vcc
	s_and_b64 vcc, exec, s[14:15]
	v_lshlrev_b32_e32 v2, 2, v0
	s_cbranch_vccnz .LBB116_5
; %bb.1:
	v_cmp_gt_i32_e32 vcc, s6, v2
	s_and_saveexec_b64 s[12:13], vcc
	s_cbranch_execz .LBB116_4
; %bb.2:
	s_load_dword s3, s[0:1], 0x3c
	v_mov_b32_e32 v3, 0
	s_mov_b32 s15, 0
	v_lshlrev_b32_e32 v6, 3, v0
	s_mov_b64 s[16:17], 0
	s_waitcnt lgkmcnt(0)
	s_and_b32 s3, s3, 0xffff
	s_lshl_b32 s14, s3, 2
	s_lshl_b32 s3, s3, 3
	s_mov_b32 s11, 0x20000
	v_mov_b32_e32 v0, v3
	v_mov_b32_e32 v1, v3
	v_mov_b64_e32 v[4:5], v[2:3]
.LBB116_3:                              ; =>This Inner Loop Header: Depth=1
	v_lshl_add_u64 v[4:5], s[14:15], 0, v[4:5]
	v_cmp_le_i64_e32 vcc, s[6:7], v[4:5]
	buffer_store_dwordx2 v[0:1], v6, s[8:11], 0 offen
	s_or_b64 s[16:17], vcc, s[16:17]
	v_add_u32_e32 v6, s3, v6
	s_andn2_b64 exec, exec, s[16:17]
	s_cbranch_execnz .LBB116_3
.LBB116_4:
	s_or_b64 exec, exec, s[12:13]
	s_mov_b64 s[12:13], 0
.LBB116_5:
	s_andn2_b64 vcc, exec, s[12:13]
	s_cbranch_vccnz .LBB116_9
; %bb.6:
	v_cmp_gt_i32_e32 vcc, s6, v2
	s_and_saveexec_b64 s[12:13], vcc
	s_cbranch_execz .LBB116_9
; %bb.7:
	s_load_dwordx2 s[12:13], s[0:1], 0x8
	s_load_dwordx2 s[16:17], s[0:1], 0x18
	s_mul_hi_i32 s5, s6, s4
	s_mul_i32 s4, s6, s4
	s_lshl_b32 s14, s6, 2
	s_lshl_b64 s[4:5], s[4:5], 3
	s_waitcnt lgkmcnt(0)
	s_add_u32 s16, s16, s4
	s_addc_u32 s3, s17, s5
	s_lshl_b64 s[4:5], s[6:7], 2
	s_add_u32 s20, s16, s4
	s_addc_u32 s18, s3, s5
	s_and_b32 s17, s3, 0xffff
	s_and_b32 s21, s18, 0xffff
	s_mul_i32 s3, s2, s7
	s_mul_hi_u32 s18, s2, s6
	s_add_i32 s3, s18, s3
	s_mul_i32 s2, s2, s6
	s_lshl_b64 s[2:3], s[2:3], 3
	s_add_u32 s12, s12, s2
	s_addc_u32 s2, s13, s3
	s_add_u32 s24, s12, s4
	s_addc_u32 s3, s2, s5
	s_and_b32 s13, s2, 0xffff
	s_and_b32 s25, s3, 0xffff
	s_mov_b32 s11, 0x20000
	s_add_u32 s30, s0, 48
	s_mov_b32 s29, 0
	s_mov_b32 s15, s11
	v_mov_b32_e32 v3, 0
	s_addc_u32 s31, s1, 0
	s_mov_b64 s[34:35], 0
	s_mov_b32 s33, 0xbfb8aa3b
	s_mov_b32 s36, 0x42ce8ed0
	;; [unrolled: 1-line block ×3, first 2 shown]
	v_mov_b32_e32 v0, 0x7f800000
	s_mov_b32 s26, s14
	s_mov_b32 s27, s11
	;; [unrolled: 1-line block ×6, first 2 shown]
.LBB116_8:                              ; =>This Inner Loop Header: Depth=1
	v_lshlrev_b32_e32 v1, 2, v2
	buffer_load_dwordx4 v[4:7], v1, s[12:15], 0 offen
	buffer_load_dwordx4 v[8:11], v1, s[24:27], 0 offen
	;; [unrolled: 1-line block ×4, first 2 shown]
	v_lshlrev_b32_e32 v1, 1, v2
	s_waitcnt vmcnt(1)
	v_pk_add_f32 v[6:7], v[6:7], v[14:15]
	v_pk_add_f32 v[4:5], v[4:5], v[12:13]
	v_mul_f32_e32 v14, 0xbfb8aa3b, v6
	v_mul_f32_e32 v12, 0xbfb8aa3b, v4
	v_mul_f32_e32 v13, 0xbfb8aa3b, v5
	v_mul_f32_e32 v15, 0xbfb8aa3b, v7
	s_waitcnt vmcnt(0)
	v_pk_add_f32 v[10:11], v[10:11], v[18:19]
	v_pk_add_f32 v[8:9], v[8:9], v[16:17]
	v_fma_f32 v16, v4, s33, -v12
	v_rndne_f32_e32 v17, v12
	v_fma_f32 v18, v5, s33, -v13
	v_rndne_f32_e32 v19, v13
	;; [unrolled: 2-line block ×4, first 2 shown]
	v_fmac_f32_e32 v16, 0xb2a5705f, v4
	v_sub_f32_e32 v12, v12, v17
	v_fmac_f32_e32 v18, 0xb2a5705f, v5
	v_sub_f32_e32 v13, v13, v19
	;; [unrolled: 2-line block ×4, first 2 shown]
	v_add_f32_e32 v12, v12, v16
	v_add_f32_e32 v13, v13, v18
	;; [unrolled: 1-line block ×4, first 2 shown]
	v_cvt_i32_f32_e32 v17, v17
	v_cvt_i32_f32_e32 v19, v19
	;; [unrolled: 1-line block ×4, first 2 shown]
	v_exp_f32_e32 v12, v12
	v_exp_f32_e32 v13, v13
	;; [unrolled: 1-line block ×4, first 2 shown]
	v_ldexp_f32 v12, v12, v17
	v_ldexp_f32 v13, v13, v19
	v_cmp_nlt_f32_e32 vcc, s36, v5
	v_ldexp_f32 v14, v14, v21
	v_cmp_nlt_f32_e64 s[0:1], s36, v6
	v_ldexp_f32 v15, v15, v23
	v_cmp_nlt_f32_e64 s[2:3], s36, v7
	v_cmp_nlt_f32_e64 s[4:5], s36, v4
	v_cndmask_b32_e32 v13, 0, v13, vcc
	v_cmp_ngt_f32_e32 vcc, s37, v5
	v_cndmask_b32_e64 v12, 0, v12, s[4:5]
	v_cndmask_b32_e64 v14, 0, v14, s[0:1]
	v_cmp_ngt_f32_e64 s[0:1], s37, v6
	v_cndmask_b32_e64 v15, 0, v15, s[2:3]
	v_cmp_ngt_f32_e64 s[2:3], s37, v7
	v_cmp_ngt_f32_e64 s[4:5], s37, v4
	v_cndmask_b32_e32 v13, v0, v13, vcc
	v_cndmask_b32_e64 v14, v0, v14, s[0:1]
	v_cndmask_b32_e64 v12, v0, v12, s[4:5]
	;; [unrolled: 1-line block ×3, first 2 shown]
	v_add_f32_e32 v12, 1.0, v12
	v_add_f32_e32 v13, 1.0, v13
	;; [unrolled: 1-line block ×4, first 2 shown]
	v_rcp_f32_e32 v12, v12
	v_rcp_f32_e32 v13, v13
	;; [unrolled: 1-line block ×4, first 2 shown]
	v_pk_mul_f32 v[4:5], v[4:5], v[12:13]
	s_nop 0
	;;#ASMSTART
	v_pk_mul_f32 v[4:5], v[4:5], v[8:9]
	;;#ASMEND
	v_pk_mul_f32 v[6:7], v[6:7], v[14:15]
	v_cvt_f16_f32_e32 v4, v4
	;;#ASMSTART
	v_pk_mul_f32 v[6:7], v[6:7], v[10:11]
	;;#ASMEND
	s_load_dword s0, s[30:31], 0xc
	v_cvt_f16_f32_e32 v6, v6
	v_cvt_f16_f32_e32 v7, v7
	;; [unrolled: 1-line block ×3, first 2 shown]
	s_waitcnt lgkmcnt(0)
	s_and_b32 s0, s0, 0xffff
	s_lshl_b32 s28, s0, 2
	v_lshl_add_u64 v[2:3], s[28:29], 0, v[2:3]
	v_cmp_le_i64_e32 vcc, s[6:7], v[2:3]
	v_pack_b32_f16 v5, v6, v7
	v_pack_b32_f16 v4, v4, v8
	s_or_b64 s[34:35], vcc, s[34:35]
	buffer_store_dwordx2 v[4:5], v1, s[8:11], 0 offen
	s_andn2_b64 exec, exec, s[34:35]
	s_cbranch_execnz .LBB116_8
.LBB116_9:
	s_endpgm
	.section	.rodata,"a",@progbits
	.p2align	6, 0x0
	.amdhsa_kernel _ZN5aiter23act_and_mul_bias_kernelIfDF16_afTnPFfRKT2_EXadL_ZNS_11silu_kernelIfEEfRKT_EELi4EEEvPT0_PS8_PKT1_PS2_il
		.amdhsa_group_segment_fixed_size 0
		.amdhsa_private_segment_fixed_size 0
		.amdhsa_kernarg_size 304
		.amdhsa_user_sgpr_count 2
		.amdhsa_user_sgpr_dispatch_ptr 0
		.amdhsa_user_sgpr_queue_ptr 0
		.amdhsa_user_sgpr_kernarg_segment_ptr 1
		.amdhsa_user_sgpr_dispatch_id 0
		.amdhsa_user_sgpr_kernarg_preload_length 0
		.amdhsa_user_sgpr_kernarg_preload_offset 0
		.amdhsa_user_sgpr_private_segment_size 0
		.amdhsa_uses_dynamic_stack 0
		.amdhsa_enable_private_segment 0
		.amdhsa_system_sgpr_workgroup_id_x 1
		.amdhsa_system_sgpr_workgroup_id_y 0
		.amdhsa_system_sgpr_workgroup_id_z 0
		.amdhsa_system_sgpr_workgroup_info 0
		.amdhsa_system_vgpr_workitem_id 0
		.amdhsa_next_free_vgpr 24
		.amdhsa_next_free_sgpr 38
		.amdhsa_accum_offset 24
		.amdhsa_reserve_vcc 1
		.amdhsa_float_round_mode_32 0
		.amdhsa_float_round_mode_16_64 0
		.amdhsa_float_denorm_mode_32 3
		.amdhsa_float_denorm_mode_16_64 3
		.amdhsa_dx10_clamp 1
		.amdhsa_ieee_mode 1
		.amdhsa_fp16_overflow 0
		.amdhsa_tg_split 0
		.amdhsa_exception_fp_ieee_invalid_op 0
		.amdhsa_exception_fp_denorm_src 0
		.amdhsa_exception_fp_ieee_div_zero 0
		.amdhsa_exception_fp_ieee_overflow 0
		.amdhsa_exception_fp_ieee_underflow 0
		.amdhsa_exception_fp_ieee_inexact 0
		.amdhsa_exception_int_div_zero 0
	.end_amdhsa_kernel
	.section	.text._ZN5aiter23act_and_mul_bias_kernelIfDF16_afTnPFfRKT2_EXadL_ZNS_11silu_kernelIfEEfRKT_EELi4EEEvPT0_PS8_PKT1_PS2_il,"axG",@progbits,_ZN5aiter23act_and_mul_bias_kernelIfDF16_afTnPFfRKT2_EXadL_ZNS_11silu_kernelIfEEfRKT_EELi4EEEvPT0_PS8_PKT1_PS2_il,comdat
.Lfunc_end116:
	.size	_ZN5aiter23act_and_mul_bias_kernelIfDF16_afTnPFfRKT2_EXadL_ZNS_11silu_kernelIfEEfRKT_EELi4EEEvPT0_PS8_PKT1_PS2_il, .Lfunc_end116-_ZN5aiter23act_and_mul_bias_kernelIfDF16_afTnPFfRKT2_EXadL_ZNS_11silu_kernelIfEEfRKT_EELi4EEEvPT0_PS8_PKT1_PS2_il
                                        ; -- End function
	.section	.AMDGPU.csdata,"",@progbits
; Kernel info:
; codeLenInByte = 1092
; NumSgprs: 44
; NumVgprs: 24
; NumAgprs: 0
; TotalNumVgprs: 24
; ScratchSize: 0
; MemoryBound: 0
; FloatMode: 240
; IeeeMode: 1
; LDSByteSize: 0 bytes/workgroup (compile time only)
; SGPRBlocks: 5
; VGPRBlocks: 2
; NumSGPRsForWavesPerEU: 44
; NumVGPRsForWavesPerEU: 24
; AccumOffset: 24
; Occupancy: 8
; WaveLimiterHint : 0
; COMPUTE_PGM_RSRC2:SCRATCH_EN: 0
; COMPUTE_PGM_RSRC2:USER_SGPR: 2
; COMPUTE_PGM_RSRC2:TRAP_HANDLER: 0
; COMPUTE_PGM_RSRC2:TGID_X_EN: 1
; COMPUTE_PGM_RSRC2:TGID_Y_EN: 0
; COMPUTE_PGM_RSRC2:TGID_Z_EN: 0
; COMPUTE_PGM_RSRC2:TIDIG_COMP_CNT: 0
; COMPUTE_PGM_RSRC3_GFX90A:ACCUM_OFFSET: 5
; COMPUTE_PGM_RSRC3_GFX90A:TG_SPLIT: 0
	.section	.text._ZN5aiter23act_and_mul_bias_kernelIfDF16_afTnPFfRKT2_EXadL_ZNS_11silu_kernelIfEEfRKT_EELi2EEEvPT0_PS8_PKT1_PS2_il,"axG",@progbits,_ZN5aiter23act_and_mul_bias_kernelIfDF16_afTnPFfRKT2_EXadL_ZNS_11silu_kernelIfEEfRKT_EELi2EEEvPT0_PS8_PKT1_PS2_il,comdat
	.protected	_ZN5aiter23act_and_mul_bias_kernelIfDF16_afTnPFfRKT2_EXadL_ZNS_11silu_kernelIfEEfRKT_EELi2EEEvPT0_PS8_PKT1_PS2_il ; -- Begin function _ZN5aiter23act_and_mul_bias_kernelIfDF16_afTnPFfRKT2_EXadL_ZNS_11silu_kernelIfEEfRKT_EELi2EEEvPT0_PS8_PKT1_PS2_il
	.globl	_ZN5aiter23act_and_mul_bias_kernelIfDF16_afTnPFfRKT2_EXadL_ZNS_11silu_kernelIfEEfRKT_EELi2EEEvPT0_PS8_PKT1_PS2_il
	.p2align	8
	.type	_ZN5aiter23act_and_mul_bias_kernelIfDF16_afTnPFfRKT2_EXadL_ZNS_11silu_kernelIfEEfRKT_EELi2EEEvPT0_PS8_PKT1_PS2_il,@function
_ZN5aiter23act_and_mul_bias_kernelIfDF16_afTnPFfRKT2_EXadL_ZNS_11silu_kernelIfEEfRKT_EELi2EEEvPT0_PS8_PKT1_PS2_il: ; @_ZN5aiter23act_and_mul_bias_kernelIfDF16_afTnPFfRKT2_EXadL_ZNS_11silu_kernelIfEEfRKT_EELi2EEEvPT0_PS8_PKT1_PS2_il
; %bb.0:
	s_load_dwordx2 s[4:5], s[0:1], 0x10
	s_load_dword s24, s[0:1], 0x20
	s_load_dwordx2 s[6:7], s[0:1], 0x28
	v_mov_b32_e32 v1, s2
	s_mov_b32 s9, 0
	s_waitcnt lgkmcnt(0)
	global_load_ubyte v1, v1, s[4:5]
	s_ashr_i32 s25, s24, 31
	s_load_dwordx2 s[4:5], s[0:1], 0x0
	s_mul_hi_u32 s3, s24, s2
	v_mov_b64_e32 v[2:3], s[6:7]
	s_mul_i32 s6, s25, s2
	s_add_i32 s13, s3, s6
	s_mul_i32 s12, s24, s2
	s_lshl_b64 s[6:7], s[12:13], 1
	s_mov_b64 s[10:11], -1
	s_waitcnt vmcnt(0)
	v_readfirstlane_b32 s3, v1
	s_nop 1
	v_mov_b32_e32 v4, s3
	s_sext_i32_i8 s3, s3
	v_readfirstlane_b32 s8, v4
	s_bfe_i64 s[8:9], s[8:9], 0x80000
	s_waitcnt lgkmcnt(0)
	s_add_u32 s4, s4, s6
	s_addc_u32 s5, s5, s7
	s_add_i32 s6, s24, 1
	s_lshr_b32 s7, s6, 31
	s_add_i32 s6, s6, s7
	s_lshl_b32 s6, s6, 1
	s_and_b32 s5, s5, 0xffff
	s_and_b32 s6, s6, -4
	s_cmp_gt_i32 s3, -1
	v_cmp_lt_i64_e32 vcc, s[8:9], v[2:3]
	s_cselect_b64 s[12:13], -1, 0
	s_and_b64 s[12:13], s[12:13], vcc
	s_and_b64 vcc, exec, s[12:13]
	v_lshlrev_b32_e32 v2, 1, v0
	s_cbranch_vccnz .LBB117_5
; %bb.1:
	v_cmp_gt_i32_e32 vcc, s24, v2
	s_and_saveexec_b64 s[10:11], vcc
	s_cbranch_execz .LBB117_4
; %bb.2:
	s_load_dword s3, s[0:1], 0x3c
	v_mov_b32_e32 v3, 0
	s_mov_b32 s13, 0
	v_lshlrev_b32_e32 v4, 2, v0
	s_mov_b64 s[14:15], 0
	s_waitcnt lgkmcnt(0)
	s_and_b32 s3, s3, 0xffff
	s_lshl_b32 s12, s3, 1
	s_lshl_b32 s3, s3, 2
	s_mov_b32 s7, 0x20000
	v_mov_b64_e32 v[0:1], v[2:3]
.LBB117_3:                              ; =>This Inner Loop Header: Depth=1
	v_lshl_add_u64 v[0:1], s[12:13], 0, v[0:1]
	v_cmp_le_i64_e32 vcc, s[24:25], v[0:1]
	buffer_store_dword v3, v4, s[4:7], 0 offen
	s_or_b64 s[14:15], vcc, s[14:15]
	v_add_u32_e32 v4, s3, v4
	s_andn2_b64 exec, exec, s[14:15]
	s_cbranch_execnz .LBB117_3
.LBB117_4:
	s_or_b64 exec, exec, s[10:11]
	s_mov_b64 s[10:11], 0
.LBB117_5:
	s_andn2_b64 vcc, exec, s[10:11]
	s_cbranch_vccnz .LBB117_9
; %bb.6:
	v_cmp_gt_i32_e32 vcc, s24, v2
	s_and_saveexec_b64 s[10:11], vcc
	s_cbranch_execz .LBB117_9
; %bb.7:
	s_load_dwordx2 s[14:15], s[0:1], 0x8
	s_load_dwordx2 s[12:13], s[0:1], 0x18
	s_mul_hi_i32 s9, s24, s8
	s_mul_i32 s8, s24, s8
	s_lshl_b32 s10, s24, 2
	s_lshl_b64 s[8:9], s[8:9], 3
	s_waitcnt lgkmcnt(0)
	s_add_u32 s12, s12, s8
	s_addc_u32 s7, s13, s9
	s_lshl_b64 s[18:19], s[24:25], 2
	s_add_u32 s16, s12, s18
	s_addc_u32 s8, s7, s19
	s_and_b32 s17, s8, 0xffff
	s_mul_i32 s8, s2, s25
	s_mul_hi_u32 s9, s2, s24
	s_add_i32 s9, s9, s8
	s_mul_i32 s8, s2, s24
	s_and_b32 s13, s7, 0xffff
	s_lshl_b64 s[8:9], s[8:9], 3
	s_add_u32 s8, s14, s8
	s_addc_u32 s2, s15, s9
	s_add_u32 s20, s8, s18
	s_addc_u32 s14, s2, s19
	s_and_b32 s9, s2, 0xffff
	s_and_b32 s21, s14, 0xffff
	s_mov_b32 s7, 0x20000
	s_add_u32 s26, s0, 48
	s_mov_b32 s3, 0
	s_mov_b32 s11, s7
	v_mov_b32_e32 v3, 0
	s_addc_u32 s27, s1, 0
	s_mov_b64 s[28:29], 0
	s_mov_b32 s30, 0xbfb8aa3b
	s_mov_b32 s31, 0x42ce8ed0
	;; [unrolled: 1-line block ×3, first 2 shown]
	v_mov_b32_e32 v0, 0x7f800000
	s_mov_b32 s22, s10
	s_mov_b32 s23, s7
	;; [unrolled: 1-line block ×6, first 2 shown]
.LBB117_8:                              ; =>This Inner Loop Header: Depth=1
	v_lshlrev_b32_e32 v1, 2, v2
	buffer_load_dwordx2 v[4:5], v1, s[8:11], 0 offen
	buffer_load_dwordx2 v[6:7], v1, s[20:23], 0 offen
	;; [unrolled: 1-line block ×4, first 2 shown]
	v_lshlrev_b32_e32 v1, 1, v2
	s_waitcnt vmcnt(1)
	v_pk_add_f32 v[4:5], v[4:5], v[8:9]
	s_nop 0
	v_mul_f32_e32 v8, 0xbfb8aa3b, v5
	v_mul_f32_e32 v9, 0xbfb8aa3b, v4
	s_waitcnt vmcnt(0)
	v_pk_add_f32 v[6:7], v[6:7], v[10:11]
	v_fma_f32 v10, v5, s30, -v8
	v_rndne_f32_e32 v11, v8
	v_fma_f32 v12, v4, s30, -v9
	v_rndne_f32_e32 v13, v9
	v_fmac_f32_e32 v10, 0xb2a5705f, v5
	v_sub_f32_e32 v8, v8, v11
	v_fmac_f32_e32 v12, 0xb2a5705f, v4
	v_sub_f32_e32 v9, v9, v13
	v_add_f32_e32 v8, v8, v10
	v_add_f32_e32 v9, v9, v12
	v_cvt_i32_f32_e32 v11, v11
	v_cvt_i32_f32_e32 v13, v13
	v_exp_f32_e32 v8, v8
	v_exp_f32_e32 v9, v9
	v_cmp_nlt_f32_e32 vcc, s31, v4
	v_cmp_nlt_f32_e64 s[0:1], s31, v5
	v_ldexp_f32 v8, v8, v11
	v_ldexp_f32 v9, v9, v13
	v_cndmask_b32_e64 v8, 0, v8, s[0:1]
	v_cndmask_b32_e32 v9, 0, v9, vcc
	v_cmp_ngt_f32_e32 vcc, s33, v4
	v_cmp_ngt_f32_e64 s[0:1], s33, v5
	s_nop 0
	v_cndmask_b32_e32 v9, v0, v9, vcc
	v_cndmask_b32_e64 v8, v0, v8, s[0:1]
	v_add_f32_e32 v8, 1.0, v8
	v_add_f32_e32 v10, 1.0, v9
	v_rcp_f32_e32 v9, v8
	v_rcp_f32_e32 v8, v10
	s_nop 0
	v_pk_mul_f32 v[4:5], v[4:5], v[8:9]
	s_nop 0
	;;#ASMSTART
	v_pk_mul_f32 v[4:5], v[4:5], v[6:7]
	;;#ASMEND
	s_load_dword s0, s[26:27], 0xc
	v_cvt_f16_f32_e32 v4, v4
	v_cvt_f16_f32_e32 v5, v5
	s_waitcnt lgkmcnt(0)
	s_and_b32 s0, s0, 0xffff
	s_lshl_b32 s2, s0, 1
	v_lshl_add_u64 v[2:3], s[2:3], 0, v[2:3]
	v_cmp_le_i64_e32 vcc, s[24:25], v[2:3]
	v_pack_b32_f16 v4, v4, v5
	s_or_b64 s[28:29], vcc, s[28:29]
	buffer_store_dword v4, v1, s[4:7], 0 offen
	s_andn2_b64 exec, exec, s[28:29]
	s_cbranch_execnz .LBB117_8
.LBB117_9:
	s_endpgm
	.section	.rodata,"a",@progbits
	.p2align	6, 0x0
	.amdhsa_kernel _ZN5aiter23act_and_mul_bias_kernelIfDF16_afTnPFfRKT2_EXadL_ZNS_11silu_kernelIfEEfRKT_EELi2EEEvPT0_PS8_PKT1_PS2_il
		.amdhsa_group_segment_fixed_size 0
		.amdhsa_private_segment_fixed_size 0
		.amdhsa_kernarg_size 304
		.amdhsa_user_sgpr_count 2
		.amdhsa_user_sgpr_dispatch_ptr 0
		.amdhsa_user_sgpr_queue_ptr 0
		.amdhsa_user_sgpr_kernarg_segment_ptr 1
		.amdhsa_user_sgpr_dispatch_id 0
		.amdhsa_user_sgpr_kernarg_preload_length 0
		.amdhsa_user_sgpr_kernarg_preload_offset 0
		.amdhsa_user_sgpr_private_segment_size 0
		.amdhsa_uses_dynamic_stack 0
		.amdhsa_enable_private_segment 0
		.amdhsa_system_sgpr_workgroup_id_x 1
		.amdhsa_system_sgpr_workgroup_id_y 0
		.amdhsa_system_sgpr_workgroup_id_z 0
		.amdhsa_system_sgpr_workgroup_info 0
		.amdhsa_system_vgpr_workitem_id 0
		.amdhsa_next_free_vgpr 14
		.amdhsa_next_free_sgpr 34
		.amdhsa_accum_offset 16
		.amdhsa_reserve_vcc 1
		.amdhsa_float_round_mode_32 0
		.amdhsa_float_round_mode_16_64 0
		.amdhsa_float_denorm_mode_32 3
		.amdhsa_float_denorm_mode_16_64 3
		.amdhsa_dx10_clamp 1
		.amdhsa_ieee_mode 1
		.amdhsa_fp16_overflow 0
		.amdhsa_tg_split 0
		.amdhsa_exception_fp_ieee_invalid_op 0
		.amdhsa_exception_fp_denorm_src 0
		.amdhsa_exception_fp_ieee_div_zero 0
		.amdhsa_exception_fp_ieee_overflow 0
		.amdhsa_exception_fp_ieee_underflow 0
		.amdhsa_exception_fp_ieee_inexact 0
		.amdhsa_exception_int_div_zero 0
	.end_amdhsa_kernel
	.section	.text._ZN5aiter23act_and_mul_bias_kernelIfDF16_afTnPFfRKT2_EXadL_ZNS_11silu_kernelIfEEfRKT_EELi2EEEvPT0_PS8_PKT1_PS2_il,"axG",@progbits,_ZN5aiter23act_and_mul_bias_kernelIfDF16_afTnPFfRKT2_EXadL_ZNS_11silu_kernelIfEEfRKT_EELi2EEEvPT0_PS8_PKT1_PS2_il,comdat
.Lfunc_end117:
	.size	_ZN5aiter23act_and_mul_bias_kernelIfDF16_afTnPFfRKT2_EXadL_ZNS_11silu_kernelIfEEfRKT_EELi2EEEvPT0_PS8_PKT1_PS2_il, .Lfunc_end117-_ZN5aiter23act_and_mul_bias_kernelIfDF16_afTnPFfRKT2_EXadL_ZNS_11silu_kernelIfEEfRKT_EELi2EEEvPT0_PS8_PKT1_PS2_il
                                        ; -- End function
	.section	.AMDGPU.csdata,"",@progbits
; Kernel info:
; codeLenInByte = 868
; NumSgprs: 40
; NumVgprs: 14
; NumAgprs: 0
; TotalNumVgprs: 14
; ScratchSize: 0
; MemoryBound: 0
; FloatMode: 240
; IeeeMode: 1
; LDSByteSize: 0 bytes/workgroup (compile time only)
; SGPRBlocks: 4
; VGPRBlocks: 1
; NumSGPRsForWavesPerEU: 40
; NumVGPRsForWavesPerEU: 14
; AccumOffset: 16
; Occupancy: 8
; WaveLimiterHint : 0
; COMPUTE_PGM_RSRC2:SCRATCH_EN: 0
; COMPUTE_PGM_RSRC2:USER_SGPR: 2
; COMPUTE_PGM_RSRC2:TRAP_HANDLER: 0
; COMPUTE_PGM_RSRC2:TGID_X_EN: 1
; COMPUTE_PGM_RSRC2:TGID_Y_EN: 0
; COMPUTE_PGM_RSRC2:TGID_Z_EN: 0
; COMPUTE_PGM_RSRC2:TIDIG_COMP_CNT: 0
; COMPUTE_PGM_RSRC3_GFX90A:ACCUM_OFFSET: 3
; COMPUTE_PGM_RSRC3_GFX90A:TG_SPLIT: 0
	.section	.text._ZN5aiter23act_and_mul_bias_kernelIfDF16_afTnPFfRKT2_EXadL_ZNS_11silu_kernelIfEEfRKT_EELi1EEEvPT0_PS8_PKT1_PS2_il,"axG",@progbits,_ZN5aiter23act_and_mul_bias_kernelIfDF16_afTnPFfRKT2_EXadL_ZNS_11silu_kernelIfEEfRKT_EELi1EEEvPT0_PS8_PKT1_PS2_il,comdat
	.protected	_ZN5aiter23act_and_mul_bias_kernelIfDF16_afTnPFfRKT2_EXadL_ZNS_11silu_kernelIfEEfRKT_EELi1EEEvPT0_PS8_PKT1_PS2_il ; -- Begin function _ZN5aiter23act_and_mul_bias_kernelIfDF16_afTnPFfRKT2_EXadL_ZNS_11silu_kernelIfEEfRKT_EELi1EEEvPT0_PS8_PKT1_PS2_il
	.globl	_ZN5aiter23act_and_mul_bias_kernelIfDF16_afTnPFfRKT2_EXadL_ZNS_11silu_kernelIfEEfRKT_EELi1EEEvPT0_PS8_PKT1_PS2_il
	.p2align	8
	.type	_ZN5aiter23act_and_mul_bias_kernelIfDF16_afTnPFfRKT2_EXadL_ZNS_11silu_kernelIfEEfRKT_EELi1EEEvPT0_PS8_PKT1_PS2_il,@function
_ZN5aiter23act_and_mul_bias_kernelIfDF16_afTnPFfRKT2_EXadL_ZNS_11silu_kernelIfEEfRKT_EELi1EEEvPT0_PS8_PKT1_PS2_il: ; @_ZN5aiter23act_and_mul_bias_kernelIfDF16_afTnPFfRKT2_EXadL_ZNS_11silu_kernelIfEEfRKT_EELi1EEEvPT0_PS8_PKT1_PS2_il
; %bb.0:
	s_load_dwordx2 s[4:5], s[0:1], 0x10
	s_load_dword s20, s[0:1], 0x20
	s_load_dwordx2 s[8:9], s[0:1], 0x28
	v_mov_b32_e32 v1, s2
	s_mov_b32 s11, 0
	s_waitcnt lgkmcnt(0)
	global_load_ubyte v1, v1, s[4:5]
	s_ashr_i32 s21, s20, 31
	s_load_dwordx2 s[4:5], s[0:1], 0x0
	s_mul_hi_u32 s3, s20, s2
	v_mov_b64_e32 v[2:3], s[8:9]
	s_mul_i32 s8, s21, s2
	s_add_i32 s13, s3, s8
	s_mul_i32 s12, s20, s2
	s_lshl_b64 s[8:9], s[12:13], 1
	s_mov_b64 s[6:7], -1
	s_waitcnt vmcnt(0)
	v_readfirstlane_b32 s3, v1
	s_nop 1
	v_mov_b32_e32 v4, s3
	s_sext_i32_i8 s3, s3
	v_readfirstlane_b32 s10, v4
	s_bfe_i64 s[12:13], s[10:11], 0x80000
	s_waitcnt lgkmcnt(0)
	s_add_u32 s8, s4, s8
	s_addc_u32 s4, s5, s9
	s_add_i32 s5, s20, 1
	s_lshr_b32 s10, s5, 31
	s_add_i32 s5, s5, s10
	s_and_b32 s9, s4, 0xffff
	s_lshl_b32 s4, s5, 1
	s_and_b32 s10, s4, -4
	s_cmp_gt_i32 s3, -1
	v_cmp_lt_i64_e32 vcc, s[12:13], v[2:3]
	s_cselect_b64 s[4:5], -1, 0
	s_and_b64 s[4:5], s[4:5], vcc
	s_and_b64 vcc, exec, s[4:5]
	v_cmp_gt_i32_e64 s[4:5], s20, v0
	s_cbranch_vccnz .LBB118_5
; %bb.1:
	s_and_saveexec_b64 s[6:7], s[4:5]
	s_cbranch_execz .LBB118_4
; %bb.2:
	s_load_dword s3, s[0:1], 0x3c
	v_mov_b32_e32 v1, 0
	s_mov_b32 s5, 0
	v_lshlrev_b32_e32 v4, 1, v0
	s_mov_b64 s[14:15], 0
	s_waitcnt lgkmcnt(0)
	s_and_b32 s4, s3, 0xffff
	s_lshl_b32 s3, s4, 1
	s_mov_b32 s11, 0x20000
	v_mov_b64_e32 v[2:3], v[0:1]
.LBB118_3:                              ; =>This Inner Loop Header: Depth=1
	v_lshl_add_u64 v[2:3], v[2:3], 0, s[4:5]
	v_cmp_le_i64_e32 vcc, s[20:21], v[2:3]
	buffer_store_short v1, v4, s[8:11], 0 offen
	s_or_b64 s[14:15], vcc, s[14:15]
	v_add_u32_e32 v4, s3, v4
	s_andn2_b64 exec, exec, s[14:15]
	s_cbranch_execnz .LBB118_3
.LBB118_4:
	s_or_b64 exec, exec, s[6:7]
	s_mov_b64 s[6:7], 0
.LBB118_5:
	s_andn2_b64 vcc, exec, s[6:7]
	s_cbranch_vccnz .LBB118_9
; %bb.6:
	v_cmp_gt_i32_e32 vcc, s20, v0
	s_and_saveexec_b64 s[4:5], vcc
	s_cbranch_execz .LBB118_9
; %bb.7:
	s_load_dwordx2 s[14:15], s[0:1], 0x8
	s_load_dwordx2 s[4:5], s[0:1], 0x18
	s_mul_hi_i32 s13, s20, s12
	s_mul_i32 s12, s20, s12
	s_lshl_b32 s6, s20, 2
	s_lshl_b64 s[12:13], s[12:13], 3
	s_load_dword s18, s[0:1], 0x3c
	s_waitcnt lgkmcnt(0)
	s_add_u32 s0, s4, s12
	s_addc_u32 s1, s5, s13
	s_lshl_b64 s[16:17], s[20:21], 2
	s_add_u32 s4, s0, s16
	s_addc_u32 s3, s1, s17
	s_and_b32 s5, s3, 0xffff
	s_mul_i32 s3, s2, s21
	s_mul_hi_u32 s12, s2, s20
	s_add_i32 s3, s12, s3
	s_mul_i32 s2, s2, s20
	s_and_b32 s1, s1, 0xffff
	s_lshl_b64 s[2:3], s[2:3], 3
	s_add_u32 s12, s14, s2
	s_addc_u32 s2, s15, s3
	s_add_u32 s16, s12, s16
	s_mov_b32 s11, 0x20000
	s_addc_u32 s3, s2, s17
	s_and_b32 s22, s18, 0xffff
	s_mov_b32 s23, 0
	s_mov_b32 s7, s11
	s_and_b32 s13, s2, 0xffff
	s_and_b32 s17, s3, 0xffff
	v_mov_b32_e32 v1, 0
	v_lshlrev_b32_e32 v2, 1, v0
	s_lshl_b32 s26, s22, 1
	v_lshlrev_b32_e32 v3, 2, v0
	s_lshl_b32 s27, s22, 2
	s_mov_b64 s[24:25], 0
	s_mov_b32 s14, s6
	s_mov_b32 s15, s11
	;; [unrolled: 1-line block ×5, first 2 shown]
	v_mov_b32_e32 v4, 0x7f800000
	s_mov_b32 s18, s6
	s_mov_b32 s19, s11
	;; [unrolled: 1-line block ×4, first 2 shown]
.LBB118_8:                              ; =>This Inner Loop Header: Depth=1
	buffer_load_dword v7, v3, s[12:15], 0 offen
	buffer_load_dword v6, v3, s[16:19], 0 offen
	;; [unrolled: 1-line block ×4, first 2 shown]
	v_lshl_add_u64 v[0:1], v[0:1], 0, s[22:23]
	v_add_u32_e32 v3, s27, v3
	s_waitcnt vmcnt(0)
	v_pk_add_f32 v[6:7], v[6:7], v[8:9]
	s_nop 0
	v_mul_f32_e32 v5, 0xbfb8aa3b, v7
	v_fma_f32 v8, v7, s28, -v5
	v_rndne_f32_e32 v9, v5
	v_fmac_f32_e32 v8, 0xb2a5705f, v7
	v_sub_f32_e32 v5, v5, v9
	v_add_f32_e32 v5, v5, v8
	v_cvt_i32_f32_e32 v9, v9
	v_exp_f32_e32 v5, v5
	v_cmp_nlt_f32_e32 vcc, s29, v7
	v_ldexp_f32 v5, v5, v9
	s_nop 0
	v_cndmask_b32_e32 v5, 0, v5, vcc
	v_cmp_ngt_f32_e32 vcc, s30, v7
	s_nop 1
	v_cndmask_b32_e32 v5, v4, v5, vcc
	v_add_f32_e32 v5, 1.0, v5
	v_rcp_f32_e32 v5, v5
	v_cmp_le_i64_e32 vcc, s[20:21], v[0:1]
	s_or_b64 s[24:25], vcc, s[24:25]
	v_mul_f32_e32 v5, v7, v5
	v_fma_mixlo_f16 v5, v6, v5, 0
	buffer_store_short v5, v2, s[8:11], 0 offen
	v_add_u32_e32 v2, s26, v2
	s_andn2_b64 exec, exec, s[24:25]
	s_cbranch_execnz .LBB118_8
.LBB118_9:
	s_endpgm
	.section	.rodata,"a",@progbits
	.p2align	6, 0x0
	.amdhsa_kernel _ZN5aiter23act_and_mul_bias_kernelIfDF16_afTnPFfRKT2_EXadL_ZNS_11silu_kernelIfEEfRKT_EELi1EEEvPT0_PS8_PKT1_PS2_il
		.amdhsa_group_segment_fixed_size 0
		.amdhsa_private_segment_fixed_size 0
		.amdhsa_kernarg_size 304
		.amdhsa_user_sgpr_count 2
		.amdhsa_user_sgpr_dispatch_ptr 0
		.amdhsa_user_sgpr_queue_ptr 0
		.amdhsa_user_sgpr_kernarg_segment_ptr 1
		.amdhsa_user_sgpr_dispatch_id 0
		.amdhsa_user_sgpr_kernarg_preload_length 0
		.amdhsa_user_sgpr_kernarg_preload_offset 0
		.amdhsa_user_sgpr_private_segment_size 0
		.amdhsa_uses_dynamic_stack 0
		.amdhsa_enable_private_segment 0
		.amdhsa_system_sgpr_workgroup_id_x 1
		.amdhsa_system_sgpr_workgroup_id_y 0
		.amdhsa_system_sgpr_workgroup_id_z 0
		.amdhsa_system_sgpr_workgroup_info 0
		.amdhsa_system_vgpr_workitem_id 0
		.amdhsa_next_free_vgpr 10
		.amdhsa_next_free_sgpr 31
		.amdhsa_accum_offset 12
		.amdhsa_reserve_vcc 1
		.amdhsa_float_round_mode_32 0
		.amdhsa_float_round_mode_16_64 0
		.amdhsa_float_denorm_mode_32 3
		.amdhsa_float_denorm_mode_16_64 3
		.amdhsa_dx10_clamp 1
		.amdhsa_ieee_mode 1
		.amdhsa_fp16_overflow 0
		.amdhsa_tg_split 0
		.amdhsa_exception_fp_ieee_invalid_op 0
		.amdhsa_exception_fp_denorm_src 0
		.amdhsa_exception_fp_ieee_div_zero 0
		.amdhsa_exception_fp_ieee_overflow 0
		.amdhsa_exception_fp_ieee_underflow 0
		.amdhsa_exception_fp_ieee_inexact 0
		.amdhsa_exception_int_div_zero 0
	.end_amdhsa_kernel
	.section	.text._ZN5aiter23act_and_mul_bias_kernelIfDF16_afTnPFfRKT2_EXadL_ZNS_11silu_kernelIfEEfRKT_EELi1EEEvPT0_PS8_PKT1_PS2_il,"axG",@progbits,_ZN5aiter23act_and_mul_bias_kernelIfDF16_afTnPFfRKT2_EXadL_ZNS_11silu_kernelIfEEfRKT_EELi1EEEvPT0_PS8_PKT1_PS2_il,comdat
.Lfunc_end118:
	.size	_ZN5aiter23act_and_mul_bias_kernelIfDF16_afTnPFfRKT2_EXadL_ZNS_11silu_kernelIfEEfRKT_EELi1EEEvPT0_PS8_PKT1_PS2_il, .Lfunc_end118-_ZN5aiter23act_and_mul_bias_kernelIfDF16_afTnPFfRKT2_EXadL_ZNS_11silu_kernelIfEEfRKT_EELi1EEEvPT0_PS8_PKT1_PS2_il
                                        ; -- End function
	.section	.AMDGPU.csdata,"",@progbits
; Kernel info:
; codeLenInByte = 736
; NumSgprs: 37
; NumVgprs: 10
; NumAgprs: 0
; TotalNumVgprs: 10
; ScratchSize: 0
; MemoryBound: 0
; FloatMode: 240
; IeeeMode: 1
; LDSByteSize: 0 bytes/workgroup (compile time only)
; SGPRBlocks: 4
; VGPRBlocks: 1
; NumSGPRsForWavesPerEU: 37
; NumVGPRsForWavesPerEU: 10
; AccumOffset: 12
; Occupancy: 8
; WaveLimiterHint : 0
; COMPUTE_PGM_RSRC2:SCRATCH_EN: 0
; COMPUTE_PGM_RSRC2:USER_SGPR: 2
; COMPUTE_PGM_RSRC2:TRAP_HANDLER: 0
; COMPUTE_PGM_RSRC2:TGID_X_EN: 1
; COMPUTE_PGM_RSRC2:TGID_Y_EN: 0
; COMPUTE_PGM_RSRC2:TGID_Z_EN: 0
; COMPUTE_PGM_RSRC2:TIDIG_COMP_CNT: 0
; COMPUTE_PGM_RSRC3_GFX90A:ACCUM_OFFSET: 2
; COMPUTE_PGM_RSRC3_GFX90A:TG_SPLIT: 0
	.section	.text._ZN5aiter23act_and_mul_bias_kernelIffafTnPFfRKT2_EXadL_ZNS_11silu_kernelIfEEfRKT_EELi16EEEvPT0_PS8_PKT1_PS2_il,"axG",@progbits,_ZN5aiter23act_and_mul_bias_kernelIffafTnPFfRKT2_EXadL_ZNS_11silu_kernelIfEEfRKT_EELi16EEEvPT0_PS8_PKT1_PS2_il,comdat
	.protected	_ZN5aiter23act_and_mul_bias_kernelIffafTnPFfRKT2_EXadL_ZNS_11silu_kernelIfEEfRKT_EELi16EEEvPT0_PS8_PKT1_PS2_il ; -- Begin function _ZN5aiter23act_and_mul_bias_kernelIffafTnPFfRKT2_EXadL_ZNS_11silu_kernelIfEEfRKT_EELi16EEEvPT0_PS8_PKT1_PS2_il
	.globl	_ZN5aiter23act_and_mul_bias_kernelIffafTnPFfRKT2_EXadL_ZNS_11silu_kernelIfEEfRKT_EELi16EEEvPT0_PS8_PKT1_PS2_il
	.p2align	8
	.type	_ZN5aiter23act_and_mul_bias_kernelIffafTnPFfRKT2_EXadL_ZNS_11silu_kernelIfEEfRKT_EELi16EEEvPT0_PS8_PKT1_PS2_il,@function
_ZN5aiter23act_and_mul_bias_kernelIffafTnPFfRKT2_EXadL_ZNS_11silu_kernelIfEEfRKT_EELi16EEEvPT0_PS8_PKT1_PS2_il: ; @_ZN5aiter23act_and_mul_bias_kernelIffafTnPFfRKT2_EXadL_ZNS_11silu_kernelIfEEfRKT_EELi16EEEvPT0_PS8_PKT1_PS2_il
; %bb.0:
	s_load_dwordx2 s[4:5], s[0:1], 0x10
	s_load_dword s30, s[0:1], 0x20
	s_load_dwordx2 s[8:9], s[0:1], 0x28
	v_mov_b32_e32 v1, s2
	s_load_dwordx2 s[10:11], s[0:1], 0x0
	s_waitcnt lgkmcnt(0)
	global_load_ubyte v1, v1, s[4:5]
	s_ashr_i32 s31, s30, 31
	s_mul_hi_u32 s3, s30, s2
	s_mul_i32 s4, s31, s2
	s_add_i32 s13, s3, s4
	s_mov_b32 s5, 0
	s_mul_i32 s12, s30, s2
	s_lshl_b32 s38, s30, 2
	v_mov_b64_e32 v[2:3], s[8:9]
	s_lshl_b64 s[8:9], s[12:13], 2
	s_mov_b64 s[6:7], -1
	v_lshlrev_b32_e32 v56, 4, v0
	s_waitcnt vmcnt(0)
	v_readfirstlane_b32 s3, v1
	s_nop 1
	v_mov_b32_e32 v4, s3
	s_sext_i32_i8 s3, s3
	v_readfirstlane_b32 s4, v4
	s_bfe_i64 s[4:5], s[4:5], 0x80000
	s_add_u32 s36, s10, s8
	v_cmp_lt_i64_e32 vcc, s[4:5], v[2:3]
	s_addc_u32 s5, s11, s9
	s_and_b32 s37, s5, 0xffff
	s_cmp_gt_i32 s3, -1
	s_cselect_b64 s[8:9], -1, 0
	s_and_b64 s[8:9], s[8:9], vcc
	s_and_b64 vcc, exec, s[8:9]
	s_cbranch_vccnz .LBB119_5
; %bb.1:
	v_cmp_gt_i32_e32 vcc, s30, v56
	s_and_saveexec_b64 s[6:7], vcc
	s_cbranch_execz .LBB119_4
; %bb.2:
	s_load_dword s3, s[0:1], 0x3c
	s_mov_b32 s9, 0
	s_mov_b32 s12, s9
	;; [unrolled: 1-line block ×3, first 2 shown]
	v_mov_b32_e32 v57, 0
	v_lshlrev_b32_e32 v6, 6, v0
	s_waitcnt lgkmcnt(0)
	s_and_b32 s3, s3, 0xffff
	s_mov_b32 s14, s9
	s_mov_b32 s15, s9
	v_mov_b64_e32 v[0:1], s[12:13]
	s_lshl_b32 s8, s3, 4
	s_lshl_b32 s3, s3, 6
	s_mov_b64 s[10:11], 0
	s_mov_b32 s39, 0x20000
	v_mov_b64_e32 v[2:3], s[14:15]
	v_mov_b64_e32 v[4:5], v[56:57]
.LBB119_3:                              ; =>This Inner Loop Header: Depth=1
	v_lshl_add_u64 v[4:5], s[8:9], 0, v[4:5]
	v_cmp_le_i64_e32 vcc, s[30:31], v[4:5]
	buffer_store_dwordx4 v[0:3], v6, s[36:39], 0 offen
	buffer_store_dwordx4 v[0:3], v6, s[36:39], 16 offen
	buffer_store_dwordx4 v[0:3], v6, s[36:39], 32 offen
	buffer_store_dwordx4 v[0:3], v6, s[36:39], 48 offen
	s_or_b64 s[10:11], vcc, s[10:11]
	v_add_u32_e32 v6, s3, v6
	s_andn2_b64 exec, exec, s[10:11]
	s_cbranch_execnz .LBB119_3
.LBB119_4:
	s_or_b64 exec, exec, s[6:7]
	s_mov_b64 s[6:7], 0
.LBB119_5:
	s_andn2_b64 vcc, exec, s[6:7]
	s_cbranch_vccnz .LBB119_9
; %bb.6:
	v_cmp_gt_i32_e32 vcc, s30, v56
	s_and_saveexec_b64 s[6:7], vcc
	s_cbranch_execz .LBB119_9
; %bb.7:
	s_load_dwordx2 s[6:7], s[0:1], 0x8
	s_load_dwordx2 s[8:9], s[0:1], 0x18
	s_mul_hi_i32 s5, s30, s4
	s_mul_i32 s4, s30, s4
	s_lshl_b64 s[4:5], s[4:5], 3
	s_mov_b32 s39, 0x20000
	s_waitcnt lgkmcnt(0)
	s_add_u32 s40, s8, s4
	s_addc_u32 s3, s9, s5
	s_lshl_b64 s[4:5], s[30:31], 2
	s_add_u32 s44, s40, s4
	s_addc_u32 s8, s3, s5
	s_and_b32 s41, s3, 0xffff
	s_and_b32 s45, s8, 0xffff
	s_mul_i32 s3, s2, s31
	s_mul_hi_u32 s8, s2, s30
	s_add_i32 s3, s8, s3
	s_mul_i32 s2, s2, s30
	s_lshl_b64 s[2:3], s[2:3], 3
	s_add_u32 s48, s6, s2
	s_addc_u32 s2, s7, s3
	s_add_u32 s52, s48, s4
	s_addc_u32 s3, s2, s5
	s_and_b32 s49, s2, 0xffff
	s_and_b32 s53, s3, 0xffff
	s_add_u32 s56, s0, 48
	s_mov_b32 s35, 0
	v_mov_b32_e32 v57, 0
	s_addc_u32 s57, s1, 0
	s_mov_b64 s[58:59], 0
	s_mov_b32 s50, s38
	s_mov_b32 s51, s39
	;; [unrolled: 1-line block ×5, first 2 shown]
	v_mov_b32_e32 v58, 0x7f800000
	s_mov_b32 s54, s38
	s_mov_b32 s55, s39
	;; [unrolled: 1-line block ×6, first 2 shown]
.LBB119_8:                              ; =>This Inner Loop Header: Depth=1
	v_lshlrev_b32_e32 v59, 2, v56
	buffer_load_dwordx4 v[48:51], v59, s[44:47], 0 offen
	buffer_load_dwordx4 v[52:55], v59, s[52:55], 0 offen
	;; [unrolled: 1-line block ×15, first 2 shown]
	s_waitcnt vmcnt(13)
	v_pk_add_f32 v[50:51], v[54:55], v[50:51]
	v_pk_add_f32 v[48:49], v[52:53], v[48:49]
	buffer_load_dwordx4 v[52:55], v59, s[40:43], 48 offen
	s_waitcnt vmcnt(11)
	v_pk_add_f32 v[10:11], v[10:11], v[22:23]
	s_waitcnt vmcnt(10)
	v_pk_add_f32 v[26:27], v[26:27], v[14:15]
	v_pk_add_f32 v[24:25], v[24:25], v[12:13]
	s_waitcnt vmcnt(8)
	v_pk_add_f32 v[18:19], v[18:19], v[30:31]
	v_pk_add_f32 v[16:17], v[16:17], v[28:29]
	;; [unrolled: 1-line block ×3, first 2 shown]
	v_mul_f32_e32 v28, 0xbfb8aa3b, v24
	v_mul_f32_e32 v29, 0xbfb8aa3b, v25
	;; [unrolled: 1-line block ×3, first 2 shown]
	s_waitcnt vmcnt(2)
	v_pk_add_f32 v[20:21], v[34:35], v[62:63]
	v_pk_add_f32 v[22:23], v[32:33], v[60:61]
	v_mul_f32_e32 v31, 0xbfb8aa3b, v27
	v_mul_f32_e32 v32, 0xbfb8aa3b, v16
	;; [unrolled: 1-line block ×5, first 2 shown]
	s_waitcnt vmcnt(1)
	v_pk_add_f32 v[6:7], v[6:7], v[46:47]
	v_pk_add_f32 v[4:5], v[4:5], v[44:45]
	v_fma_f32 v44, v24, s33, -v28
	v_rndne_f32_e32 v45, v28
	v_fma_f32 v46, v25, s33, -v29
	v_rndne_f32_e32 v47, v29
	;; [unrolled: 2-line block ×6, first 2 shown]
	v_pk_add_f32 v[12:13], v[42:43], v[38:39]
	v_pk_add_f32 v[14:15], v[40:41], v[36:37]
	v_mul_f32_e32 v36, 0xbfb8aa3b, v22
	v_mul_f32_e32 v37, 0xbfb8aa3b, v23
	;; [unrolled: 1-line block ×4, first 2 shown]
	v_fmac_f32_e32 v44, 0xb2a5705f, v24
	v_sub_f32_e32 v28, v28, v45
	v_fmac_f32_e32 v46, 0xb2a5705f, v25
	v_sub_f32_e32 v29, v29, v47
	v_fmac_f32_e32 v60, 0xb2a5705f, v16
	v_sub_f32_e32 v32, v32, v61
	v_fmac_f32_e32 v62, 0xb2a5705f, v17
	v_sub_f32_e32 v33, v33, v63
	v_fmac_f32_e32 v64, 0xb2a5705f, v18
	v_sub_f32_e32 v34, v34, v65
	v_fmac_f32_e32 v66, 0xb2a5705f, v19
	v_sub_f32_e32 v35, v35, v67
	v_add_f32_e32 v28, v28, v44
	v_fma_f32 v44, v22, s33, -v36
	v_add_f32_e32 v29, v29, v46
	v_rndne_f32_e32 v46, v36
	v_add_f32_e32 v32, v32, v60
	v_fma_f32 v60, v20, s33, -v38
	v_add_f32_e32 v33, v33, v62
	v_rndne_f32_e32 v62, v38
	;; [unrolled: 4-line block ×3, first 2 shown]
	v_fmac_f32_e32 v44, 0xb2a5705f, v22
	v_sub_f32_e32 v36, v36, v46
	v_fmac_f32_e32 v60, 0xb2a5705f, v20
	v_sub_f32_e32 v38, v38, v62
	;; [unrolled: 2-line block ×3, first 2 shown]
	v_add_f32_e32 v36, v36, v44
	v_add_f32_e32 v38, v38, v60
	;; [unrolled: 1-line block ×3, first 2 shown]
	v_exp_f32_e32 v32, v32
	v_exp_f32_e32 v33, v33
	v_cvt_i32_f32_e32 v46, v46
	v_cvt_i32_f32_e32 v62, v62
	;; [unrolled: 1-line block ×3, first 2 shown]
	v_exp_f32_e32 v28, v28
	v_exp_f32_e32 v29, v29
	;; [unrolled: 1-line block ×5, first 2 shown]
	s_waitcnt vmcnt(0)
	v_pk_add_f32 v[2:3], v[2:3], v[54:55]
	v_pk_add_f32 v[0:1], v[0:1], v[52:53]
	v_fma_f32 v52, v26, s33, -v30
	v_rndne_f32_e32 v53, v30
	v_fma_f32 v54, v27, s33, -v31
	v_rndne_f32_e32 v55, v31
	v_fmac_f32_e32 v52, 0xb2a5705f, v26
	v_sub_f32_e32 v30, v30, v53
	v_fmac_f32_e32 v54, 0xb2a5705f, v27
	v_sub_f32_e32 v31, v31, v55
	v_add_f32_e32 v30, v30, v52
	v_fma_f32 v52, v23, s33, -v37
	v_add_f32_e32 v31, v31, v54
	v_rndne_f32_e32 v54, v37
	v_mul_f32_e32 v40, 0xbfb8aa3b, v0
	v_mul_f32_e32 v41, 0xbfb8aa3b, v1
	v_fmac_f32_e32 v52, 0xb2a5705f, v23
	v_sub_f32_e32 v37, v37, v54
	v_fma_f32 v44, v0, s33, -v40
	v_add_f32_e32 v37, v37, v52
	v_rndne_f32_e32 v52, v40
	v_fma_f32 v60, v1, s33, -v41
	v_rndne_f32_e32 v64, v41
	v_mul_f32_e32 v42, 0xbfb8aa3b, v2
	v_fmac_f32_e32 v44, 0xb2a5705f, v0
	v_sub_f32_e32 v40, v40, v52
	v_fmac_f32_e32 v60, 0xb2a5705f, v1
	v_sub_f32_e32 v41, v41, v64
	v_add_f32_e32 v40, v40, v44
	v_fma_f32 v44, v2, s33, -v42
	v_add_f32_e32 v41, v41, v60
	v_rndne_f32_e32 v60, v42
	v_mul_f32_e32 v43, 0xbfb8aa3b, v3
	v_fmac_f32_e32 v44, 0xb2a5705f, v2
	v_sub_f32_e32 v42, v42, v60
	v_add_f32_e32 v42, v42, v44
	v_fma_f32 v44, v3, s33, -v43
	v_rndne_f32_e32 v68, v43
	v_fmac_f32_e32 v44, 0xb2a5705f, v3
	v_sub_f32_e32 v43, v43, v68
	v_add_f32_e32 v43, v43, v44
	v_cvt_i32_f32_e32 v44, v45
	v_cvt_i32_f32_e32 v45, v47
	;; [unrolled: 1-line block ×13, first 2 shown]
	v_exp_f32_e32 v30, v30
	v_exp_f32_e32 v31, v31
	;; [unrolled: 1-line block ×9, first 2 shown]
	v_ldexp_f32 v32, v32, v55
	v_ldexp_f32 v33, v33, v61
	v_cmp_nlt_f32_e64 s[2:3], s60, v16
	v_cmp_nlt_f32_e64 s[4:5], s60, v17
	v_ldexp_f32 v28, v28, v44
	v_ldexp_f32 v29, v29, v45
	;; [unrolled: 1-line block ×13, first 2 shown]
	v_cmp_nlt_f32_e32 vcc, s60, v26
	v_cmp_nlt_f32_e64 s[0:1], s60, v27
	v_cmp_nlt_f32_e64 s[6:7], s60, v18
	;; [unrolled: 1-line block ×10, first 2 shown]
	v_ldexp_f32 v43, v43, v67
	v_cmp_nlt_f32_e64 s[24:25], s60, v3
	v_cmp_nlt_f32_e64 s[26:27], s60, v24
	;; [unrolled: 1-line block ×3, first 2 shown]
	v_cndmask_b32_e64 v32, 0, v32, s[2:3]
	v_cmp_ngt_f32_e64 s[2:3], s61, v16
	v_cndmask_b32_e64 v33, 0, v33, s[4:5]
	v_cmp_ngt_f32_e64 s[4:5], s61, v17
	v_cndmask_b32_e64 v29, 0, v29, s[28:29]
	v_cmp_ngt_f32_e64 s[28:29], s61, v25
	v_cndmask_b32_e32 v30, 0, v30, vcc
	v_cmp_ngt_f32_e32 vcc, s61, v26
	v_cndmask_b32_e64 v31, 0, v31, s[0:1]
	v_cmp_ngt_f32_e64 s[0:1], s61, v27
	v_cndmask_b32_e64 v28, 0, v28, s[26:27]
	v_cndmask_b32_e64 v34, 0, v34, s[6:7]
	v_cmp_ngt_f32_e64 s[6:7], s61, v18
	v_cndmask_b32_e64 v35, 0, v35, s[8:9]
	v_cmp_ngt_f32_e64 s[8:9], s61, v19
	;; [unrolled: 2-line block ×10, first 2 shown]
	v_cmp_ngt_f32_e64 s[26:27], s61, v24
	v_cndmask_b32_e64 v32, v58, v32, s[2:3]
	v_cndmask_b32_e64 v33, v58, v33, s[4:5]
	;; [unrolled: 1-line block ×4, first 2 shown]
	v_cndmask_b32_e32 v30, v58, v30, vcc
	v_cndmask_b32_e64 v31, v58, v31, s[0:1]
	v_cndmask_b32_e64 v34, v58, v34, s[6:7]
	;; [unrolled: 1-line block ×11, first 2 shown]
	v_add_f32_e32 v32, 1.0, v32
	v_add_f32_e32 v33, 1.0, v33
	v_add_f32_e32 v28, 1.0, v28
	v_add_f32_e32 v29, 1.0, v29
	v_add_f32_e32 v30, 1.0, v30
	v_add_f32_e32 v31, 1.0, v31
	v_add_f32_e32 v34, 1.0, v34
	v_add_f32_e32 v35, 1.0, v35
	v_add_f32_e32 v36, 1.0, v36
	v_add_f32_e32 v37, 1.0, v37
	v_add_f32_e32 v38, 1.0, v38
	v_add_f32_e32 v39, 1.0, v39
	v_add_f32_e32 v40, 1.0, v40
	v_add_f32_e32 v41, 1.0, v41
	v_add_f32_e32 v42, 1.0, v42
	v_add_f32_e32 v43, 1.0, v43
	v_rcp_f32_e32 v32, v32
	v_rcp_f32_e32 v33, v33
	;; [unrolled: 1-line block ×16, first 2 shown]
	v_pk_mul_f32 v[16:17], v[16:17], v[32:33]
	v_pk_mul_f32 v[24:25], v[24:25], v[28:29]
	;; [unrolled: 1-line block ×8, first 2 shown]
	;;#ASMSTART
	v_pk_mul_f32 v[0:1], v[24:25], v[48:49]
	;;#ASMEND
	;;#ASMSTART
	v_pk_mul_f32 v[2:3], v[26:27], v[50:51]
	;;#ASMEND
	;; [unrolled: 3-line block ×7, first 2 shown]
	s_nop 0
	;;#ASMSTART
	v_pk_mul_f32 v[6:7], v[30:31], v[6:7]
	;;#ASMEND
	s_load_dword s0, s[56:57], 0xc
	buffer_store_dwordx4 v[0:3], v59, s[36:39], 0 offen
	buffer_store_dwordx4 v[8:11], v59, s[36:39], 16 offen
	;; [unrolled: 1-line block ×4, first 2 shown]
	s_waitcnt lgkmcnt(0)
	s_and_b32 s0, s0, 0xffff
	s_lshl_b32 s34, s0, 4
	v_lshl_add_u64 v[56:57], s[34:35], 0, v[56:57]
	v_cmp_le_i64_e32 vcc, s[30:31], v[56:57]
	s_or_b64 s[58:59], vcc, s[58:59]
	s_andn2_b64 exec, exec, s[58:59]
	s_cbranch_execnz .LBB119_8
.LBB119_9:
	s_endpgm
	.section	.rodata,"a",@progbits
	.p2align	6, 0x0
	.amdhsa_kernel _ZN5aiter23act_and_mul_bias_kernelIffafTnPFfRKT2_EXadL_ZNS_11silu_kernelIfEEfRKT_EELi16EEEvPT0_PS8_PKT1_PS2_il
		.amdhsa_group_segment_fixed_size 0
		.amdhsa_private_segment_fixed_size 0
		.amdhsa_kernarg_size 304
		.amdhsa_user_sgpr_count 2
		.amdhsa_user_sgpr_dispatch_ptr 0
		.amdhsa_user_sgpr_queue_ptr 0
		.amdhsa_user_sgpr_kernarg_segment_ptr 1
		.amdhsa_user_sgpr_dispatch_id 0
		.amdhsa_user_sgpr_kernarg_preload_length 0
		.amdhsa_user_sgpr_kernarg_preload_offset 0
		.amdhsa_user_sgpr_private_segment_size 0
		.amdhsa_uses_dynamic_stack 0
		.amdhsa_enable_private_segment 0
		.amdhsa_system_sgpr_workgroup_id_x 1
		.amdhsa_system_sgpr_workgroup_id_y 0
		.amdhsa_system_sgpr_workgroup_id_z 0
		.amdhsa_system_sgpr_workgroup_info 0
		.amdhsa_system_vgpr_workitem_id 0
		.amdhsa_next_free_vgpr 69
		.amdhsa_next_free_sgpr 62
		.amdhsa_accum_offset 72
		.amdhsa_reserve_vcc 1
		.amdhsa_float_round_mode_32 0
		.amdhsa_float_round_mode_16_64 0
		.amdhsa_float_denorm_mode_32 3
		.amdhsa_float_denorm_mode_16_64 3
		.amdhsa_dx10_clamp 1
		.amdhsa_ieee_mode 1
		.amdhsa_fp16_overflow 0
		.amdhsa_tg_split 0
		.amdhsa_exception_fp_ieee_invalid_op 0
		.amdhsa_exception_fp_denorm_src 0
		.amdhsa_exception_fp_ieee_div_zero 0
		.amdhsa_exception_fp_ieee_overflow 0
		.amdhsa_exception_fp_ieee_underflow 0
		.amdhsa_exception_fp_ieee_inexact 0
		.amdhsa_exception_int_div_zero 0
	.end_amdhsa_kernel
	.section	.text._ZN5aiter23act_and_mul_bias_kernelIffafTnPFfRKT2_EXadL_ZNS_11silu_kernelIfEEfRKT_EELi16EEEvPT0_PS8_PKT1_PS2_il,"axG",@progbits,_ZN5aiter23act_and_mul_bias_kernelIffafTnPFfRKT2_EXadL_ZNS_11silu_kernelIfEEfRKT_EELi16EEEvPT0_PS8_PKT1_PS2_il,comdat
.Lfunc_end119:
	.size	_ZN5aiter23act_and_mul_bias_kernelIffafTnPFfRKT2_EXadL_ZNS_11silu_kernelIfEEfRKT_EELi16EEEvPT0_PS8_PKT1_PS2_il, .Lfunc_end119-_ZN5aiter23act_and_mul_bias_kernelIffafTnPFfRKT2_EXadL_ZNS_11silu_kernelIfEEfRKT_EELi16EEEvPT0_PS8_PKT1_PS2_il
                                        ; -- End function
	.section	.AMDGPU.csdata,"",@progbits
; Kernel info:
; codeLenInByte = 2516
; NumSgprs: 68
; NumVgprs: 69
; NumAgprs: 0
; TotalNumVgprs: 69
; ScratchSize: 0
; MemoryBound: 0
; FloatMode: 240
; IeeeMode: 1
; LDSByteSize: 0 bytes/workgroup (compile time only)
; SGPRBlocks: 8
; VGPRBlocks: 8
; NumSGPRsForWavesPerEU: 68
; NumVGPRsForWavesPerEU: 69
; AccumOffset: 72
; Occupancy: 7
; WaveLimiterHint : 0
; COMPUTE_PGM_RSRC2:SCRATCH_EN: 0
; COMPUTE_PGM_RSRC2:USER_SGPR: 2
; COMPUTE_PGM_RSRC2:TRAP_HANDLER: 0
; COMPUTE_PGM_RSRC2:TGID_X_EN: 1
; COMPUTE_PGM_RSRC2:TGID_Y_EN: 0
; COMPUTE_PGM_RSRC2:TGID_Z_EN: 0
; COMPUTE_PGM_RSRC2:TIDIG_COMP_CNT: 0
; COMPUTE_PGM_RSRC3_GFX90A:ACCUM_OFFSET: 17
; COMPUTE_PGM_RSRC3_GFX90A:TG_SPLIT: 0
	.section	.text._ZN5aiter23act_and_mul_bias_kernelIffafTnPFfRKT2_EXadL_ZNS_11silu_kernelIfEEfRKT_EELi8EEEvPT0_PS8_PKT1_PS2_il,"axG",@progbits,_ZN5aiter23act_and_mul_bias_kernelIffafTnPFfRKT2_EXadL_ZNS_11silu_kernelIfEEfRKT_EELi8EEEvPT0_PS8_PKT1_PS2_il,comdat
	.protected	_ZN5aiter23act_and_mul_bias_kernelIffafTnPFfRKT2_EXadL_ZNS_11silu_kernelIfEEfRKT_EELi8EEEvPT0_PS8_PKT1_PS2_il ; -- Begin function _ZN5aiter23act_and_mul_bias_kernelIffafTnPFfRKT2_EXadL_ZNS_11silu_kernelIfEEfRKT_EELi8EEEvPT0_PS8_PKT1_PS2_il
	.globl	_ZN5aiter23act_and_mul_bias_kernelIffafTnPFfRKT2_EXadL_ZNS_11silu_kernelIfEEfRKT_EELi8EEEvPT0_PS8_PKT1_PS2_il
	.p2align	8
	.type	_ZN5aiter23act_and_mul_bias_kernelIffafTnPFfRKT2_EXadL_ZNS_11silu_kernelIfEEfRKT_EELi8EEEvPT0_PS8_PKT1_PS2_il,@function
_ZN5aiter23act_and_mul_bias_kernelIffafTnPFfRKT2_EXadL_ZNS_11silu_kernelIfEEfRKT_EELi8EEEvPT0_PS8_PKT1_PS2_il: ; @_ZN5aiter23act_and_mul_bias_kernelIffafTnPFfRKT2_EXadL_ZNS_11silu_kernelIfEEfRKT_EELi8EEEvPT0_PS8_PKT1_PS2_il
; %bb.0:
	s_load_dwordx2 s[4:5], s[0:1], 0x10
	s_load_dword s14, s[0:1], 0x20
	s_load_dwordx2 s[8:9], s[0:1], 0x28
	v_mov_b32_e32 v1, s2
	s_load_dwordx2 s[10:11], s[0:1], 0x0
	s_waitcnt lgkmcnt(0)
	global_load_ubyte v1, v1, s[4:5]
	s_ashr_i32 s15, s14, 31
	s_mul_hi_u32 s3, s14, s2
	s_mul_i32 s4, s15, s2
	s_add_i32 s13, s3, s4
	s_mov_b32 s5, 0
	s_mul_i32 s12, s14, s2
	s_lshl_b32 s18, s14, 2
	v_mov_b64_e32 v[2:3], s[8:9]
	s_lshl_b64 s[8:9], s[12:13], 2
	s_mov_b64 s[6:7], -1
	s_waitcnt vmcnt(0)
	v_readfirstlane_b32 s3, v1
	s_nop 1
	v_mov_b32_e32 v4, s3
	s_sext_i32_i8 s3, s3
	v_readfirstlane_b32 s4, v4
	s_bfe_i64 s[4:5], s[4:5], 0x80000
	s_add_u32 s16, s10, s8
	v_cmp_lt_i64_e32 vcc, s[4:5], v[2:3]
	s_addc_u32 s5, s11, s9
	s_and_b32 s17, s5, 0xffff
	s_cmp_gt_i32 s3, -1
	s_cselect_b64 s[8:9], -1, 0
	s_and_b64 s[8:9], s[8:9], vcc
	s_and_b64 vcc, exec, s[8:9]
	v_lshlrev_b32_e32 v4, 3, v0
	s_cbranch_vccnz .LBB120_5
; %bb.1:
	v_cmp_gt_i32_e32 vcc, s14, v4
	s_and_saveexec_b64 s[6:7], vcc
	s_cbranch_execz .LBB120_4
; %bb.2:
	s_load_dword s3, s[0:1], 0x3c
	s_mov_b32 s9, 0
	s_mov_b32 s20, s9
	s_mov_b32 s21, s9
	v_mov_b32_e32 v5, 0
	v_lshlrev_b32_e32 v8, 5, v0
	s_waitcnt lgkmcnt(0)
	s_and_b32 s3, s3, 0xffff
	s_mov_b32 s22, s9
	s_mov_b32 s23, s9
	v_mov_b64_e32 v[0:1], s[20:21]
	s_lshl_b32 s8, s3, 3
	s_lshl_b32 s3, s3, 5
	s_mov_b64 s[10:11], 0
	s_mov_b32 s19, 0x20000
	v_mov_b64_e32 v[2:3], s[22:23]
	v_mov_b64_e32 v[6:7], v[4:5]
.LBB120_3:                              ; =>This Inner Loop Header: Depth=1
	v_lshl_add_u64 v[6:7], s[8:9], 0, v[6:7]
	v_cmp_le_i64_e32 vcc, s[14:15], v[6:7]
	buffer_store_dwordx4 v[0:3], v8, s[16:19], 0 offen
	buffer_store_dwordx4 v[0:3], v8, s[16:19], 16 offen
	s_or_b64 s[10:11], vcc, s[10:11]
	v_add_u32_e32 v8, s3, v8
	s_andn2_b64 exec, exec, s[10:11]
	s_cbranch_execnz .LBB120_3
.LBB120_4:
	s_or_b64 exec, exec, s[6:7]
	s_mov_b64 s[6:7], 0
.LBB120_5:
	s_andn2_b64 vcc, exec, s[6:7]
	s_cbranch_vccnz .LBB120_9
; %bb.6:
	v_cmp_gt_i32_e32 vcc, s14, v4
	s_and_saveexec_b64 s[6:7], vcc
	s_cbranch_execz .LBB120_9
; %bb.7:
	s_load_dwordx2 s[6:7], s[0:1], 0x8
	s_load_dwordx2 s[8:9], s[0:1], 0x18
	s_mul_hi_i32 s5, s14, s4
	s_mul_i32 s4, s14, s4
	s_lshl_b64 s[4:5], s[4:5], 3
	s_mov_b32 s19, 0x20000
	s_waitcnt lgkmcnt(0)
	s_add_u32 s20, s8, s4
	s_addc_u32 s3, s9, s5
	s_lshl_b64 s[4:5], s[14:15], 2
	s_add_u32 s24, s20, s4
	s_addc_u32 s8, s3, s5
	s_and_b32 s21, s3, 0xffff
	s_and_b32 s25, s8, 0xffff
	s_mul_i32 s3, s2, s15
	s_mul_hi_u32 s8, s2, s14
	s_add_i32 s3, s8, s3
	s_mul_i32 s2, s2, s14
	s_lshl_b64 s[2:3], s[2:3], 3
	s_add_u32 s28, s6, s2
	s_addc_u32 s2, s7, s3
	s_add_u32 s36, s28, s4
	s_addc_u32 s3, s2, s5
	s_and_b32 s29, s2, 0xffff
	s_and_b32 s37, s3, 0xffff
	s_add_u32 s40, s0, 48
	s_mov_b32 s35, 0
	v_mov_b32_e32 v5, 0
	s_addc_u32 s41, s1, 0
	s_mov_b64 s[42:43], 0
	s_mov_b32 s30, s18
	s_mov_b32 s31, s19
	;; [unrolled: 1-line block ×5, first 2 shown]
	v_mov_b32_e32 v18, 0x7f800000
	s_mov_b32 s38, s18
	s_mov_b32 s39, s19
	;; [unrolled: 1-line block ×6, first 2 shown]
.LBB120_8:                              ; =>This Inner Loop Header: Depth=1
	v_lshlrev_b32_e32 v19, 2, v4
	buffer_load_dwordx4 v[6:9], v19, s[24:27], 0 offen
	buffer_load_dwordx4 v[10:13], v19, s[36:39], 0 offen
	;; [unrolled: 1-line block ×8, first 2 shown]
	s_waitcnt vmcnt(6)
	v_pk_add_f32 v[0:1], v[12:13], v[8:9]
	v_pk_add_f32 v[2:3], v[10:11], v[6:7]
	s_waitcnt vmcnt(4)
	v_pk_add_f32 v[8:9], v[14:15], v[20:21]
	v_pk_add_f32 v[6:7], v[16:17], v[22:23]
	v_mul_f32_e32 v20, 0xbfb8aa3b, v8
	v_mul_f32_e32 v21, 0xbfb8aa3b, v9
	s_waitcnt vmcnt(0)
	v_pk_add_f32 v[14:15], v[34:35], v[38:39]
	v_pk_add_f32 v[16:17], v[32:33], v[36:37]
	;; [unrolled: 1-line block ×4, first 2 shown]
	v_mul_f32_e32 v22, 0xbfb8aa3b, v6
	v_mul_f32_e32 v23, 0xbfb8aa3b, v7
	;; [unrolled: 1-line block ×6, first 2 shown]
	v_fma_f32 v28, v8, s33, -v20
	v_rndne_f32_e32 v29, v20
	v_fma_f32 v30, v9, s33, -v21
	v_rndne_f32_e32 v31, v21
	;; [unrolled: 2-line block ×8, first 2 shown]
	v_fmac_f32_e32 v28, 0xb2a5705f, v8
	v_sub_f32_e32 v20, v20, v29
	v_fmac_f32_e32 v30, 0xb2a5705f, v9
	v_sub_f32_e32 v21, v21, v31
	;; [unrolled: 2-line block ×8, first 2 shown]
	v_add_f32_e32 v20, v20, v28
	v_add_f32_e32 v21, v21, v30
	v_cvt_i32_f32_e32 v29, v29
	v_cvt_i32_f32_e32 v31, v31
	v_add_f32_e32 v22, v22, v32
	v_add_f32_e32 v23, v23, v34
	;; [unrolled: 1-line block ×6, first 2 shown]
	v_exp_f32_e32 v20, v20
	v_exp_f32_e32 v21, v21
	v_cvt_i32_f32_e32 v33, v33
	v_cvt_i32_f32_e32 v35, v35
	;; [unrolled: 1-line block ×6, first 2 shown]
	v_exp_f32_e32 v22, v22
	v_exp_f32_e32 v23, v23
	;; [unrolled: 1-line block ×6, first 2 shown]
	v_ldexp_f32 v20, v20, v29
	v_ldexp_f32 v21, v21, v31
	v_cmp_nlt_f32_e32 vcc, s44, v9
	v_cmp_nlt_f32_e64 s[12:13], s44, v8
	v_ldexp_f32 v22, v22, v33
	v_cmp_nlt_f32_e64 s[0:1], s44, v6
	v_ldexp_f32 v23, v23, v35
	;; [unrolled: 2-line block ×6, first 2 shown]
	v_cmp_nlt_f32_e64 s[10:11], s44, v15
	v_cndmask_b32_e64 v20, 0, v20, s[12:13]
	v_cndmask_b32_e32 v21, 0, v21, vcc
	v_cmp_ngt_f32_e32 vcc, s45, v9
	v_cmp_ngt_f32_e64 s[12:13], s45, v8
	v_cndmask_b32_e64 v22, 0, v22, s[0:1]
	v_cmp_ngt_f32_e64 s[0:1], s45, v6
	v_cndmask_b32_e64 v23, 0, v23, s[2:3]
	;; [unrolled: 2-line block ×7, first 2 shown]
	v_cndmask_b32_e32 v21, v18, v21, vcc
	v_cndmask_b32_e64 v22, v18, v22, s[0:1]
	v_cndmask_b32_e64 v23, v18, v23, s[2:3]
	;; [unrolled: 1-line block ×6, first 2 shown]
	v_add_f32_e32 v20, 1.0, v20
	v_add_f32_e32 v21, 1.0, v21
	;; [unrolled: 1-line block ×8, first 2 shown]
	v_rcp_f32_e32 v20, v20
	v_rcp_f32_e32 v21, v21
	;; [unrolled: 1-line block ×8, first 2 shown]
	v_pk_mul_f32 v[8:9], v[8:9], v[20:21]
	v_pk_mul_f32 v[20:21], v[6:7], v[22:23]
	;; [unrolled: 1-line block ×4, first 2 shown]
	;;#ASMSTART
	v_pk_mul_f32 v[6:7], v[8:9], v[2:3]
	;;#ASMEND
	;;#ASMSTART
	v_pk_mul_f32 v[8:9], v[20:21], v[0:1]
	;;#ASMEND
	;; [unrolled: 3-line block ×3, first 2 shown]
	s_nop 0
	;;#ASMSTART
	v_pk_mul_f32 v[2:3], v[14:15], v[10:11]
	;;#ASMEND
	s_load_dword s0, s[40:41], 0xc
	buffer_store_dwordx4 v[6:9], v19, s[16:19], 0 offen
	buffer_store_dwordx4 v[0:3], v19, s[16:19], 16 offen
	s_waitcnt lgkmcnt(0)
	s_and_b32 s0, s0, 0xffff
	s_lshl_b32 s34, s0, 3
	v_lshl_add_u64 v[4:5], s[34:35], 0, v[4:5]
	v_cmp_le_i64_e32 vcc, s[14:15], v[4:5]
	s_or_b64 s[42:43], vcc, s[42:43]
	s_andn2_b64 exec, exec, s[42:43]
	s_cbranch_execnz .LBB120_8
.LBB120_9:
	s_endpgm
	.section	.rodata,"a",@progbits
	.p2align	6, 0x0
	.amdhsa_kernel _ZN5aiter23act_and_mul_bias_kernelIffafTnPFfRKT2_EXadL_ZNS_11silu_kernelIfEEfRKT_EELi8EEEvPT0_PS8_PKT1_PS2_il
		.amdhsa_group_segment_fixed_size 0
		.amdhsa_private_segment_fixed_size 0
		.amdhsa_kernarg_size 304
		.amdhsa_user_sgpr_count 2
		.amdhsa_user_sgpr_dispatch_ptr 0
		.amdhsa_user_sgpr_queue_ptr 0
		.amdhsa_user_sgpr_kernarg_segment_ptr 1
		.amdhsa_user_sgpr_dispatch_id 0
		.amdhsa_user_sgpr_kernarg_preload_length 0
		.amdhsa_user_sgpr_kernarg_preload_offset 0
		.amdhsa_user_sgpr_private_segment_size 0
		.amdhsa_uses_dynamic_stack 0
		.amdhsa_enable_private_segment 0
		.amdhsa_system_sgpr_workgroup_id_x 1
		.amdhsa_system_sgpr_workgroup_id_y 0
		.amdhsa_system_sgpr_workgroup_id_z 0
		.amdhsa_system_sgpr_workgroup_info 0
		.amdhsa_system_vgpr_workitem_id 0
		.amdhsa_next_free_vgpr 44
		.amdhsa_next_free_sgpr 46
		.amdhsa_accum_offset 44
		.amdhsa_reserve_vcc 1
		.amdhsa_float_round_mode_32 0
		.amdhsa_float_round_mode_16_64 0
		.amdhsa_float_denorm_mode_32 3
		.amdhsa_float_denorm_mode_16_64 3
		.amdhsa_dx10_clamp 1
		.amdhsa_ieee_mode 1
		.amdhsa_fp16_overflow 0
		.amdhsa_tg_split 0
		.amdhsa_exception_fp_ieee_invalid_op 0
		.amdhsa_exception_fp_denorm_src 0
		.amdhsa_exception_fp_ieee_div_zero 0
		.amdhsa_exception_fp_ieee_overflow 0
		.amdhsa_exception_fp_ieee_underflow 0
		.amdhsa_exception_fp_ieee_inexact 0
		.amdhsa_exception_int_div_zero 0
	.end_amdhsa_kernel
	.section	.text._ZN5aiter23act_and_mul_bias_kernelIffafTnPFfRKT2_EXadL_ZNS_11silu_kernelIfEEfRKT_EELi8EEEvPT0_PS8_PKT1_PS2_il,"axG",@progbits,_ZN5aiter23act_and_mul_bias_kernelIffafTnPFfRKT2_EXadL_ZNS_11silu_kernelIfEEfRKT_EELi8EEEvPT0_PS8_PKT1_PS2_il,comdat
.Lfunc_end120:
	.size	_ZN5aiter23act_and_mul_bias_kernelIffafTnPFfRKT2_EXadL_ZNS_11silu_kernelIfEEfRKT_EELi8EEEvPT0_PS8_PKT1_PS2_il, .Lfunc_end120-_ZN5aiter23act_and_mul_bias_kernelIffafTnPFfRKT2_EXadL_ZNS_11silu_kernelIfEEfRKT_EELi8EEEvPT0_PS8_PKT1_PS2_il
                                        ; -- End function
	.section	.AMDGPU.csdata,"",@progbits
; Kernel info:
; codeLenInByte = 1540
; NumSgprs: 52
; NumVgprs: 44
; NumAgprs: 0
; TotalNumVgprs: 44
; ScratchSize: 0
; MemoryBound: 0
; FloatMode: 240
; IeeeMode: 1
; LDSByteSize: 0 bytes/workgroup (compile time only)
; SGPRBlocks: 6
; VGPRBlocks: 5
; NumSGPRsForWavesPerEU: 52
; NumVGPRsForWavesPerEU: 44
; AccumOffset: 44
; Occupancy: 8
; WaveLimiterHint : 0
; COMPUTE_PGM_RSRC2:SCRATCH_EN: 0
; COMPUTE_PGM_RSRC2:USER_SGPR: 2
; COMPUTE_PGM_RSRC2:TRAP_HANDLER: 0
; COMPUTE_PGM_RSRC2:TGID_X_EN: 1
; COMPUTE_PGM_RSRC2:TGID_Y_EN: 0
; COMPUTE_PGM_RSRC2:TGID_Z_EN: 0
; COMPUTE_PGM_RSRC2:TIDIG_COMP_CNT: 0
; COMPUTE_PGM_RSRC3_GFX90A:ACCUM_OFFSET: 10
; COMPUTE_PGM_RSRC3_GFX90A:TG_SPLIT: 0
	.section	.text._ZN5aiter23act_and_mul_bias_kernelIffafTnPFfRKT2_EXadL_ZNS_11silu_kernelIfEEfRKT_EELi4EEEvPT0_PS8_PKT1_PS2_il,"axG",@progbits,_ZN5aiter23act_and_mul_bias_kernelIffafTnPFfRKT2_EXadL_ZNS_11silu_kernelIfEEfRKT_EELi4EEEvPT0_PS8_PKT1_PS2_il,comdat
	.protected	_ZN5aiter23act_and_mul_bias_kernelIffafTnPFfRKT2_EXadL_ZNS_11silu_kernelIfEEfRKT_EELi4EEEvPT0_PS8_PKT1_PS2_il ; -- Begin function _ZN5aiter23act_and_mul_bias_kernelIffafTnPFfRKT2_EXadL_ZNS_11silu_kernelIfEEfRKT_EELi4EEEvPT0_PS8_PKT1_PS2_il
	.globl	_ZN5aiter23act_and_mul_bias_kernelIffafTnPFfRKT2_EXadL_ZNS_11silu_kernelIfEEfRKT_EELi4EEEvPT0_PS8_PKT1_PS2_il
	.p2align	8
	.type	_ZN5aiter23act_and_mul_bias_kernelIffafTnPFfRKT2_EXadL_ZNS_11silu_kernelIfEEfRKT_EELi4EEEvPT0_PS8_PKT1_PS2_il,@function
_ZN5aiter23act_and_mul_bias_kernelIffafTnPFfRKT2_EXadL_ZNS_11silu_kernelIfEEfRKT_EELi4EEEvPT0_PS8_PKT1_PS2_il: ; @_ZN5aiter23act_and_mul_bias_kernelIffafTnPFfRKT2_EXadL_ZNS_11silu_kernelIfEEfRKT_EELi4EEEvPT0_PS8_PKT1_PS2_il
; %bb.0:
	s_load_dwordx2 s[4:5], s[0:1], 0x10
	s_load_dword s6, s[0:1], 0x20
	s_load_dwordx2 s[8:9], s[0:1], 0x28
	v_mov_b32_e32 v1, s2
	s_load_dwordx2 s[14:15], s[0:1], 0x0
	s_waitcnt lgkmcnt(0)
	global_load_ubyte v1, v1, s[4:5]
	s_ashr_i32 s7, s6, 31
	s_mul_hi_u32 s3, s6, s2
	s_mul_i32 s4, s7, s2
	s_add_i32 s17, s3, s4
	s_mov_b32 s5, 0
	s_mul_i32 s16, s6, s2
	s_lshl_b32 s10, s6, 2
	v_mov_b64_e32 v[2:3], s[8:9]
	s_lshl_b64 s[8:9], s[16:17], 2
	s_mov_b64 s[12:13], -1
	s_waitcnt vmcnt(0)
	v_readfirstlane_b32 s3, v1
	s_nop 1
	v_mov_b32_e32 v4, s3
	s_sext_i32_i8 s3, s3
	v_readfirstlane_b32 s4, v4
	s_bfe_i64 s[4:5], s[4:5], 0x80000
	s_add_u32 s8, s14, s8
	v_cmp_lt_i64_e32 vcc, s[4:5], v[2:3]
	s_addc_u32 s5, s15, s9
	s_and_b32 s9, s5, 0xffff
	s_cmp_gt_i32 s3, -1
	s_cselect_b64 s[14:15], -1, 0
	s_and_b64 s[14:15], s[14:15], vcc
	s_and_b64 vcc, exec, s[14:15]
	v_lshlrev_b32_e32 v4, 2, v0
	s_cbranch_vccnz .LBB121_5
; %bb.1:
	v_cmp_gt_i32_e32 vcc, s6, v4
	s_and_saveexec_b64 s[12:13], vcc
	s_cbranch_execz .LBB121_4
; %bb.2:
	s_load_dword s3, s[0:1], 0x3c
	v_mov_b32_e32 v5, 0
	s_mov_b32 s15, 0
	v_lshlrev_b32_e32 v8, 4, v0
	s_mov_b64 s[16:17], 0
	s_waitcnt lgkmcnt(0)
	s_and_b32 s3, s3, 0xffff
	s_lshl_b32 s14, s3, 2
	s_lshl_b32 s3, s3, 4
	s_mov_b32 s11, 0x20000
	v_mov_b32_e32 v0, v5
	v_mov_b32_e32 v1, v5
	;; [unrolled: 1-line block ×4, first 2 shown]
	v_mov_b64_e32 v[6:7], v[4:5]
.LBB121_3:                              ; =>This Inner Loop Header: Depth=1
	v_lshl_add_u64 v[6:7], s[14:15], 0, v[6:7]
	v_cmp_le_i64_e32 vcc, s[6:7], v[6:7]
	buffer_store_dwordx4 v[0:3], v8, s[8:11], 0 offen
	s_or_b64 s[16:17], vcc, s[16:17]
	v_add_u32_e32 v8, s3, v8
	s_andn2_b64 exec, exec, s[16:17]
	s_cbranch_execnz .LBB121_3
.LBB121_4:
	s_or_b64 exec, exec, s[12:13]
	s_mov_b64 s[12:13], 0
.LBB121_5:
	s_andn2_b64 vcc, exec, s[12:13]
	s_cbranch_vccnz .LBB121_9
; %bb.6:
	v_cmp_gt_i32_e32 vcc, s6, v4
	s_and_saveexec_b64 s[12:13], vcc
	s_cbranch_execz .LBB121_9
; %bb.7:
	s_load_dwordx2 s[14:15], s[0:1], 0x8
	s_load_dwordx2 s[12:13], s[0:1], 0x18
	s_mul_hi_i32 s5, s6, s4
	s_mul_i32 s4, s6, s4
	s_lshl_b64 s[4:5], s[4:5], 3
	s_mul_hi_u32 s18, s2, s6
	s_waitcnt lgkmcnt(0)
	s_add_u32 s12, s12, s4
	s_addc_u32 s3, s13, s5
	s_lshl_b64 s[4:5], s[6:7], 2
	s_add_u32 s16, s12, s4
	s_addc_u32 s17, s3, s5
	s_and_b32 s13, s3, 0xffff
	s_mul_i32 s3, s2, s7
	s_add_i32 s3, s18, s3
	s_mul_i32 s2, s2, s6
	s_and_b32 s17, s17, 0xffff
	s_lshl_b64 s[2:3], s[2:3], 3
	s_add_u32 s20, s14, s2
	s_addc_u32 s2, s15, s3
	s_add_u32 s24, s20, s4
	s_addc_u32 s3, s2, s5
	s_and_b32 s21, s2, 0xffff
	s_and_b32 s25, s3, 0xffff
	s_mov_b32 s11, 0x20000
	s_add_u32 s30, s0, 48
	s_mov_b32 s29, 0
	v_mov_b32_e32 v5, 0
	s_addc_u32 s31, s1, 0
	s_mov_b64 s[34:35], 0
	s_mov_b32 s22, s10
	s_mov_b32 s23, s11
	;; [unrolled: 1-line block ×5, first 2 shown]
	v_mov_b32_e32 v0, 0x7f800000
	s_mov_b32 s26, s10
	s_mov_b32 s27, s11
	s_mov_b32 s14, s10
	s_mov_b32 s15, s11
	s_mov_b32 s18, s10
	s_mov_b32 s19, s11
.LBB121_8:                              ; =>This Inner Loop Header: Depth=1
	v_lshlrev_b32_e32 v1, 2, v4
	buffer_load_dwordx4 v[6:9], v1, s[20:23], 0 offen
	buffer_load_dwordx4 v[10:13], v1, s[24:27], 0 offen
	;; [unrolled: 1-line block ×4, first 2 shown]
	s_waitcnt vmcnt(1)
	v_pk_add_f32 v[8:9], v[8:9], v[16:17]
	v_pk_add_f32 v[6:7], v[6:7], v[14:15]
	s_waitcnt vmcnt(0)
	v_pk_add_f32 v[2:3], v[12:13], v[20:21]
	v_mul_f32_e32 v12, 0xbfb8aa3b, v6
	v_mul_f32_e32 v13, 0xbfb8aa3b, v7
	;; [unrolled: 1-line block ×4, first 2 shown]
	v_pk_add_f32 v[10:11], v[10:11], v[18:19]
	v_fma_f32 v16, v6, s33, -v12
	v_rndne_f32_e32 v17, v12
	v_fma_f32 v18, v7, s33, -v13
	v_rndne_f32_e32 v19, v13
	;; [unrolled: 2-line block ×4, first 2 shown]
	v_fmac_f32_e32 v16, 0xb2a5705f, v6
	v_sub_f32_e32 v12, v12, v17
	v_fmac_f32_e32 v18, 0xb2a5705f, v7
	v_sub_f32_e32 v13, v13, v19
	;; [unrolled: 2-line block ×4, first 2 shown]
	v_add_f32_e32 v12, v12, v16
	v_add_f32_e32 v13, v13, v18
	;; [unrolled: 1-line block ×4, first 2 shown]
	v_cvt_i32_f32_e32 v17, v17
	v_cvt_i32_f32_e32 v19, v19
	;; [unrolled: 1-line block ×4, first 2 shown]
	v_exp_f32_e32 v12, v12
	v_exp_f32_e32 v13, v13
	;; [unrolled: 1-line block ×4, first 2 shown]
	v_ldexp_f32 v12, v12, v17
	v_ldexp_f32 v13, v13, v19
	v_cmp_nlt_f32_e32 vcc, s36, v7
	v_ldexp_f32 v14, v14, v21
	v_cmp_nlt_f32_e64 s[0:1], s36, v8
	v_ldexp_f32 v15, v15, v23
	v_cmp_nlt_f32_e64 s[2:3], s36, v9
	v_cmp_nlt_f32_e64 s[4:5], s36, v6
	v_cndmask_b32_e32 v13, 0, v13, vcc
	v_cmp_ngt_f32_e32 vcc, s37, v7
	v_cndmask_b32_e64 v12, 0, v12, s[4:5]
	v_cndmask_b32_e64 v14, 0, v14, s[0:1]
	v_cmp_ngt_f32_e64 s[0:1], s37, v8
	v_cndmask_b32_e64 v15, 0, v15, s[2:3]
	v_cmp_ngt_f32_e64 s[2:3], s37, v9
	v_cmp_ngt_f32_e64 s[4:5], s37, v6
	v_cndmask_b32_e32 v13, v0, v13, vcc
	v_cndmask_b32_e64 v14, v0, v14, s[0:1]
	v_cndmask_b32_e64 v12, v0, v12, s[4:5]
	v_cndmask_b32_e64 v15, v0, v15, s[2:3]
	v_add_f32_e32 v12, 1.0, v12
	v_add_f32_e32 v13, 1.0, v13
	;; [unrolled: 1-line block ×4, first 2 shown]
	v_rcp_f32_e32 v12, v12
	v_rcp_f32_e32 v13, v13
	v_rcp_f32_e32 v14, v14
	v_rcp_f32_e32 v15, v15
	v_pk_mul_f32 v[6:7], v[6:7], v[12:13]
	s_nop 0
	;;#ASMSTART
	v_pk_mul_f32 v[6:7], v[6:7], v[10:11]
	;;#ASMEND
	v_pk_mul_f32 v[8:9], v[8:9], v[14:15]
	s_nop 0
	;;#ASMSTART
	v_pk_mul_f32 v[8:9], v[8:9], v[2:3]
	;;#ASMEND
	s_load_dword s0, s[30:31], 0xc
	buffer_store_dwordx4 v[6:9], v1, s[8:11], 0 offen
	s_waitcnt lgkmcnt(0)
	s_and_b32 s0, s0, 0xffff
	s_lshl_b32 s28, s0, 2
	v_lshl_add_u64 v[4:5], s[28:29], 0, v[4:5]
	v_cmp_le_i64_e32 vcc, s[6:7], v[4:5]
	s_or_b64 s[34:35], vcc, s[34:35]
	s_andn2_b64 exec, exec, s[34:35]
	s_cbranch_execnz .LBB121_8
.LBB121_9:
	s_endpgm
	.section	.rodata,"a",@progbits
	.p2align	6, 0x0
	.amdhsa_kernel _ZN5aiter23act_and_mul_bias_kernelIffafTnPFfRKT2_EXadL_ZNS_11silu_kernelIfEEfRKT_EELi4EEEvPT0_PS8_PKT1_PS2_il
		.amdhsa_group_segment_fixed_size 0
		.amdhsa_private_segment_fixed_size 0
		.amdhsa_kernarg_size 304
		.amdhsa_user_sgpr_count 2
		.amdhsa_user_sgpr_dispatch_ptr 0
		.amdhsa_user_sgpr_queue_ptr 0
		.amdhsa_user_sgpr_kernarg_segment_ptr 1
		.amdhsa_user_sgpr_dispatch_id 0
		.amdhsa_user_sgpr_kernarg_preload_length 0
		.amdhsa_user_sgpr_kernarg_preload_offset 0
		.amdhsa_user_sgpr_private_segment_size 0
		.amdhsa_uses_dynamic_stack 0
		.amdhsa_enable_private_segment 0
		.amdhsa_system_sgpr_workgroup_id_x 1
		.amdhsa_system_sgpr_workgroup_id_y 0
		.amdhsa_system_sgpr_workgroup_id_z 0
		.amdhsa_system_sgpr_workgroup_info 0
		.amdhsa_system_vgpr_workitem_id 0
		.amdhsa_next_free_vgpr 24
		.amdhsa_next_free_sgpr 38
		.amdhsa_accum_offset 24
		.amdhsa_reserve_vcc 1
		.amdhsa_float_round_mode_32 0
		.amdhsa_float_round_mode_16_64 0
		.amdhsa_float_denorm_mode_32 3
		.amdhsa_float_denorm_mode_16_64 3
		.amdhsa_dx10_clamp 1
		.amdhsa_ieee_mode 1
		.amdhsa_fp16_overflow 0
		.amdhsa_tg_split 0
		.amdhsa_exception_fp_ieee_invalid_op 0
		.amdhsa_exception_fp_denorm_src 0
		.amdhsa_exception_fp_ieee_div_zero 0
		.amdhsa_exception_fp_ieee_overflow 0
		.amdhsa_exception_fp_ieee_underflow 0
		.amdhsa_exception_fp_ieee_inexact 0
		.amdhsa_exception_int_div_zero 0
	.end_amdhsa_kernel
	.section	.text._ZN5aiter23act_and_mul_bias_kernelIffafTnPFfRKT2_EXadL_ZNS_11silu_kernelIfEEfRKT_EELi4EEEvPT0_PS8_PKT1_PS2_il,"axG",@progbits,_ZN5aiter23act_and_mul_bias_kernelIffafTnPFfRKT2_EXadL_ZNS_11silu_kernelIfEEfRKT_EELi4EEEvPT0_PS8_PKT1_PS2_il,comdat
.Lfunc_end121:
	.size	_ZN5aiter23act_and_mul_bias_kernelIffafTnPFfRKT2_EXadL_ZNS_11silu_kernelIfEEfRKT_EELi4EEEvPT0_PS8_PKT1_PS2_il, .Lfunc_end121-_ZN5aiter23act_and_mul_bias_kernelIffafTnPFfRKT2_EXadL_ZNS_11silu_kernelIfEEfRKT_EELi4EEEvPT0_PS8_PKT1_PS2_il
                                        ; -- End function
	.section	.AMDGPU.csdata,"",@progbits
; Kernel info:
; codeLenInByte = 1052
; NumSgprs: 44
; NumVgprs: 24
; NumAgprs: 0
; TotalNumVgprs: 24
; ScratchSize: 0
; MemoryBound: 0
; FloatMode: 240
; IeeeMode: 1
; LDSByteSize: 0 bytes/workgroup (compile time only)
; SGPRBlocks: 5
; VGPRBlocks: 2
; NumSGPRsForWavesPerEU: 44
; NumVGPRsForWavesPerEU: 24
; AccumOffset: 24
; Occupancy: 8
; WaveLimiterHint : 0
; COMPUTE_PGM_RSRC2:SCRATCH_EN: 0
; COMPUTE_PGM_RSRC2:USER_SGPR: 2
; COMPUTE_PGM_RSRC2:TRAP_HANDLER: 0
; COMPUTE_PGM_RSRC2:TGID_X_EN: 1
; COMPUTE_PGM_RSRC2:TGID_Y_EN: 0
; COMPUTE_PGM_RSRC2:TGID_Z_EN: 0
; COMPUTE_PGM_RSRC2:TIDIG_COMP_CNT: 0
; COMPUTE_PGM_RSRC3_GFX90A:ACCUM_OFFSET: 5
; COMPUTE_PGM_RSRC3_GFX90A:TG_SPLIT: 0
	.section	.text._ZN5aiter23act_and_mul_bias_kernelIffafTnPFfRKT2_EXadL_ZNS_11silu_kernelIfEEfRKT_EELi2EEEvPT0_PS8_PKT1_PS2_il,"axG",@progbits,_ZN5aiter23act_and_mul_bias_kernelIffafTnPFfRKT2_EXadL_ZNS_11silu_kernelIfEEfRKT_EELi2EEEvPT0_PS8_PKT1_PS2_il,comdat
	.protected	_ZN5aiter23act_and_mul_bias_kernelIffafTnPFfRKT2_EXadL_ZNS_11silu_kernelIfEEfRKT_EELi2EEEvPT0_PS8_PKT1_PS2_il ; -- Begin function _ZN5aiter23act_and_mul_bias_kernelIffafTnPFfRKT2_EXadL_ZNS_11silu_kernelIfEEfRKT_EELi2EEEvPT0_PS8_PKT1_PS2_il
	.globl	_ZN5aiter23act_and_mul_bias_kernelIffafTnPFfRKT2_EXadL_ZNS_11silu_kernelIfEEfRKT_EELi2EEEvPT0_PS8_PKT1_PS2_il
	.p2align	8
	.type	_ZN5aiter23act_and_mul_bias_kernelIffafTnPFfRKT2_EXadL_ZNS_11silu_kernelIfEEfRKT_EELi2EEEvPT0_PS8_PKT1_PS2_il,@function
_ZN5aiter23act_and_mul_bias_kernelIffafTnPFfRKT2_EXadL_ZNS_11silu_kernelIfEEfRKT_EELi2EEEvPT0_PS8_PKT1_PS2_il: ; @_ZN5aiter23act_and_mul_bias_kernelIffafTnPFfRKT2_EXadL_ZNS_11silu_kernelIfEEfRKT_EELi2EEEvPT0_PS8_PKT1_PS2_il
; %bb.0:
	s_load_dwordx2 s[4:5], s[0:1], 0x10
	s_load_dword s24, s[0:1], 0x20
	s_load_dwordx2 s[8:9], s[0:1], 0x28
	v_mov_b32_e32 v1, s2
	s_mov_b32 s13, 0
	s_waitcnt lgkmcnt(0)
	global_load_ubyte v1, v1, s[4:5]
	s_ashr_i32 s25, s24, 31
	s_load_dwordx2 s[4:5], s[0:1], 0x0
	s_mul_hi_u32 s3, s24, s2
	s_mul_i32 s7, s25, s2
	s_add_i32 s15, s3, s7
	s_mul_i32 s14, s24, s2
	s_lshl_b32 s6, s24, 2
	v_mov_b64_e32 v[2:3], s[8:9]
	s_lshl_b64 s[14:15], s[14:15], 2
	s_mov_b64 s[10:11], -1
	s_waitcnt vmcnt(0)
	v_readfirstlane_b32 s3, v1
	s_nop 1
	v_mov_b32_e32 v4, s3
	s_sext_i32_i8 s3, s3
	v_readfirstlane_b32 s12, v4
	s_bfe_i64 s[8:9], s[12:13], 0x80000
	s_waitcnt lgkmcnt(0)
	s_add_u32 s4, s4, s14
	s_addc_u32 s5, s5, s15
	s_and_b32 s5, s5, 0xffff
	s_cmp_gt_i32 s3, -1
	v_cmp_lt_i64_e32 vcc, s[8:9], v[2:3]
	s_cselect_b64 s[12:13], -1, 0
	s_and_b64 s[12:13], s[12:13], vcc
	s_and_b64 vcc, exec, s[12:13]
	v_lshlrev_b32_e32 v2, 1, v0
	s_cbranch_vccnz .LBB122_5
; %bb.1:
	v_cmp_gt_i32_e32 vcc, s24, v2
	s_and_saveexec_b64 s[10:11], vcc
	s_cbranch_execz .LBB122_4
; %bb.2:
	s_load_dword s3, s[0:1], 0x3c
	v_mov_b32_e32 v3, 0
	s_mov_b32 s13, 0
	v_lshlrev_b32_e32 v6, 3, v0
	s_mov_b64 s[14:15], 0
	s_waitcnt lgkmcnt(0)
	s_and_b32 s3, s3, 0xffff
	s_lshl_b32 s12, s3, 1
	s_lshl_b32 s3, s3, 3
	s_mov_b32 s7, 0x20000
	v_mov_b32_e32 v0, v3
	v_mov_b32_e32 v1, v3
	v_mov_b64_e32 v[4:5], v[2:3]
.LBB122_3:                              ; =>This Inner Loop Header: Depth=1
	v_lshl_add_u64 v[4:5], s[12:13], 0, v[4:5]
	v_cmp_le_i64_e32 vcc, s[24:25], v[4:5]
	buffer_store_dwordx2 v[0:1], v6, s[4:7], 0 offen
	s_or_b64 s[14:15], vcc, s[14:15]
	v_add_u32_e32 v6, s3, v6
	s_andn2_b64 exec, exec, s[14:15]
	s_cbranch_execnz .LBB122_3
.LBB122_4:
	s_or_b64 exec, exec, s[10:11]
	s_mov_b64 s[10:11], 0
.LBB122_5:
	s_andn2_b64 vcc, exec, s[10:11]
	s_cbranch_vccnz .LBB122_9
; %bb.6:
	v_cmp_gt_i32_e32 vcc, s24, v2
	s_and_saveexec_b64 s[10:11], vcc
	s_cbranch_execz .LBB122_9
; %bb.7:
	s_load_dwordx2 s[10:11], s[0:1], 0x8
	s_load_dwordx2 s[12:13], s[0:1], 0x18
	s_mul_hi_i32 s9, s24, s8
	s_mul_i32 s8, s24, s8
	s_lshl_b64 s[8:9], s[8:9], 3
	s_mul_i32 s16, s2, s25
	s_waitcnt lgkmcnt(0)
	s_add_u32 s8, s12, s8
	s_addc_u32 s7, s13, s9
	s_lshl_b64 s[14:15], s[24:25], 2
	s_add_u32 s12, s8, s14
	s_mul_hi_u32 s17, s2, s24
	s_addc_u32 s13, s7, s15
	s_add_i32 s17, s17, s16
	s_mul_i32 s16, s2, s24
	s_and_b32 s9, s7, 0xffff
	s_and_b32 s13, s13, 0xffff
	s_lshl_b64 s[16:17], s[16:17], 3
	s_add_u32 s16, s10, s16
	s_addc_u32 s2, s11, s17
	s_add_u32 s20, s16, s14
	s_addc_u32 s10, s2, s15
	s_and_b32 s17, s2, 0xffff
	s_and_b32 s21, s10, 0xffff
	s_mov_b32 s7, 0x20000
	s_add_u32 s26, s0, 48
	s_mov_b32 s3, 0
	v_mov_b32_e32 v3, 0
	s_addc_u32 s27, s1, 0
	s_mov_b64 s[28:29], 0
	s_mov_b32 s18, s6
	s_mov_b32 s19, s7
	;; [unrolled: 1-line block ×5, first 2 shown]
	v_mov_b32_e32 v0, 0x7f800000
	s_mov_b32 s22, s6
	s_mov_b32 s23, s7
	;; [unrolled: 1-line block ×6, first 2 shown]
.LBB122_8:                              ; =>This Inner Loop Header: Depth=1
	v_lshlrev_b32_e32 v1, 2, v2
	buffer_load_dwordx2 v[4:5], v1, s[8:11], 0 offen
	buffer_load_dwordx2 v[6:7], v1, s[16:19], 0 offen
	;; [unrolled: 1-line block ×4, first 2 shown]
	s_waitcnt vmcnt(2)
	v_pk_add_f32 v[4:5], v[6:7], v[4:5]
	s_nop 0
	v_mul_f32_e32 v6, 0xbfb8aa3b, v5
	v_mul_f32_e32 v7, 0xbfb8aa3b, v4
	v_fma_f32 v12, v5, s30, -v6
	v_rndne_f32_e32 v13, v6
	v_fma_f32 v14, v4, s30, -v7
	v_rndne_f32_e32 v15, v7
	v_fmac_f32_e32 v12, 0xb2a5705f, v5
	v_sub_f32_e32 v6, v6, v13
	v_fmac_f32_e32 v14, 0xb2a5705f, v4
	v_sub_f32_e32 v7, v7, v15
	v_add_f32_e32 v6, v6, v12
	v_add_f32_e32 v7, v7, v14
	v_cvt_i32_f32_e32 v13, v13
	v_cvt_i32_f32_e32 v15, v15
	v_exp_f32_e32 v6, v6
	v_exp_f32_e32 v7, v7
	v_cmp_nlt_f32_e32 vcc, s31, v4
	v_cmp_nlt_f32_e64 s[0:1], s31, v5
	v_ldexp_f32 v6, v6, v13
	v_ldexp_f32 v7, v7, v15
	v_cndmask_b32_e64 v6, 0, v6, s[0:1]
	v_cndmask_b32_e32 v7, 0, v7, vcc
	v_cmp_ngt_f32_e32 vcc, s33, v4
	v_cmp_ngt_f32_e64 s[0:1], s33, v5
	s_waitcnt vmcnt(0)
	v_pk_add_f32 v[8:9], v[8:9], v[10:11]
	v_cndmask_b32_e32 v7, v0, v7, vcc
	v_cndmask_b32_e64 v6, v0, v6, s[0:1]
	v_add_f32_e32 v6, 1.0, v6
	v_add_f32_e32 v12, 1.0, v7
	v_rcp_f32_e32 v7, v6
	v_rcp_f32_e32 v6, v12
	s_nop 0
	v_pk_mul_f32 v[4:5], v[4:5], v[6:7]
	s_nop 0
	;;#ASMSTART
	v_pk_mul_f32 v[4:5], v[4:5], v[8:9]
	;;#ASMEND
	s_load_dword s0, s[26:27], 0xc
	buffer_store_dwordx2 v[4:5], v1, s[4:7], 0 offen
	s_waitcnt lgkmcnt(0)
	s_and_b32 s0, s0, 0xffff
	s_lshl_b32 s2, s0, 1
	v_lshl_add_u64 v[2:3], s[2:3], 0, v[2:3]
	v_cmp_le_i64_e32 vcc, s[24:25], v[2:3]
	s_or_b64 s[28:29], vcc, s[28:29]
	s_andn2_b64 exec, exec, s[28:29]
	s_cbranch_execnz .LBB122_8
.LBB122_9:
	s_endpgm
	.section	.rodata,"a",@progbits
	.p2align	6, 0x0
	.amdhsa_kernel _ZN5aiter23act_and_mul_bias_kernelIffafTnPFfRKT2_EXadL_ZNS_11silu_kernelIfEEfRKT_EELi2EEEvPT0_PS8_PKT1_PS2_il
		.amdhsa_group_segment_fixed_size 0
		.amdhsa_private_segment_fixed_size 0
		.amdhsa_kernarg_size 304
		.amdhsa_user_sgpr_count 2
		.amdhsa_user_sgpr_dispatch_ptr 0
		.amdhsa_user_sgpr_queue_ptr 0
		.amdhsa_user_sgpr_kernarg_segment_ptr 1
		.amdhsa_user_sgpr_dispatch_id 0
		.amdhsa_user_sgpr_kernarg_preload_length 0
		.amdhsa_user_sgpr_kernarg_preload_offset 0
		.amdhsa_user_sgpr_private_segment_size 0
		.amdhsa_uses_dynamic_stack 0
		.amdhsa_enable_private_segment 0
		.amdhsa_system_sgpr_workgroup_id_x 1
		.amdhsa_system_sgpr_workgroup_id_y 0
		.amdhsa_system_sgpr_workgroup_id_z 0
		.amdhsa_system_sgpr_workgroup_info 0
		.amdhsa_system_vgpr_workitem_id 0
		.amdhsa_next_free_vgpr 16
		.amdhsa_next_free_sgpr 34
		.amdhsa_accum_offset 16
		.amdhsa_reserve_vcc 1
		.amdhsa_float_round_mode_32 0
		.amdhsa_float_round_mode_16_64 0
		.amdhsa_float_denorm_mode_32 3
		.amdhsa_float_denorm_mode_16_64 3
		.amdhsa_dx10_clamp 1
		.amdhsa_ieee_mode 1
		.amdhsa_fp16_overflow 0
		.amdhsa_tg_split 0
		.amdhsa_exception_fp_ieee_invalid_op 0
		.amdhsa_exception_fp_denorm_src 0
		.amdhsa_exception_fp_ieee_div_zero 0
		.amdhsa_exception_fp_ieee_overflow 0
		.amdhsa_exception_fp_ieee_underflow 0
		.amdhsa_exception_fp_ieee_inexact 0
		.amdhsa_exception_int_div_zero 0
	.end_amdhsa_kernel
	.section	.text._ZN5aiter23act_and_mul_bias_kernelIffafTnPFfRKT2_EXadL_ZNS_11silu_kernelIfEEfRKT_EELi2EEEvPT0_PS8_PKT1_PS2_il,"axG",@progbits,_ZN5aiter23act_and_mul_bias_kernelIffafTnPFfRKT2_EXadL_ZNS_11silu_kernelIfEEfRKT_EELi2EEEvPT0_PS8_PKT1_PS2_il,comdat
.Lfunc_end122:
	.size	_ZN5aiter23act_and_mul_bias_kernelIffafTnPFfRKT2_EXadL_ZNS_11silu_kernelIfEEfRKT_EELi2EEEvPT0_PS8_PKT1_PS2_il, .Lfunc_end122-_ZN5aiter23act_and_mul_bias_kernelIffafTnPFfRKT2_EXadL_ZNS_11silu_kernelIfEEfRKT_EELi2EEEvPT0_PS8_PKT1_PS2_il
                                        ; -- End function
	.section	.AMDGPU.csdata,"",@progbits
; Kernel info:
; codeLenInByte = 836
; NumSgprs: 40
; NumVgprs: 16
; NumAgprs: 0
; TotalNumVgprs: 16
; ScratchSize: 0
; MemoryBound: 0
; FloatMode: 240
; IeeeMode: 1
; LDSByteSize: 0 bytes/workgroup (compile time only)
; SGPRBlocks: 4
; VGPRBlocks: 1
; NumSGPRsForWavesPerEU: 40
; NumVGPRsForWavesPerEU: 16
; AccumOffset: 16
; Occupancy: 8
; WaveLimiterHint : 0
; COMPUTE_PGM_RSRC2:SCRATCH_EN: 0
; COMPUTE_PGM_RSRC2:USER_SGPR: 2
; COMPUTE_PGM_RSRC2:TRAP_HANDLER: 0
; COMPUTE_PGM_RSRC2:TGID_X_EN: 1
; COMPUTE_PGM_RSRC2:TGID_Y_EN: 0
; COMPUTE_PGM_RSRC2:TGID_Z_EN: 0
; COMPUTE_PGM_RSRC2:TIDIG_COMP_CNT: 0
; COMPUTE_PGM_RSRC3_GFX90A:ACCUM_OFFSET: 3
; COMPUTE_PGM_RSRC3_GFX90A:TG_SPLIT: 0
	.section	.text._ZN5aiter23act_and_mul_bias_kernelIffafTnPFfRKT2_EXadL_ZNS_11silu_kernelIfEEfRKT_EELi1EEEvPT0_PS8_PKT1_PS2_il,"axG",@progbits,_ZN5aiter23act_and_mul_bias_kernelIffafTnPFfRKT2_EXadL_ZNS_11silu_kernelIfEEfRKT_EELi1EEEvPT0_PS8_PKT1_PS2_il,comdat
	.protected	_ZN5aiter23act_and_mul_bias_kernelIffafTnPFfRKT2_EXadL_ZNS_11silu_kernelIfEEfRKT_EELi1EEEvPT0_PS8_PKT1_PS2_il ; -- Begin function _ZN5aiter23act_and_mul_bias_kernelIffafTnPFfRKT2_EXadL_ZNS_11silu_kernelIfEEfRKT_EELi1EEEvPT0_PS8_PKT1_PS2_il
	.globl	_ZN5aiter23act_and_mul_bias_kernelIffafTnPFfRKT2_EXadL_ZNS_11silu_kernelIfEEfRKT_EELi1EEEvPT0_PS8_PKT1_PS2_il
	.p2align	8
	.type	_ZN5aiter23act_and_mul_bias_kernelIffafTnPFfRKT2_EXadL_ZNS_11silu_kernelIfEEfRKT_EELi1EEEvPT0_PS8_PKT1_PS2_il,@function
_ZN5aiter23act_and_mul_bias_kernelIffafTnPFfRKT2_EXadL_ZNS_11silu_kernelIfEEfRKT_EELi1EEEvPT0_PS8_PKT1_PS2_il: ; @_ZN5aiter23act_and_mul_bias_kernelIffafTnPFfRKT2_EXadL_ZNS_11silu_kernelIfEEfRKT_EELi1EEEvPT0_PS8_PKT1_PS2_il
; %bb.0:
	s_load_dwordx2 s[4:5], s[0:1], 0x10
	s_load_dword s20, s[0:1], 0x20
	s_load_dwordx2 s[6:7], s[0:1], 0x28
	v_mov_b32_e32 v1, s2
	s_mov_b32 s9, 0
	s_waitcnt lgkmcnt(0)
	global_load_ubyte v1, v1, s[4:5]
	s_ashr_i32 s21, s20, 31
	s_load_dwordx2 s[4:5], s[0:1], 0x0
	s_mul_hi_u32 s3, s20, s2
	v_mov_b64_e32 v[2:3], s[6:7]
	s_mul_i32 s6, s21, s2
	s_add_i32 s15, s3, s6
	s_mul_i32 s14, s20, s2
	s_lshl_b32 s10, s20, 2
	s_lshl_b64 s[14:15], s[14:15], 2
	s_mov_b64 s[12:13], -1
	s_waitcnt vmcnt(0)
	v_readfirstlane_b32 s3, v1
	s_nop 1
	v_mov_b32_e32 v4, s3
	s_sext_i32_i8 s3, s3
	v_readfirstlane_b32 s8, v4
	s_bfe_i64 s[6:7], s[8:9], 0x80000
	s_waitcnt lgkmcnt(0)
	s_add_u32 s8, s4, s14
	s_addc_u32 s4, s5, s15
	s_and_b32 s9, s4, 0xffff
	s_cmp_gt_i32 s3, -1
	v_cmp_lt_i64_e32 vcc, s[6:7], v[2:3]
	s_cselect_b64 s[4:5], -1, 0
	s_and_b64 s[4:5], s[4:5], vcc
	s_and_b64 vcc, exec, s[4:5]
	v_cmp_gt_i32_e64 s[4:5], s20, v0
	s_cbranch_vccnz .LBB123_5
; %bb.1:
	s_and_saveexec_b64 s[12:13], s[4:5]
	s_cbranch_execz .LBB123_4
; %bb.2:
	s_load_dword s3, s[0:1], 0x3c
	v_mov_b32_e32 v1, 0
	s_mov_b32 s5, 0
	v_lshlrev_b32_e32 v4, 2, v0
	s_mov_b64 s[14:15], 0
	s_waitcnt lgkmcnt(0)
	s_and_b32 s4, s3, 0xffff
	s_lshl_b32 s3, s4, 2
	s_mov_b32 s11, 0x20000
	v_mov_b64_e32 v[2:3], v[0:1]
.LBB123_3:                              ; =>This Inner Loop Header: Depth=1
	v_lshl_add_u64 v[2:3], v[2:3], 0, s[4:5]
	v_cmp_le_i64_e32 vcc, s[20:21], v[2:3]
	buffer_store_dword v1, v4, s[8:11], 0 offen
	s_or_b64 s[14:15], vcc, s[14:15]
	v_add_u32_e32 v4, s3, v4
	s_andn2_b64 exec, exec, s[14:15]
	s_cbranch_execnz .LBB123_3
.LBB123_4:
	s_or_b64 exec, exec, s[12:13]
	s_mov_b64 s[12:13], 0
.LBB123_5:
	s_andn2_b64 vcc, exec, s[12:13]
	s_cbranch_vccnz .LBB123_9
; %bb.6:
	v_cmp_gt_i32_e32 vcc, s20, v0
	s_and_saveexec_b64 s[4:5], vcc
	s_cbranch_execz .LBB123_9
; %bb.7:
	s_load_dwordx2 s[12:13], s[0:1], 0x8
	s_load_dwordx2 s[4:5], s[0:1], 0x18
	s_mul_hi_i32 s7, s20, s6
	s_mul_i32 s6, s20, s6
	s_lshl_b64 s[6:7], s[6:7], 3
	s_load_dword s14, s[0:1], 0x3c
	s_waitcnt lgkmcnt(0)
	s_add_u32 s0, s4, s6
	s_addc_u32 s1, s5, s7
	s_lshl_b64 s[6:7], s[20:21], 2
	s_add_u32 s4, s0, s6
	s_addc_u32 s3, s1, s7
	s_and_b32 s5, s3, 0xffff
	s_mul_i32 s3, s2, s21
	s_mul_hi_u32 s15, s2, s20
	s_add_i32 s3, s15, s3
	s_mul_i32 s2, s2, s20
	s_and_b32 s1, s1, 0xffff
	s_lshl_b64 s[2:3], s[2:3], 3
	s_add_u32 s12, s12, s2
	s_addc_u32 s2, s13, s3
	s_add_u32 s16, s12, s6
	s_mov_b32 s11, 0x20000
	s_addc_u32 s3, s2, s7
	s_and_b32 s22, s14, 0xffff
	s_mov_b32 s23, 0
	s_and_b32 s13, s2, 0xffff
	s_and_b32 s17, s3, 0xffff
	v_mov_b32_e32 v1, 0
	v_lshlrev_b32_e32 v2, 2, v0
	s_lshl_b32 s26, s22, 2
	s_mov_b64 s[24:25], 0
	s_mov_b32 s14, s10
	s_mov_b32 s15, s11
	;; [unrolled: 1-line block ×5, first 2 shown]
	v_mov_b32_e32 v3, 0x7f800000
	s_mov_b32 s18, s10
	s_mov_b32 s19, s11
	;; [unrolled: 1-line block ×6, first 2 shown]
.LBB123_8:                              ; =>This Inner Loop Header: Depth=1
	buffer_load_dword v5, v2, s[12:15], 0 offen
	buffer_load_dword v4, v2, s[16:19], 0 offen
	;; [unrolled: 1-line block ×4, first 2 shown]
	v_lshl_add_u64 v[0:1], v[0:1], 0, s[22:23]
	s_waitcnt vmcnt(0)
	v_pk_add_f32 v[4:5], v[4:5], v[6:7]
	s_nop 0
	v_mul_f32_e32 v6, 0xbfb8aa3b, v5
	v_fma_f32 v7, v5, s27, -v6
	v_rndne_f32_e32 v8, v6
	v_fmac_f32_e32 v7, 0xb2a5705f, v5
	v_sub_f32_e32 v6, v6, v8
	v_add_f32_e32 v6, v6, v7
	v_cvt_i32_f32_e32 v8, v8
	v_exp_f32_e32 v6, v6
	v_cmp_nlt_f32_e32 vcc, s28, v5
	v_ldexp_f32 v6, v6, v8
	s_nop 0
	v_cndmask_b32_e32 v6, 0, v6, vcc
	v_cmp_ngt_f32_e32 vcc, s29, v5
	s_nop 1
	v_cndmask_b32_e32 v6, v3, v6, vcc
	v_add_f32_e32 v6, 1.0, v6
	v_rcp_f32_e32 v6, v6
	v_cmp_le_i64_e32 vcc, s[20:21], v[0:1]
	s_or_b64 s[24:25], vcc, s[24:25]
	v_mul_f32_e32 v5, v5, v6
	v_mul_f32_e32 v4, v4, v5
	buffer_store_dword v4, v2, s[8:11], 0 offen
	v_add_u32_e32 v2, s26, v2
	s_andn2_b64 exec, exec, s[24:25]
	s_cbranch_execnz .LBB123_8
.LBB123_9:
	s_endpgm
	.section	.rodata,"a",@progbits
	.p2align	6, 0x0
	.amdhsa_kernel _ZN5aiter23act_and_mul_bias_kernelIffafTnPFfRKT2_EXadL_ZNS_11silu_kernelIfEEfRKT_EELi1EEEvPT0_PS8_PKT1_PS2_il
		.amdhsa_group_segment_fixed_size 0
		.amdhsa_private_segment_fixed_size 0
		.amdhsa_kernarg_size 304
		.amdhsa_user_sgpr_count 2
		.amdhsa_user_sgpr_dispatch_ptr 0
		.amdhsa_user_sgpr_queue_ptr 0
		.amdhsa_user_sgpr_kernarg_segment_ptr 1
		.amdhsa_user_sgpr_dispatch_id 0
		.amdhsa_user_sgpr_kernarg_preload_length 0
		.amdhsa_user_sgpr_kernarg_preload_offset 0
		.amdhsa_user_sgpr_private_segment_size 0
		.amdhsa_uses_dynamic_stack 0
		.amdhsa_enable_private_segment 0
		.amdhsa_system_sgpr_workgroup_id_x 1
		.amdhsa_system_sgpr_workgroup_id_y 0
		.amdhsa_system_sgpr_workgroup_id_z 0
		.amdhsa_system_sgpr_workgroup_info 0
		.amdhsa_system_vgpr_workitem_id 0
		.amdhsa_next_free_vgpr 9
		.amdhsa_next_free_sgpr 30
		.amdhsa_accum_offset 12
		.amdhsa_reserve_vcc 1
		.amdhsa_float_round_mode_32 0
		.amdhsa_float_round_mode_16_64 0
		.amdhsa_float_denorm_mode_32 3
		.amdhsa_float_denorm_mode_16_64 3
		.amdhsa_dx10_clamp 1
		.amdhsa_ieee_mode 1
		.amdhsa_fp16_overflow 0
		.amdhsa_tg_split 0
		.amdhsa_exception_fp_ieee_invalid_op 0
		.amdhsa_exception_fp_denorm_src 0
		.amdhsa_exception_fp_ieee_div_zero 0
		.amdhsa_exception_fp_ieee_overflow 0
		.amdhsa_exception_fp_ieee_underflow 0
		.amdhsa_exception_fp_ieee_inexact 0
		.amdhsa_exception_int_div_zero 0
	.end_amdhsa_kernel
	.section	.text._ZN5aiter23act_and_mul_bias_kernelIffafTnPFfRKT2_EXadL_ZNS_11silu_kernelIfEEfRKT_EELi1EEEvPT0_PS8_PKT1_PS2_il,"axG",@progbits,_ZN5aiter23act_and_mul_bias_kernelIffafTnPFfRKT2_EXadL_ZNS_11silu_kernelIfEEfRKT_EELi1EEEvPT0_PS8_PKT1_PS2_il,comdat
.Lfunc_end123:
	.size	_ZN5aiter23act_and_mul_bias_kernelIffafTnPFfRKT2_EXadL_ZNS_11silu_kernelIfEEfRKT_EELi1EEEvPT0_PS8_PKT1_PS2_il, .Lfunc_end123-_ZN5aiter23act_and_mul_bias_kernelIffafTnPFfRKT2_EXadL_ZNS_11silu_kernelIfEEfRKT_EELi1EEEvPT0_PS8_PKT1_PS2_il
                                        ; -- End function
	.section	.AMDGPU.csdata,"",@progbits
; Kernel info:
; codeLenInByte = 704
; NumSgprs: 36
; NumVgprs: 9
; NumAgprs: 0
; TotalNumVgprs: 9
; ScratchSize: 0
; MemoryBound: 0
; FloatMode: 240
; IeeeMode: 1
; LDSByteSize: 0 bytes/workgroup (compile time only)
; SGPRBlocks: 4
; VGPRBlocks: 1
; NumSGPRsForWavesPerEU: 36
; NumVGPRsForWavesPerEU: 9
; AccumOffset: 12
; Occupancy: 8
; WaveLimiterHint : 0
; COMPUTE_PGM_RSRC2:SCRATCH_EN: 0
; COMPUTE_PGM_RSRC2:USER_SGPR: 2
; COMPUTE_PGM_RSRC2:TRAP_HANDLER: 0
; COMPUTE_PGM_RSRC2:TGID_X_EN: 1
; COMPUTE_PGM_RSRC2:TGID_Y_EN: 0
; COMPUTE_PGM_RSRC2:TGID_Z_EN: 0
; COMPUTE_PGM_RSRC2:TIDIG_COMP_CNT: 0
; COMPUTE_PGM_RSRC3_GFX90A:ACCUM_OFFSET: 2
; COMPUTE_PGM_RSRC3_GFX90A:TG_SPLIT: 0
	.section	.text._ZN5aiter23act_and_mul_bias_kernelIDF16_DF16_afTnPFfRKT2_EXadL_ZNS_11silu_kernelIfEEfRKT_EELi32EEEvPT0_PS8_PKT1_PS2_il,"axG",@progbits,_ZN5aiter23act_and_mul_bias_kernelIDF16_DF16_afTnPFfRKT2_EXadL_ZNS_11silu_kernelIfEEfRKT_EELi32EEEvPT0_PS8_PKT1_PS2_il,comdat
	.protected	_ZN5aiter23act_and_mul_bias_kernelIDF16_DF16_afTnPFfRKT2_EXadL_ZNS_11silu_kernelIfEEfRKT_EELi32EEEvPT0_PS8_PKT1_PS2_il ; -- Begin function _ZN5aiter23act_and_mul_bias_kernelIDF16_DF16_afTnPFfRKT2_EXadL_ZNS_11silu_kernelIfEEfRKT_EELi32EEEvPT0_PS8_PKT1_PS2_il
	.globl	_ZN5aiter23act_and_mul_bias_kernelIDF16_DF16_afTnPFfRKT2_EXadL_ZNS_11silu_kernelIfEEfRKT_EELi32EEEvPT0_PS8_PKT1_PS2_il
	.p2align	8
	.type	_ZN5aiter23act_and_mul_bias_kernelIDF16_DF16_afTnPFfRKT2_EXadL_ZNS_11silu_kernelIfEEfRKT_EELi32EEEvPT0_PS8_PKT1_PS2_il,@function
_ZN5aiter23act_and_mul_bias_kernelIDF16_DF16_afTnPFfRKT2_EXadL_ZNS_11silu_kernelIfEEfRKT_EELi32EEEvPT0_PS8_PKT1_PS2_il: ; @_ZN5aiter23act_and_mul_bias_kernelIDF16_DF16_afTnPFfRKT2_EXadL_ZNS_11silu_kernelIfEEfRKT_EELi32EEEvPT0_PS8_PKT1_PS2_il
; %bb.0:
	s_load_dwordx2 s[4:5], s[0:1], 0x10
	s_load_dword s6, s[0:1], 0x20
	s_load_dwordx2 s[8:9], s[0:1], 0x28
	v_mov_b32_e32 v1, s2
	s_load_dwordx2 s[14:15], s[0:1], 0x0
	s_waitcnt lgkmcnt(0)
	global_load_ubyte v1, v1, s[4:5]
	s_add_i32 s3, s6, 1
	s_ashr_i32 s7, s6, 31
	v_mov_b64_e32 v[2:3], s[8:9]
	s_lshr_b32 s8, s3, 31
	s_mul_hi_u32 s4, s6, s2
	s_mul_i32 s9, s7, s2
	s_add_i32 s3, s3, s8
	s_mul_i32 s10, s6, s2
	s_add_i32 s11, s4, s9
	s_lshl_b32 s3, s3, 1
	s_lshl_b64 s[8:9], s[10:11], 1
	s_and_b32 s10, s3, -4
	s_mov_b32 s5, 0
	s_mov_b64 s[12:13], -1
	s_waitcnt vmcnt(0)
	v_readfirstlane_b32 s3, v1
	s_nop 1
	v_mov_b32_e32 v4, s3
	s_sext_i32_i8 s3, s3
	v_readfirstlane_b32 s4, v4
	s_bfe_i64 s[4:5], s[4:5], 0x80000
	s_add_u32 s8, s14, s8
	v_cmp_lt_i64_e32 vcc, s[4:5], v[2:3]
	s_addc_u32 s5, s15, s9
	s_and_b32 s9, s5, 0xffff
	s_cmp_gt_i32 s3, -1
	s_cselect_b64 s[14:15], -1, 0
	s_and_b64 s[14:15], s[14:15], vcc
	s_and_b64 vcc, exec, s[14:15]
	v_lshlrev_b32_e32 v4, 5, v0
	s_cbranch_vccnz .LBB124_5
; %bb.1:
	v_cmp_gt_i32_e32 vcc, s6, v4
	s_and_saveexec_b64 s[12:13], vcc
	s_cbranch_execz .LBB124_4
; %bb.2:
	s_load_dword s3, s[0:1], 0x3c
	s_mov_b32 s15, 0
	s_mov_b32 s20, s15
	;; [unrolled: 1-line block ×3, first 2 shown]
	v_mov_b32_e32 v5, 0
	v_lshlrev_b32_e32 v8, 6, v0
	s_waitcnt lgkmcnt(0)
	s_and_b32 s3, s3, 0xffff
	s_mov_b32 s22, s15
	s_mov_b32 s23, s15
	v_mov_b64_e32 v[0:1], s[20:21]
	s_lshl_b32 s14, s3, 5
	s_lshl_b32 s3, s3, 6
	s_mov_b64 s[16:17], 0
	s_mov_b32 s11, 0x20000
	v_mov_b64_e32 v[2:3], s[22:23]
	v_mov_b64_e32 v[6:7], v[4:5]
.LBB124_3:                              ; =>This Inner Loop Header: Depth=1
	v_lshl_add_u64 v[6:7], s[14:15], 0, v[6:7]
	v_cmp_le_i64_e32 vcc, s[6:7], v[6:7]
	buffer_store_dwordx4 v[0:3], v8, s[8:11], 0 offen
	buffer_store_dwordx4 v[0:3], v8, s[8:11], 16 offen
	;; [unrolled: 1-line block ×4, first 2 shown]
	s_or_b64 s[16:17], vcc, s[16:17]
	v_add_u32_e32 v8, s3, v8
	s_andn2_b64 exec, exec, s[16:17]
	s_cbranch_execnz .LBB124_3
.LBB124_4:
	s_or_b64 exec, exec, s[12:13]
	s_mov_b64 s[12:13], 0
.LBB124_5:
	s_andn2_b64 vcc, exec, s[12:13]
	s_cbranch_vccnz .LBB124_9
; %bb.6:
	v_cmp_gt_i32_e32 vcc, s6, v4
	s_and_saveexec_b64 s[12:13], vcc
	s_cbranch_execz .LBB124_9
; %bb.7:
	s_load_dwordx2 s[18:19], s[0:1], 0x8
	s_load_dwordx2 s[12:13], s[0:1], 0x18
	s_mul_hi_i32 s5, s6, s4
	s_mul_i32 s4, s6, s4
	s_lshl_b64 s[4:5], s[4:5], 3
	s_mov_b32 s11, 0x20000
	s_waitcnt lgkmcnt(0)
	s_add_u32 s12, s12, s4
	s_addc_u32 s3, s13, s5
	s_lshl_b64 s[4:5], s[6:7], 2
	s_add_u32 s16, s12, s4
	s_addc_u32 s4, s3, s5
	s_and_b32 s13, s3, 0xffff
	s_and_b32 s17, s4, 0xffff
	s_mul_i32 s3, s2, s7
	s_mul_hi_u32 s4, s2, s6
	s_add_i32 s3, s4, s3
	s_mul_i32 s2, s2, s6
	s_lshl_b32 s14, s6, 2
	s_lshl_b64 s[2:3], s[2:3], 2
	s_add_u32 s20, s18, s2
	s_addc_u32 s4, s19, s3
	s_lshl_b64 s[2:3], s[6:7], 1
	s_add_u32 s24, s20, s2
	s_addc_u32 s2, s4, s3
	s_and_b32 s21, s4, 0xffff
	s_and_b32 s25, s2, 0xffff
	s_add_u32 s30, s0, 48
	s_mov_b32 s29, 0
	s_mov_b32 s15, s11
	v_mov_b32_e32 v5, 0
	s_addc_u32 s31, s1, 0
	s_mov_b64 s[34:35], 0
	s_mov_b32 s22, s10
	s_mov_b32 s23, s11
	s_movk_i32 s33, 0x50
	s_movk_i32 s36, 0x60
	;; [unrolled: 1-line block ×3, first 2 shown]
	s_mov_b32 s38, 0xbfb8aa3b
	s_mov_b32 s39, 0x42ce8ed0
	;; [unrolled: 1-line block ×3, first 2 shown]
	v_mov_b32_e32 v76, 0x7f800000
	s_mov_b32 s26, s10
	s_mov_b32 s27, s11
.LBB124_8:                              ; =>This Inner Loop Header: Depth=1
	v_lshlrev_b32_e32 v77, 1, v4
	buffer_load_dwordx4 v[6:9], v77, s[24:27], 0 offen
	buffer_load_dwordx4 v[10:13], v77, s[20:23], 0 offen
	;; [unrolled: 1-line block ×8, first 2 shown]
	s_mov_b32 s18, s14
	s_mov_b32 s19, s15
	v_lshlrev_b32_e32 v82, 2, v4
	buffer_load_dwordx4 v[78:81], v82, s[16:19], 64 offen
	s_waitcnt vmcnt(8)
	v_cvt_f32_f16_e32 v0, v6
	v_cvt_f32_f16_sdwa v1, v6 dst_sel:DWORD dst_unused:UNUSED_PAD src0_sel:WORD_1
	v_cvt_f32_f16_e32 v2, v7
	v_cvt_f32_f16_sdwa v3, v7 dst_sel:DWORD dst_unused:UNUSED_PAD src0_sel:WORD_1
	s_waitcnt vmcnt(7)
	v_cvt_f32_f16_e32 v62, v10
	v_cvt_f32_f16_sdwa v63, v10 dst_sel:DWORD dst_unused:UNUSED_PAD src0_sel:WORD_1
	v_cvt_f32_f16_e32 v64, v11
	s_waitcnt vmcnt(1)
	v_cvt_f32_f16_e32 v42, v66
	v_cvt_f32_f16_sdwa v43, v66 dst_sel:DWORD dst_unused:UNUSED_PAD src0_sel:WORD_1
	v_cvt_f32_f16_e32 v44, v67
	v_cvt_f32_f16_sdwa v45, v67 dst_sel:DWORD dst_unused:UNUSED_PAD src0_sel:WORD_1
	;; [unrolled: 2-line block ×4, first 2 shown]
	buffer_load_dwordx4 v[66:69], v82, s[16:19], 0 offen
	v_cvt_f32_f16_sdwa v65, v11 dst_sel:DWORD dst_unused:UNUSED_PAD src0_sel:WORD_1
	v_cvt_f32_f16_e32 v6, v8
	v_cvt_f32_f16_sdwa v7, v8 dst_sel:DWORD dst_unused:UNUSED_PAD src0_sel:WORD_1
	v_cvt_f32_f16_e32 v8, v9
	;; [unrolled: 2-line block ×24, first 2 shown]
	v_cvt_f32_f16_sdwa v33, v33 dst_sel:DWORD dst_unused:UNUSED_PAD src0_sel:WORD_1
	s_waitcnt vmcnt(0)
	v_pk_add_f32 v[0:1], v[66:67], v[0:1]
	v_pk_add_f32 v[2:3], v[68:69], v[2:3]
	buffer_load_dwordx4 v[66:69], v82, s[12:15], 0 offen
	s_waitcnt vmcnt(0)
	v_pk_add_f32 v[74:75], v[66:67], v[62:63]
	v_pk_add_f32 v[72:73], v[68:69], v[64:65]
	buffer_load_dwordx4 v[62:65], v82, s[16:19], 16 offen
	v_cmp_nlt_f32_e32 vcc, s39, v75
	v_cmp_nlt_f32_e64 s[0:1], s39, v74
	v_cmp_ngt_f32_e64 s[2:3], s40, v75
	v_cmp_ngt_f32_e64 s[4:5], s40, v74
	s_waitcnt vmcnt(0)
	v_pk_add_f32 v[6:7], v[62:63], v[6:7]
	v_pk_add_f32 v[8:9], v[64:65], v[8:9]
	buffer_load_dwordx4 v[62:65], v82, s[12:15], 16 offen
	s_waitcnt vmcnt(0)
	v_pk_add_f32 v[70:71], v[62:63], v[10:11]
	v_pk_add_f32 v[68:69], v[64:65], v[56:57]
	buffer_load_dwordx4 v[62:65], v82, s[16:19], 32 offen
	;; [unrolled: 4-line block ×4, first 2 shown]
	s_waitcnt vmcnt(0)
	v_pk_add_f32 v[16:17], v[58:59], v[16:17]
	buffer_load_dwordx4 v[58:61], v82, s[12:15], 48 offen
	v_pk_add_f32 v[14:15], v[56:57], v[14:15]
	s_waitcnt vmcnt(0)
	v_pk_add_f32 v[58:59], v[58:59], v[18:19]
	v_pk_add_f32 v[62:63], v[60:61], v[46:47]
	;; [unrolled: 1-line block ×4, first 2 shown]
	buffer_load_dwordx4 v[46:49], v82, s[12:15], 64 offen
	s_waitcnt vmcnt(0)
	v_pk_add_f32 v[64:65], v[46:47], v[50:51]
	v_pk_add_f32 v[60:61], v[48:49], v[52:53]
	buffer_load_dwordx4 v[46:49], v82, s[16:19], s33 offen
	s_waitcnt vmcnt(0)
	v_pk_add_f32 v[22:23], v[46:47], v[22:23]
	v_pk_add_f32 v[24:25], v[48:49], v[24:25]
	;; [unrolled: 4-line block ×5, first 2 shown]
	buffer_load_dwordx4 v[38:41], v82, s[16:19], s37 offen
	buffer_load_dwordx4 v[44:47], v82, s[12:15], s37 offen
	s_waitcnt vmcnt(1)
	v_pk_add_f32 v[32:33], v[40:41], v[32:33]
	s_waitcnt vmcnt(0)
	v_pk_add_f32 v[40:41], v[44:45], v[36:37]
	v_mul_f32_e32 v36, 0xbfb8aa3b, v74
	v_pk_add_f32 v[30:31], v[38:39], v[30:31]
	v_fma_f32 v37, v74, s38, -v36
	v_rndne_f32_e32 v38, v36
	v_fmac_f32_e32 v37, 0xb2a5705f, v74
	v_sub_f32_e32 v36, v36, v38
	v_add_f32_e32 v36, v36, v37
	v_mul_f32_e32 v37, 0xbfb8aa3b, v75
	v_cvt_i32_f32_e32 v38, v38
	v_exp_f32_e32 v36, v36
	v_fma_f32 v39, v75, s38, -v37
	v_rndne_f32_e32 v44, v37
	v_fmac_f32_e32 v39, 0xb2a5705f, v75
	v_sub_f32_e32 v37, v37, v44
	v_add_f32_e32 v37, v37, v39
	v_ldexp_f32 v36, v36, v38
	v_cvt_i32_f32_e32 v38, v44
	v_exp_f32_e32 v37, v37
	v_pk_add_f32 v[34:35], v[46:47], v[34:35]
	v_cndmask_b32_e64 v36, 0, v36, s[0:1]
	v_cmp_nlt_f32_e64 s[0:1], s39, v72
	v_ldexp_f32 v37, v37, v38
	v_mul_f32_e32 v38, 0xbfb8aa3b, v72
	v_fma_f32 v39, v72, s38, -v38
	v_rndne_f32_e32 v44, v38
	v_fmac_f32_e32 v39, 0xb2a5705f, v72
	v_sub_f32_e32 v38, v38, v44
	v_add_f32_e32 v38, v38, v39
	v_mul_f32_e32 v39, 0xbfb8aa3b, v73
	v_cvt_i32_f32_e32 v44, v44
	v_exp_f32_e32 v38, v38
	v_fma_f32 v45, v73, s38, -v39
	v_rndne_f32_e32 v46, v39
	v_fmac_f32_e32 v45, 0xb2a5705f, v73
	v_sub_f32_e32 v39, v39, v46
	v_add_f32_e32 v39, v39, v45
	v_ldexp_f32 v38, v38, v44
	v_cvt_i32_f32_e32 v44, v46
	v_exp_f32_e32 v39, v39
	v_cndmask_b32_e32 v37, 0, v37, vcc
	v_cmp_nlt_f32_e32 vcc, s39, v73
	v_cndmask_b32_e64 v36, v76, v36, s[4:5]
	v_ldexp_f32 v39, v39, v44
	v_mul_f32_e32 v44, 0xbfb8aa3b, v70
	v_fma_f32 v45, v70, s38, -v44
	v_rndne_f32_e32 v46, v44
	v_fmac_f32_e32 v45, 0xb2a5705f, v70
	v_sub_f32_e32 v44, v44, v46
	v_add_f32_e32 v44, v44, v45
	v_mul_f32_e32 v45, 0xbfb8aa3b, v71
	v_cvt_i32_f32_e32 v46, v46
	v_exp_f32_e32 v44, v44
	v_fma_f32 v47, v71, s38, -v45
	v_rndne_f32_e32 v50, v45
	v_fmac_f32_e32 v47, 0xb2a5705f, v71
	v_sub_f32_e32 v45, v45, v50
	v_add_f32_e32 v45, v45, v47
	v_ldexp_f32 v44, v44, v46
	v_cvt_i32_f32_e32 v46, v50
	v_exp_f32_e32 v45, v45
	v_cndmask_b32_e64 v37, v76, v37, s[2:3]
	v_cmp_ngt_f32_e64 s[2:3], s40, v73
	v_cmp_ngt_f32_e64 s[4:5], s40, v72
	v_cndmask_b32_e64 v38, 0, v38, s[0:1]
	v_cndmask_b32_e32 v39, 0, v39, vcc
	v_ldexp_f32 v45, v45, v46
	v_cmp_nlt_f32_e32 vcc, s39, v71
	v_cmp_nlt_f32_e64 s[0:1], s39, v70
	v_cndmask_b32_e64 v38, v76, v38, s[4:5]
	v_cndmask_b32_e64 v39, v76, v39, s[2:3]
	v_cmp_ngt_f32_e64 s[2:3], s40, v71
	v_cmp_ngt_f32_e64 s[4:5], s40, v70
	v_cndmask_b32_e64 v44, 0, v44, s[0:1]
	v_cndmask_b32_e32 v45, 0, v45, vcc
	v_cndmask_b32_e64 v44, v76, v44, s[4:5]
	v_cndmask_b32_e64 v45, v76, v45, s[2:3]
	v_add_f32_e32 v44, 1.0, v44
	v_add_f32_e32 v45, 1.0, v45
	v_mul_f32_e32 v46, 0xbfb8aa3b, v68
	v_rcp_f32_e32 v44, v44
	v_rcp_f32_e32 v45, v45
	v_fma_f32 v47, v68, s38, -v46
	v_rndne_f32_e32 v50, v46
	v_fmac_f32_e32 v47, 0xb2a5705f, v68
	v_sub_f32_e32 v46, v46, v50
	v_add_f32_e32 v46, v46, v47
	v_mul_f32_e32 v47, 0xbfb8aa3b, v69
	v_cvt_i32_f32_e32 v50, v50
	v_exp_f32_e32 v46, v46
	v_pk_mul_f32 v[44:45], v[70:71], v[44:45]
	v_fma_f32 v51, v69, s38, -v47
	v_rndne_f32_e32 v70, v47
	v_fmac_f32_e32 v51, 0xb2a5705f, v69
	v_sub_f32_e32 v47, v47, v70
	v_add_f32_e32 v47, v47, v51
	v_ldexp_f32 v46, v46, v50
	v_cvt_i32_f32_e32 v50, v70
	v_exp_f32_e32 v47, v47
	v_cmp_nlt_f32_e32 vcc, s39, v69
	v_cmp_nlt_f32_e64 s[0:1], s39, v68
	v_cmp_ngt_f32_e64 s[2:3], s40, v69
	v_ldexp_f32 v47, v47, v50
	v_cmp_ngt_f32_e64 s[4:5], s40, v68
	v_cndmask_b32_e64 v46, 0, v46, s[0:1]
	v_cndmask_b32_e32 v47, 0, v47, vcc
	v_cndmask_b32_e64 v46, v76, v46, s[4:5]
	v_cndmask_b32_e64 v47, v76, v47, s[2:3]
	v_add_f32_e32 v46, 1.0, v46
	v_add_f32_e32 v47, 1.0, v47
	v_rcp_f32_e32 v46, v46
	v_rcp_f32_e32 v47, v47
	v_mul_f32_e32 v50, 0xbfb8aa3b, v66
	v_fma_f32 v51, v66, s38, -v50
	v_fmac_f32_e32 v51, 0xb2a5705f, v66
	v_pk_mul_f32 v[46:47], v[68:69], v[46:47]
	v_rndne_f32_e32 v68, v50
	v_sub_f32_e32 v50, v50, v68
	v_add_f32_e32 v50, v50, v51
	v_mul_f32_e32 v51, 0xbfb8aa3b, v67
	v_cvt_i32_f32_e32 v68, v68
	v_exp_f32_e32 v50, v50
	v_fma_f32 v69, v67, s38, -v51
	v_rndne_f32_e32 v70, v51
	v_fmac_f32_e32 v69, 0xb2a5705f, v67
	v_sub_f32_e32 v51, v51, v70
	v_add_f32_e32 v51, v51, v69
	v_ldexp_f32 v50, v50, v68
	v_cvt_i32_f32_e32 v68, v70
	v_exp_f32_e32 v51, v51
	v_cmp_nlt_f32_e32 vcc, s39, v67
	v_cmp_nlt_f32_e64 s[0:1], s39, v66
	v_cmp_ngt_f32_e64 s[2:3], s40, v67
	v_ldexp_f32 v51, v51, v68
	v_cmp_ngt_f32_e64 s[4:5], s40, v66
	v_cndmask_b32_e64 v50, 0, v50, s[0:1]
	v_cndmask_b32_e32 v51, 0, v51, vcc
	v_cndmask_b32_e64 v50, v76, v50, s[4:5]
	v_cndmask_b32_e64 v51, v76, v51, s[2:3]
	v_add_f32_e32 v50, 1.0, v50
	v_add_f32_e32 v51, 1.0, v51
	v_rcp_f32_e32 v50, v50
	v_rcp_f32_e32 v51, v51
	v_cmp_nlt_f32_e32 vcc, s39, v55
	v_cmp_nlt_f32_e64 s[0:1], s39, v54
	v_cmp_ngt_f32_e64 s[2:3], s40, v55
	v_pk_mul_f32 v[50:51], v[66:67], v[50:51]
	v_mul_f32_e32 v66, 0xbfb8aa3b, v54
	v_fma_f32 v67, v54, s38, -v66
	v_rndne_f32_e32 v68, v66
	v_fmac_f32_e32 v67, 0xb2a5705f, v54
	v_sub_f32_e32 v66, v66, v68
	v_add_f32_e32 v66, v66, v67
	v_mul_f32_e32 v67, 0xbfb8aa3b, v55
	v_cvt_i32_f32_e32 v68, v68
	v_exp_f32_e32 v66, v66
	v_fma_f32 v69, v55, s38, -v67
	v_rndne_f32_e32 v70, v67
	v_fmac_f32_e32 v69, 0xb2a5705f, v55
	v_sub_f32_e32 v67, v67, v70
	v_add_f32_e32 v67, v67, v69
	v_ldexp_f32 v66, v66, v68
	v_cvt_i32_f32_e32 v68, v70
	v_exp_f32_e32 v67, v67
	v_cmp_ngt_f32_e64 s[4:5], s40, v54
	v_cndmask_b32_e64 v66, 0, v66, s[0:1]
	v_cmp_nlt_f32_e64 s[0:1], s39, v58
	v_ldexp_f32 v67, v67, v68
	v_cndmask_b32_e32 v67, 0, v67, vcc
	v_cndmask_b32_e64 v66, v76, v66, s[4:5]
	v_cndmask_b32_e64 v67, v76, v67, s[2:3]
	v_add_f32_e32 v66, 1.0, v66
	v_add_f32_e32 v67, 1.0, v67
	v_rcp_f32_e32 v66, v66
	v_rcp_f32_e32 v67, v67
	v_cmp_nlt_f32_e32 vcc, s39, v59
	v_cmp_ngt_f32_e64 s[2:3], s40, v59
	v_cmp_ngt_f32_e64 s[4:5], s40, v58
	v_pk_mul_f32 v[54:55], v[54:55], v[66:67]
	v_mul_f32_e32 v66, 0xbfb8aa3b, v58
	v_fma_f32 v67, v58, s38, -v66
	v_rndne_f32_e32 v68, v66
	v_fmac_f32_e32 v67, 0xb2a5705f, v58
	v_sub_f32_e32 v66, v66, v68
	v_add_f32_e32 v66, v66, v67
	v_mul_f32_e32 v67, 0xbfb8aa3b, v59
	v_cvt_i32_f32_e32 v68, v68
	v_exp_f32_e32 v66, v66
	v_fma_f32 v69, v59, s38, -v67
	v_rndne_f32_e32 v70, v67
	v_fmac_f32_e32 v69, 0xb2a5705f, v59
	v_sub_f32_e32 v67, v67, v70
	v_add_f32_e32 v67, v67, v69
	v_ldexp_f32 v66, v66, v68
	v_cvt_i32_f32_e32 v68, v70
	v_exp_f32_e32 v67, v67
	v_cndmask_b32_e64 v66, 0, v66, s[0:1]
	v_cndmask_b32_e64 v66, v76, v66, s[4:5]
	v_add_f32_e32 v66, 1.0, v66
	v_ldexp_f32 v67, v67, v68
	v_cndmask_b32_e32 v67, 0, v67, vcc
	v_cndmask_b32_e64 v67, v76, v67, s[2:3]
	v_add_f32_e32 v67, 1.0, v67
	v_rcp_f32_e32 v66, v66
	v_rcp_f32_e32 v67, v67
	v_cmp_nlt_f32_e32 vcc, s39, v63
	v_cmp_nlt_f32_e64 s[0:1], s39, v62
	v_cmp_ngt_f32_e64 s[2:3], s40, v63
	v_pk_mul_f32 v[58:59], v[58:59], v[66:67]
	v_mul_f32_e32 v66, 0xbfb8aa3b, v62
	v_fma_f32 v67, v62, s38, -v66
	v_rndne_f32_e32 v68, v66
	v_fmac_f32_e32 v67, 0xb2a5705f, v62
	v_sub_f32_e32 v66, v66, v68
	v_add_f32_e32 v66, v66, v67
	v_mul_f32_e32 v67, 0xbfb8aa3b, v63
	v_cvt_i32_f32_e32 v68, v68
	v_exp_f32_e32 v66, v66
	v_fma_f32 v69, v63, s38, -v67
	v_rndne_f32_e32 v70, v67
	v_fmac_f32_e32 v69, 0xb2a5705f, v63
	v_sub_f32_e32 v67, v67, v70
	v_add_f32_e32 v67, v67, v69
	v_ldexp_f32 v66, v66, v68
	v_cvt_i32_f32_e32 v68, v70
	v_exp_f32_e32 v67, v67
	v_cmp_ngt_f32_e64 s[4:5], s40, v62
	v_cndmask_b32_e64 v66, 0, v66, s[0:1]
	v_cmp_nlt_f32_e64 s[0:1], s39, v64
	v_ldexp_f32 v67, v67, v68
	v_cndmask_b32_e32 v67, 0, v67, vcc
	v_cndmask_b32_e64 v66, v76, v66, s[4:5]
	v_cndmask_b32_e64 v67, v76, v67, s[2:3]
	v_add_f32_e32 v66, 1.0, v66
	v_add_f32_e32 v67, 1.0, v67
	v_rcp_f32_e32 v66, v66
	v_rcp_f32_e32 v67, v67
	v_cmp_nlt_f32_e32 vcc, s39, v65
	v_cmp_ngt_f32_e64 s[2:3], s40, v65
	v_cmp_ngt_f32_e64 s[4:5], s40, v64
	v_pk_mul_f32 v[62:63], v[62:63], v[66:67]
	v_mul_f32_e32 v66, 0xbfb8aa3b, v64
	v_fma_f32 v67, v64, s38, -v66
	v_rndne_f32_e32 v68, v66
	v_fmac_f32_e32 v67, 0xb2a5705f, v64
	v_sub_f32_e32 v66, v66, v68
	v_add_f32_e32 v66, v66, v67
	v_mul_f32_e32 v67, 0xbfb8aa3b, v65
	v_cvt_i32_f32_e32 v68, v68
	v_exp_f32_e32 v66, v66
	v_fma_f32 v69, v65, s38, -v67
	v_rndne_f32_e32 v70, v67
	v_fmac_f32_e32 v69, 0xb2a5705f, v65
	v_sub_f32_e32 v67, v67, v70
	v_add_f32_e32 v67, v67, v69
	v_ldexp_f32 v66, v66, v68
	v_cvt_i32_f32_e32 v68, v70
	v_exp_f32_e32 v67, v67
	v_cndmask_b32_e64 v66, 0, v66, s[0:1]
	v_cndmask_b32_e64 v66, v76, v66, s[4:5]
	v_add_f32_e32 v66, 1.0, v66
	v_ldexp_f32 v67, v67, v68
	v_cndmask_b32_e32 v67, 0, v67, vcc
	v_cndmask_b32_e64 v67, v76, v67, s[2:3]
	;; [unrolled: 62-line block ×5, first 2 shown]
	v_add_f32_e32 v67, 1.0, v67
	v_rcp_f32_e32 v66, v66
	v_rcp_f32_e32 v67, v67
	v_cmp_nlt_f32_e32 vcc, s39, v35
	v_cmp_nlt_f32_e64 s[0:1], s39, v34
	v_cmp_ngt_f32_e64 s[2:3], s40, v35
	v_pk_mul_f32 v[40:41], v[40:41], v[66:67]
	v_mul_f32_e32 v66, 0xbfb8aa3b, v34
	v_fma_f32 v67, v34, s38, -v66
	v_rndne_f32_e32 v68, v66
	v_fmac_f32_e32 v67, 0xb2a5705f, v34
	v_sub_f32_e32 v66, v66, v68
	v_add_f32_e32 v66, v66, v67
	v_mul_f32_e32 v67, 0xbfb8aa3b, v35
	v_cvt_i32_f32_e32 v68, v68
	v_exp_f32_e32 v66, v66
	v_fma_f32 v69, v35, s38, -v67
	v_rndne_f32_e32 v70, v67
	v_fmac_f32_e32 v69, 0xb2a5705f, v35
	v_sub_f32_e32 v67, v67, v70
	v_add_f32_e32 v67, v67, v69
	v_ldexp_f32 v66, v66, v68
	v_cvt_i32_f32_e32 v68, v70
	v_exp_f32_e32 v67, v67
	v_cmp_ngt_f32_e64 s[4:5], s40, v34
	v_cndmask_b32_e64 v66, 0, v66, s[0:1]
	v_add_f32_e32 v36, 1.0, v36
	v_ldexp_f32 v67, v67, v68
	v_cndmask_b32_e32 v67, 0, v67, vcc
	v_cndmask_b32_e64 v66, v76, v66, s[4:5]
	v_cndmask_b32_e64 v67, v76, v67, s[2:3]
	v_add_f32_e32 v37, 1.0, v37
	v_add_f32_e32 v38, 1.0, v38
	v_add_f32_e32 v39, 1.0, v39
	v_add_f32_e32 v66, 1.0, v66
	v_add_f32_e32 v67, 1.0, v67
	v_rcp_f32_e32 v36, v36
	v_rcp_f32_e32 v37, v37
	;; [unrolled: 1-line block ×6, first 2 shown]
	v_pk_mul_f32 v[36:37], v[74:75], v[36:37]
	v_pk_mul_f32 v[38:39], v[72:73], v[38:39]
	;;#ASMSTART
	v_pk_mul_f32 v[0:1], v[36:37], v[0:1]
	;;#ASMEND
	v_pk_mul_f32 v[34:35], v[34:35], v[66:67]
	;;#ASMSTART
	v_pk_mul_f32 v[2:3], v[38:39], v[2:3]
	;;#ASMEND
	;;#ASMSTART
	v_pk_mul_f32 v[6:7], v[44:45], v[6:7]
	;;#ASMEND
	;; [unrolled: 3-line block ×14, first 2 shown]
	s_nop 0
	;;#ASMSTART
	v_pk_mul_f32 v[32:33], v[34:35], v[32:33]
	;;#ASMEND
	s_load_dword s0, s[30:31], 0xc
	v_cvt_f16_f32_e32 v0, v0
	v_cvt_f16_f32_e32 v34, v1
	;; [unrolled: 1-line block ×32, first 2 shown]
	s_waitcnt lgkmcnt(0)
	s_and_b32 s0, s0, 0xffff
	s_lshl_b32 s28, s0, 5
	v_lshl_add_u64 v[4:5], s[28:29], 0, v[4:5]
	v_cmp_le_i64_e32 vcc, s[6:7], v[4:5]
	v_pack_b32_f16 v1, v1, v2
	v_pack_b32_f16 v3, v3, v8
	;; [unrolled: 1-line block ×13, first 2 shown]
	s_or_b64 s[34:35], vcc, s[34:35]
	v_pack_b32_f16 v11, v19, v20
	v_pack_b32_f16 v13, v23, v24
	;; [unrolled: 1-line block ×3, first 2 shown]
	buffer_store_dwordx4 v[0:3], v77, s[8:11], 0 offen
	buffer_store_dwordx4 v[6:9], v77, s[8:11], 16 offen
	;; [unrolled: 1-line block ×4, first 2 shown]
	s_andn2_b64 exec, exec, s[34:35]
	s_cbranch_execnz .LBB124_8
.LBB124_9:
	s_endpgm
	.section	.rodata,"a",@progbits
	.p2align	6, 0x0
	.amdhsa_kernel _ZN5aiter23act_and_mul_bias_kernelIDF16_DF16_afTnPFfRKT2_EXadL_ZNS_11silu_kernelIfEEfRKT_EELi32EEEvPT0_PS8_PKT1_PS2_il
		.amdhsa_group_segment_fixed_size 0
		.amdhsa_private_segment_fixed_size 0
		.amdhsa_kernarg_size 304
		.amdhsa_user_sgpr_count 2
		.amdhsa_user_sgpr_dispatch_ptr 0
		.amdhsa_user_sgpr_queue_ptr 0
		.amdhsa_user_sgpr_kernarg_segment_ptr 1
		.amdhsa_user_sgpr_dispatch_id 0
		.amdhsa_user_sgpr_kernarg_preload_length 0
		.amdhsa_user_sgpr_kernarg_preload_offset 0
		.amdhsa_user_sgpr_private_segment_size 0
		.amdhsa_uses_dynamic_stack 0
		.amdhsa_enable_private_segment 0
		.amdhsa_system_sgpr_workgroup_id_x 1
		.amdhsa_system_sgpr_workgroup_id_y 0
		.amdhsa_system_sgpr_workgroup_id_z 0
		.amdhsa_system_sgpr_workgroup_info 0
		.amdhsa_system_vgpr_workitem_id 0
		.amdhsa_next_free_vgpr 83
		.amdhsa_next_free_sgpr 41
		.amdhsa_accum_offset 84
		.amdhsa_reserve_vcc 1
		.amdhsa_float_round_mode_32 0
		.amdhsa_float_round_mode_16_64 0
		.amdhsa_float_denorm_mode_32 3
		.amdhsa_float_denorm_mode_16_64 3
		.amdhsa_dx10_clamp 1
		.amdhsa_ieee_mode 1
		.amdhsa_fp16_overflow 0
		.amdhsa_tg_split 0
		.amdhsa_exception_fp_ieee_invalid_op 0
		.amdhsa_exception_fp_denorm_src 0
		.amdhsa_exception_fp_ieee_div_zero 0
		.amdhsa_exception_fp_ieee_overflow 0
		.amdhsa_exception_fp_ieee_underflow 0
		.amdhsa_exception_fp_ieee_inexact 0
		.amdhsa_exception_int_div_zero 0
	.end_amdhsa_kernel
	.section	.text._ZN5aiter23act_and_mul_bias_kernelIDF16_DF16_afTnPFfRKT2_EXadL_ZNS_11silu_kernelIfEEfRKT_EELi32EEEvPT0_PS8_PKT1_PS2_il,"axG",@progbits,_ZN5aiter23act_and_mul_bias_kernelIDF16_DF16_afTnPFfRKT2_EXadL_ZNS_11silu_kernelIfEEfRKT_EELi32EEEvPT0_PS8_PKT1_PS2_il,comdat
.Lfunc_end124:
	.size	_ZN5aiter23act_and_mul_bias_kernelIDF16_DF16_afTnPFfRKT2_EXadL_ZNS_11silu_kernelIfEEfRKT_EELi32EEEvPT0_PS8_PKT1_PS2_il, .Lfunc_end124-_ZN5aiter23act_and_mul_bias_kernelIDF16_DF16_afTnPFfRKT2_EXadL_ZNS_11silu_kernelIfEEfRKT_EELi32EEEvPT0_PS8_PKT1_PS2_il
                                        ; -- End function
	.section	.AMDGPU.csdata,"",@progbits
; Kernel info:
; codeLenInByte = 4916
; NumSgprs: 47
; NumVgprs: 83
; NumAgprs: 0
; TotalNumVgprs: 83
; ScratchSize: 0
; MemoryBound: 0
; FloatMode: 240
; IeeeMode: 1
; LDSByteSize: 0 bytes/workgroup (compile time only)
; SGPRBlocks: 5
; VGPRBlocks: 10
; NumSGPRsForWavesPerEU: 47
; NumVGPRsForWavesPerEU: 83
; AccumOffset: 84
; Occupancy: 5
; WaveLimiterHint : 0
; COMPUTE_PGM_RSRC2:SCRATCH_EN: 0
; COMPUTE_PGM_RSRC2:USER_SGPR: 2
; COMPUTE_PGM_RSRC2:TRAP_HANDLER: 0
; COMPUTE_PGM_RSRC2:TGID_X_EN: 1
; COMPUTE_PGM_RSRC2:TGID_Y_EN: 0
; COMPUTE_PGM_RSRC2:TGID_Z_EN: 0
; COMPUTE_PGM_RSRC2:TIDIG_COMP_CNT: 0
; COMPUTE_PGM_RSRC3_GFX90A:ACCUM_OFFSET: 20
; COMPUTE_PGM_RSRC3_GFX90A:TG_SPLIT: 0
	.section	.text._ZN5aiter23act_and_mul_bias_kernelIDF16_DF16_afTnPFfRKT2_EXadL_ZNS_11silu_kernelIfEEfRKT_EELi16EEEvPT0_PS8_PKT1_PS2_il,"axG",@progbits,_ZN5aiter23act_and_mul_bias_kernelIDF16_DF16_afTnPFfRKT2_EXadL_ZNS_11silu_kernelIfEEfRKT_EELi16EEEvPT0_PS8_PKT1_PS2_il,comdat
	.protected	_ZN5aiter23act_and_mul_bias_kernelIDF16_DF16_afTnPFfRKT2_EXadL_ZNS_11silu_kernelIfEEfRKT_EELi16EEEvPT0_PS8_PKT1_PS2_il ; -- Begin function _ZN5aiter23act_and_mul_bias_kernelIDF16_DF16_afTnPFfRKT2_EXadL_ZNS_11silu_kernelIfEEfRKT_EELi16EEEvPT0_PS8_PKT1_PS2_il
	.globl	_ZN5aiter23act_and_mul_bias_kernelIDF16_DF16_afTnPFfRKT2_EXadL_ZNS_11silu_kernelIfEEfRKT_EELi16EEEvPT0_PS8_PKT1_PS2_il
	.p2align	8
	.type	_ZN5aiter23act_and_mul_bias_kernelIDF16_DF16_afTnPFfRKT2_EXadL_ZNS_11silu_kernelIfEEfRKT_EELi16EEEvPT0_PS8_PKT1_PS2_il,@function
_ZN5aiter23act_and_mul_bias_kernelIDF16_DF16_afTnPFfRKT2_EXadL_ZNS_11silu_kernelIfEEfRKT_EELi16EEEvPT0_PS8_PKT1_PS2_il: ; @_ZN5aiter23act_and_mul_bias_kernelIDF16_DF16_afTnPFfRKT2_EXadL_ZNS_11silu_kernelIfEEfRKT_EELi16EEEvPT0_PS8_PKT1_PS2_il
; %bb.0:
	s_load_dwordx2 s[4:5], s[0:1], 0x10
	s_load_dword s24, s[0:1], 0x20
	s_load_dwordx2 s[6:7], s[0:1], 0x28
	v_mov_b32_e32 v1, s2
	s_mov_b32 s9, 0
	s_waitcnt lgkmcnt(0)
	global_load_ubyte v1, v1, s[4:5]
	s_add_i32 s3, s24, 1
	v_mov_b64_e32 v[2:3], s[6:7]
	s_lshr_b32 s6, s3, 31
	s_add_i32 s3, s3, s6
	s_load_dwordx2 s[4:5], s[0:1], 0x0
	s_lshl_b32 s3, s3, 1
	s_ashr_i32 s25, s24, 31
	s_and_b32 s6, s3, -4
	s_mul_hi_u32 s8, s24, s2
	s_mul_i32 s7, s25, s2
	s_mul_i32 s12, s24, s2
	s_add_i32 s13, s8, s7
	s_lshl_b64 s[12:13], s[12:13], 1
	s_mov_b64 s[10:11], -1
	v_lshlrev_b32_e32 v44, 4, v0
	s_waitcnt vmcnt(0)
	v_readfirstlane_b32 s3, v1
	s_nop 1
	v_mov_b32_e32 v4, s3
	s_sext_i32_i8 s3, s3
	v_readfirstlane_b32 s8, v4
	s_bfe_i64 s[8:9], s[8:9], 0x80000
	s_waitcnt lgkmcnt(0)
	s_add_u32 s4, s4, s12
	s_addc_u32 s5, s5, s13
	s_and_b32 s5, s5, 0xffff
	s_cmp_gt_i32 s3, -1
	v_cmp_lt_i64_e32 vcc, s[8:9], v[2:3]
	s_cselect_b64 s[12:13], -1, 0
	s_and_b64 s[12:13], s[12:13], vcc
	s_and_b64 vcc, exec, s[12:13]
	s_cbranch_vccnz .LBB125_5
; %bb.1:
	v_cmp_gt_i32_e32 vcc, s24, v44
	s_and_saveexec_b64 s[10:11], vcc
	s_cbranch_execz .LBB125_4
; %bb.2:
	s_load_dword s3, s[0:1], 0x3c
	s_mov_b32 s13, 0
	s_mov_b32 s16, s13
	;; [unrolled: 1-line block ×3, first 2 shown]
	v_mov_b32_e32 v45, 0
	v_lshlrev_b32_e32 v6, 5, v0
	s_waitcnt lgkmcnt(0)
	s_and_b32 s3, s3, 0xffff
	s_mov_b32 s18, s13
	s_mov_b32 s19, s13
	v_mov_b64_e32 v[0:1], s[16:17]
	s_lshl_b32 s12, s3, 4
	s_lshl_b32 s3, s3, 5
	s_mov_b64 s[14:15], 0
	s_mov_b32 s7, 0x20000
	v_mov_b64_e32 v[2:3], s[18:19]
	v_mov_b64_e32 v[4:5], v[44:45]
.LBB125_3:                              ; =>This Inner Loop Header: Depth=1
	v_lshl_add_u64 v[4:5], s[12:13], 0, v[4:5]
	v_cmp_le_i64_e32 vcc, s[24:25], v[4:5]
	buffer_store_dwordx4 v[0:3], v6, s[4:7], 0 offen
	buffer_store_dwordx4 v[0:3], v6, s[4:7], 16 offen
	s_or_b64 s[14:15], vcc, s[14:15]
	v_add_u32_e32 v6, s3, v6
	s_andn2_b64 exec, exec, s[14:15]
	s_cbranch_execnz .LBB125_3
.LBB125_4:
	s_or_b64 exec, exec, s[10:11]
	s_mov_b64 s[10:11], 0
.LBB125_5:
	s_andn2_b64 vcc, exec, s[10:11]
	s_cbranch_vccnz .LBB125_9
; %bb.6:
	v_cmp_gt_i32_e32 vcc, s24, v44
	s_and_saveexec_b64 s[10:11], vcc
	s_cbranch_execz .LBB125_9
; %bb.7:
	s_load_dwordx2 s[10:11], s[0:1], 0x8
	s_load_dwordx2 s[12:13], s[0:1], 0x18
	s_mul_hi_i32 s9, s24, s8
	s_mul_i32 s8, s24, s8
	s_lshl_b64 s[8:9], s[8:9], 3
	s_mul_i32 s16, s2, s25
	s_waitcnt lgkmcnt(0)
	s_add_u32 s8, s12, s8
	s_addc_u32 s7, s13, s9
	s_lshl_b64 s[12:13], s[24:25], 2
	s_add_u32 s12, s8, s12
	s_mul_hi_u32 s17, s2, s24
	s_addc_u32 s13, s7, s13
	s_add_i32 s17, s17, s16
	s_mul_i32 s16, s2, s24
	s_lshl_b32 s14, s24, 2
	s_and_b32 s9, s7, 0xffff
	s_and_b32 s13, s13, 0xffff
	s_lshl_b64 s[16:17], s[16:17], 2
	s_add_u32 s16, s10, s16
	s_addc_u32 s2, s11, s17
	s_lshl_b64 s[10:11], s[24:25], 1
	s_add_u32 s20, s16, s10
	s_addc_u32 s10, s2, s11
	s_and_b32 s17, s2, 0xffff
	s_and_b32 s21, s10, 0xffff
	s_mov_b32 s7, 0x20000
	s_add_u32 s0, s0, 48
	s_mov_b32 s3, 0
	s_mov_b32 s15, s7
	v_mov_b32_e32 v45, 0
	s_addc_u32 s1, s1, 0
	s_mov_b64 s[26:27], 0
	s_mov_b32 s18, s6
	s_mov_b32 s19, s7
	;; [unrolled: 1-line block ×5, first 2 shown]
	v_mov_b32_e32 v46, 0x7f800000
	s_mov_b32 s22, s6
	s_mov_b32 s23, s7
	;; [unrolled: 1-line block ×4, first 2 shown]
.LBB125_8:                              ; =>This Inner Loop Header: Depth=1
	v_lshlrev_b32_e32 v47, 1, v44
	buffer_load_dwordx4 v[24:27], v47, s[16:19], 0 offen
	buffer_load_dwordx4 v[4:7], v47, s[16:19], 16 offen
	;; [unrolled: 1-line block ×4, first 2 shown]
	v_lshlrev_b32_e32 v52, 2, v44
	buffer_load_dwordx4 v[40:43], v52, s[8:11], 0 offen
	buffer_load_dwordx4 v[28:31], v52, s[8:11], 16 offen
	;; [unrolled: 1-line block ×8, first 2 shown]
	s_waitcnt vmcnt(9)
	v_cvt_f32_f16_e32 v52, v32
	v_cvt_f32_f16_sdwa v53, v32 dst_sel:DWORD dst_unused:UNUSED_PAD src0_sel:WORD_1
	s_waitcnt vmcnt(3)
	v_pk_add_f32 v[48:49], v[48:49], v[52:53]
	v_cvt_f32_f16_e32 v52, v24
	v_cvt_f32_f16_sdwa v53, v24 dst_sel:DWORD dst_unused:UNUSED_PAD src0_sel:WORD_1
	v_pk_add_f32 v[40:41], v[40:41], v[52:53]
	s_nop 0
	v_mul_f32_e32 v24, 0xbfb8aa3b, v40
	v_fma_f32 v32, v40, s28, -v24
	v_rndne_f32_e32 v52, v24
	v_fmac_f32_e32 v32, 0xb2a5705f, v40
	v_sub_f32_e32 v24, v24, v52
	v_add_f32_e32 v24, v24, v32
	v_exp_f32_e32 v24, v24
	v_cvt_i32_f32_e32 v32, v52
	v_cmp_nlt_f32_e32 vcc, s29, v40
	v_ldexp_f32 v24, v24, v32
	s_nop 0
	v_cndmask_b32_e32 v24, 0, v24, vcc
	v_cmp_ngt_f32_e32 vcc, s30, v40
	s_nop 1
	v_cndmask_b32_e32 v24, v46, v24, vcc
	v_add_f32_e32 v24, 1.0, v24
	v_rcp_f32_e32 v52, v24
	v_mul_f32_e32 v24, 0xbfb8aa3b, v41
	v_fma_f32 v32, v41, s28, -v24
	v_rndne_f32_e32 v53, v24
	v_fmac_f32_e32 v32, 0xb2a5705f, v41
	v_sub_f32_e32 v24, v24, v53
	v_add_f32_e32 v24, v24, v32
	v_exp_f32_e32 v24, v24
	v_cvt_i32_f32_e32 v32, v53
	v_cmp_nlt_f32_e32 vcc, s29, v41
	v_ldexp_f32 v24, v24, v32
	s_nop 0
	v_cndmask_b32_e32 v24, 0, v24, vcc
	v_cmp_ngt_f32_e32 vcc, s30, v41
	s_nop 1
	v_cndmask_b32_e32 v24, v46, v24, vcc
	v_add_f32_e32 v24, 1.0, v24
	v_rcp_f32_e32 v53, v24
	s_nop 0
	v_pk_mul_f32 v[40:41], v[40:41], v[52:53]
	s_nop 0
	;;#ASMSTART
	v_pk_mul_f32 v[40:41], v[40:41], v[48:49]
	;;#ASMEND
	v_cvt_f32_f16_e32 v48, v25
	v_cvt_f32_f16_sdwa v49, v25 dst_sel:DWORD dst_unused:UNUSED_PAD src0_sel:WORD_1
	v_cvt_f16_f32_e32 v24, v40
	v_cvt_f16_f32_e32 v32, v41
	v_cvt_f32_f16_e32 v40, v33
	v_pk_add_f32 v[42:43], v[42:43], v[48:49]
	v_cvt_f32_f16_sdwa v41, v33 dst_sel:DWORD dst_unused:UNUSED_PAD src0_sel:WORD_1
	v_mul_f32_e32 v25, 0xbfb8aa3b, v42
	v_fma_f32 v33, v42, s28, -v25
	v_rndne_f32_e32 v48, v25
	v_fmac_f32_e32 v33, 0xb2a5705f, v42
	v_sub_f32_e32 v25, v25, v48
	v_add_f32_e32 v25, v25, v33
	v_exp_f32_e32 v25, v25
	v_cvt_i32_f32_e32 v33, v48
	v_cmp_nlt_f32_e32 vcc, s29, v42
	v_pk_add_f32 v[40:41], v[50:51], v[40:41]
	v_ldexp_f32 v25, v25, v33
	v_cndmask_b32_e32 v25, 0, v25, vcc
	v_cmp_ngt_f32_e32 vcc, s30, v42
	s_nop 1
	v_cndmask_b32_e32 v25, v46, v25, vcc
	v_add_f32_e32 v25, 1.0, v25
	v_rcp_f32_e32 v48, v25
	v_mul_f32_e32 v25, 0xbfb8aa3b, v43
	v_fma_f32 v33, v43, s28, -v25
	v_rndne_f32_e32 v49, v25
	v_fmac_f32_e32 v33, 0xb2a5705f, v43
	v_sub_f32_e32 v25, v25, v49
	v_add_f32_e32 v25, v25, v33
	v_exp_f32_e32 v25, v25
	v_cvt_i32_f32_e32 v33, v49
	v_cmp_nlt_f32_e32 vcc, s29, v43
	v_ldexp_f32 v25, v25, v33
	s_nop 0
	v_cndmask_b32_e32 v25, 0, v25, vcc
	v_cmp_ngt_f32_e32 vcc, s30, v43
	s_nop 1
	v_cndmask_b32_e32 v25, v46, v25, vcc
	v_add_f32_e32 v25, 1.0, v25
	v_rcp_f32_e32 v49, v25
	s_nop 0
	v_pk_mul_f32 v[42:43], v[42:43], v[48:49]
	s_nop 0
	;;#ASMSTART
	v_pk_mul_f32 v[40:41], v[42:43], v[40:41]
	;;#ASMEND
	s_nop 0
	v_cvt_f16_f32_e32 v25, v40
	v_cvt_f16_f32_e32 v33, v41
	v_cvt_f32_f16_e32 v40, v34
	v_cvt_f32_f16_sdwa v41, v34 dst_sel:DWORD dst_unused:UNUSED_PAD src0_sel:WORD_1
	s_waitcnt vmcnt(2)
	v_pk_add_f32 v[36:37], v[36:37], v[40:41]
	v_cvt_f32_f16_e32 v40, v26
	v_cvt_f32_f16_sdwa v41, v26 dst_sel:DWORD dst_unused:UNUSED_PAD src0_sel:WORD_1
	v_pk_add_f32 v[28:29], v[28:29], v[40:41]
	s_nop 0
	v_mul_f32_e32 v26, 0xbfb8aa3b, v28
	v_fma_f32 v34, v28, s28, -v26
	v_rndne_f32_e32 v40, v26
	v_fmac_f32_e32 v34, 0xb2a5705f, v28
	v_sub_f32_e32 v26, v26, v40
	v_add_f32_e32 v26, v26, v34
	v_exp_f32_e32 v26, v26
	v_cvt_i32_f32_e32 v34, v40
	v_cmp_nlt_f32_e32 vcc, s29, v28
	v_ldexp_f32 v26, v26, v34
	s_nop 0
	v_cndmask_b32_e32 v26, 0, v26, vcc
	v_cmp_ngt_f32_e32 vcc, s30, v28
	s_nop 1
	v_cndmask_b32_e32 v26, v46, v26, vcc
	v_add_f32_e32 v26, 1.0, v26
	v_rcp_f32_e32 v40, v26
	v_mul_f32_e32 v26, 0xbfb8aa3b, v29
	v_fma_f32 v34, v29, s28, -v26
	v_rndne_f32_e32 v41, v26
	v_fmac_f32_e32 v34, 0xb2a5705f, v29
	v_sub_f32_e32 v26, v26, v41
	v_add_f32_e32 v26, v26, v34
	v_exp_f32_e32 v26, v26
	v_cvt_i32_f32_e32 v34, v41
	v_cmp_nlt_f32_e32 vcc, s29, v29
	v_ldexp_f32 v26, v26, v34
	s_nop 0
	v_cndmask_b32_e32 v26, 0, v26, vcc
	v_cmp_ngt_f32_e32 vcc, s30, v29
	v_cvt_f32_f16_e32 v34, v35
	v_cvt_f32_f16_sdwa v35, v35 dst_sel:DWORD dst_unused:UNUSED_PAD src0_sel:WORD_1
	v_cndmask_b32_e32 v26, v46, v26, vcc
	v_add_f32_e32 v26, 1.0, v26
	v_rcp_f32_e32 v41, v26
	v_pk_add_f32 v[34:35], v[38:39], v[34:35]
	v_pk_mul_f32 v[28:29], v[28:29], v[40:41]
	s_nop 0
	;;#ASMSTART
	v_pk_mul_f32 v[28:29], v[28:29], v[36:37]
	;;#ASMEND
	v_cvt_f32_f16_e32 v36, v27
	v_cvt_f32_f16_sdwa v37, v27 dst_sel:DWORD dst_unused:UNUSED_PAD src0_sel:WORD_1
	v_cvt_f16_f32_e32 v26, v28
	v_cvt_f16_f32_e32 v28, v29
	v_pk_add_f32 v[30:31], v[30:31], v[36:37]
	s_nop 0
	v_mul_f32_e32 v27, 0xbfb8aa3b, v30
	v_fma_f32 v29, v30, s28, -v27
	v_rndne_f32_e32 v36, v27
	v_fmac_f32_e32 v29, 0xb2a5705f, v30
	v_sub_f32_e32 v27, v27, v36
	v_add_f32_e32 v27, v27, v29
	v_exp_f32_e32 v27, v27
	v_cvt_i32_f32_e32 v29, v36
	v_cmp_nlt_f32_e32 vcc, s29, v30
	v_ldexp_f32 v27, v27, v29
	s_nop 0
	v_cndmask_b32_e32 v27, 0, v27, vcc
	v_cmp_ngt_f32_e32 vcc, s30, v30
	s_nop 1
	v_cndmask_b32_e32 v27, v46, v27, vcc
	v_add_f32_e32 v27, 1.0, v27
	v_rcp_f32_e32 v36, v27
	v_mul_f32_e32 v27, 0xbfb8aa3b, v31
	v_fma_f32 v29, v31, s28, -v27
	v_rndne_f32_e32 v37, v27
	v_fmac_f32_e32 v29, 0xb2a5705f, v31
	v_sub_f32_e32 v27, v27, v37
	v_add_f32_e32 v27, v27, v29
	v_exp_f32_e32 v27, v27
	v_cvt_i32_f32_e32 v29, v37
	v_cmp_nlt_f32_e32 vcc, s29, v31
	v_ldexp_f32 v27, v27, v29
	s_nop 0
	v_cndmask_b32_e32 v27, 0, v27, vcc
	v_cmp_ngt_f32_e32 vcc, s30, v31
	s_nop 1
	v_cndmask_b32_e32 v27, v46, v27, vcc
	v_add_f32_e32 v27, 1.0, v27
	v_rcp_f32_e32 v37, v27
	s_nop 0
	v_pk_mul_f32 v[30:31], v[30:31], v[36:37]
	s_nop 0
	;;#ASMSTART
	v_pk_mul_f32 v[30:31], v[30:31], v[34:35]
	;;#ASMEND
	s_nop 0
	v_cvt_f16_f32_e32 v27, v30
	v_cvt_f16_f32_e32 v29, v31
	v_cvt_f32_f16_e32 v30, v8
	v_cvt_f32_f16_sdwa v31, v8 dst_sel:DWORD dst_unused:UNUSED_PAD src0_sel:WORD_1
	s_waitcnt vmcnt(1)
	v_pk_add_f32 v[20:21], v[20:21], v[30:31]
	v_cvt_f32_f16_e32 v30, v4
	v_cvt_f32_f16_sdwa v31, v4 dst_sel:DWORD dst_unused:UNUSED_PAD src0_sel:WORD_1
	v_pk_add_f32 v[16:17], v[16:17], v[30:31]
	s_nop 0
	v_mul_f32_e32 v4, 0xbfb8aa3b, v16
	v_fma_f32 v8, v16, s28, -v4
	v_rndne_f32_e32 v30, v4
	v_fmac_f32_e32 v8, 0xb2a5705f, v16
	v_sub_f32_e32 v4, v4, v30
	v_add_f32_e32 v4, v4, v8
	v_exp_f32_e32 v4, v4
	v_cvt_i32_f32_e32 v8, v30
	v_cmp_nlt_f32_e32 vcc, s29, v16
	v_ldexp_f32 v4, v4, v8
	s_nop 0
	v_cndmask_b32_e32 v4, 0, v4, vcc
	v_cmp_ngt_f32_e32 vcc, s30, v16
	s_nop 1
	v_cndmask_b32_e32 v4, v46, v4, vcc
	v_add_f32_e32 v4, 1.0, v4
	v_rcp_f32_e32 v30, v4
	v_mul_f32_e32 v4, 0xbfb8aa3b, v17
	v_fma_f32 v8, v17, s28, -v4
	v_rndne_f32_e32 v31, v4
	v_fmac_f32_e32 v8, 0xb2a5705f, v17
	v_sub_f32_e32 v4, v4, v31
	v_add_f32_e32 v4, v4, v8
	v_exp_f32_e32 v4, v4
	v_cvt_i32_f32_e32 v8, v31
	v_cmp_nlt_f32_e32 vcc, s29, v17
	v_ldexp_f32 v4, v4, v8
	s_nop 0
	v_cndmask_b32_e32 v4, 0, v4, vcc
	v_cmp_ngt_f32_e32 vcc, s30, v17
	s_nop 1
	v_cndmask_b32_e32 v4, v46, v4, vcc
	v_add_f32_e32 v4, 1.0, v4
	v_rcp_f32_e32 v31, v4
	v_cvt_f32_f16_e32 v4, v5
	v_cvt_f32_f16_sdwa v5, v5 dst_sel:DWORD dst_unused:UNUSED_PAD src0_sel:WORD_1
	v_pk_mul_f32 v[16:17], v[16:17], v[30:31]
	s_nop 0
	;;#ASMSTART
	v_pk_mul_f32 v[16:17], v[16:17], v[20:21]
	;;#ASMEND
	v_pk_add_f32 v[4:5], v[18:19], v[4:5]
	v_cvt_f32_f16_e32 v20, v9
	v_cvt_f32_f16_sdwa v21, v9 dst_sel:DWORD dst_unused:UNUSED_PAD src0_sel:WORD_1
	v_mul_f32_e32 v9, 0xbfb8aa3b, v4
	v_cvt_f16_f32_e32 v8, v16
	v_cvt_f16_f32_e32 v16, v17
	v_fma_f32 v17, v4, s28, -v9
	v_rndne_f32_e32 v18, v9
	v_fmac_f32_e32 v17, 0xb2a5705f, v4
	v_sub_f32_e32 v9, v9, v18
	v_add_f32_e32 v9, v9, v17
	v_exp_f32_e32 v9, v9
	v_cvt_i32_f32_e32 v17, v18
	v_cmp_nlt_f32_e32 vcc, s29, v4
	v_pk_add_f32 v[20:21], v[22:23], v[20:21]
	v_ldexp_f32 v9, v9, v17
	v_cndmask_b32_e32 v9, 0, v9, vcc
	v_cmp_ngt_f32_e32 vcc, s30, v4
	s_nop 1
	v_cndmask_b32_e32 v9, v46, v9, vcc
	v_add_f32_e32 v9, 1.0, v9
	v_rcp_f32_e32 v18, v9
	v_mul_f32_e32 v9, 0xbfb8aa3b, v5
	v_fma_f32 v17, v5, s28, -v9
	v_rndne_f32_e32 v19, v9
	v_fmac_f32_e32 v17, 0xb2a5705f, v5
	v_sub_f32_e32 v9, v9, v19
	v_add_f32_e32 v9, v9, v17
	v_exp_f32_e32 v9, v9
	v_cvt_i32_f32_e32 v17, v19
	v_cmp_nlt_f32_e32 vcc, s29, v5
	v_ldexp_f32 v9, v9, v17
	s_nop 0
	v_cndmask_b32_e32 v9, 0, v9, vcc
	v_cmp_ngt_f32_e32 vcc, s30, v5
	s_nop 1
	v_cndmask_b32_e32 v9, v46, v9, vcc
	v_add_f32_e32 v9, 1.0, v9
	v_rcp_f32_e32 v19, v9
	s_nop 0
	v_pk_mul_f32 v[4:5], v[4:5], v[18:19]
	s_nop 0
	;;#ASMSTART
	v_pk_mul_f32 v[4:5], v[4:5], v[20:21]
	;;#ASMEND
	s_nop 0
	v_cvt_f16_f32_e32 v9, v4
	v_cvt_f16_f32_e32 v17, v5
	v_cvt_f32_f16_e32 v4, v10
	v_cvt_f32_f16_sdwa v5, v10 dst_sel:DWORD dst_unused:UNUSED_PAD src0_sel:WORD_1
	s_waitcnt vmcnt(0)
	v_pk_add_f32 v[4:5], v[12:13], v[4:5]
	v_cvt_f32_f16_e32 v12, v6
	v_cvt_f32_f16_sdwa v13, v6 dst_sel:DWORD dst_unused:UNUSED_PAD src0_sel:WORD_1
	v_pk_add_f32 v[0:1], v[0:1], v[12:13]
	s_nop 0
	v_mul_f32_e32 v6, 0xbfb8aa3b, v0
	v_fma_f32 v10, v0, s28, -v6
	v_rndne_f32_e32 v12, v6
	v_fmac_f32_e32 v10, 0xb2a5705f, v0
	v_sub_f32_e32 v6, v6, v12
	v_add_f32_e32 v6, v6, v10
	v_exp_f32_e32 v6, v6
	v_cvt_i32_f32_e32 v10, v12
	v_cmp_nlt_f32_e32 vcc, s29, v0
	v_ldexp_f32 v6, v6, v10
	s_nop 0
	v_cndmask_b32_e32 v6, 0, v6, vcc
	v_cmp_ngt_f32_e32 vcc, s30, v0
	s_nop 1
	v_cndmask_b32_e32 v6, v46, v6, vcc
	v_add_f32_e32 v6, 1.0, v6
	v_rcp_f32_e32 v12, v6
	v_mul_f32_e32 v6, 0xbfb8aa3b, v1
	v_fma_f32 v10, v1, s28, -v6
	v_rndne_f32_e32 v13, v6
	v_fmac_f32_e32 v10, 0xb2a5705f, v1
	v_sub_f32_e32 v6, v6, v13
	v_add_f32_e32 v6, v6, v10
	v_exp_f32_e32 v6, v6
	v_cvt_i32_f32_e32 v10, v13
	v_cmp_nlt_f32_e32 vcc, s29, v1
	v_ldexp_f32 v6, v6, v10
	s_nop 0
	v_cndmask_b32_e32 v6, 0, v6, vcc
	v_cmp_ngt_f32_e32 vcc, s30, v1
	s_nop 1
	v_cndmask_b32_e32 v6, v46, v6, vcc
	v_add_f32_e32 v6, 1.0, v6
	v_rcp_f32_e32 v13, v6
	s_nop 0
	v_pk_mul_f32 v[0:1], v[0:1], v[12:13]
	s_nop 0
	;;#ASMSTART
	v_pk_mul_f32 v[0:1], v[0:1], v[4:5]
	;;#ASMEND
	v_cvt_f32_f16_e32 v4, v7
	v_cvt_f32_f16_sdwa v5, v7 dst_sel:DWORD dst_unused:UNUSED_PAD src0_sel:WORD_1
	v_cvt_f16_f32_e32 v6, v0
	v_cvt_f16_f32_e32 v10, v1
	v_cvt_f32_f16_e32 v0, v11
	v_pk_add_f32 v[2:3], v[2:3], v[4:5]
	v_cvt_f32_f16_sdwa v1, v11 dst_sel:DWORD dst_unused:UNUSED_PAD src0_sel:WORD_1
	v_mul_f32_e32 v4, 0xbfb8aa3b, v2
	v_fma_f32 v5, v2, s28, -v4
	v_rndne_f32_e32 v7, v4
	v_fmac_f32_e32 v5, 0xb2a5705f, v2
	v_sub_f32_e32 v4, v4, v7
	v_add_f32_e32 v4, v4, v5
	v_exp_f32_e32 v4, v4
	v_cvt_i32_f32_e32 v5, v7
	v_cmp_nlt_f32_e32 vcc, s29, v2
	v_pk_add_f32 v[0:1], v[14:15], v[0:1]
	v_ldexp_f32 v4, v4, v5
	v_mul_f32_e32 v5, 0xbfb8aa3b, v3
	v_fma_f32 v7, v3, s28, -v5
	v_rndne_f32_e32 v11, v5
	v_fmac_f32_e32 v7, 0xb2a5705f, v3
	v_sub_f32_e32 v5, v5, v11
	v_add_f32_e32 v5, v5, v7
	v_exp_f32_e32 v5, v5
	v_cvt_i32_f32_e32 v7, v11
	v_cndmask_b32_e32 v4, 0, v4, vcc
	v_cmp_ngt_f32_e32 vcc, s30, v2
	v_ldexp_f32 v5, v5, v7
	s_nop 0
	v_cndmask_b32_e32 v4, v46, v4, vcc
	v_cmp_nlt_f32_e32 vcc, s29, v3
	v_add_f32_e32 v4, 1.0, v4
	v_rcp_f32_e32 v4, v4
	v_cndmask_b32_e32 v5, 0, v5, vcc
	v_cmp_ngt_f32_e32 vcc, s30, v3
	s_nop 1
	v_cndmask_b32_e32 v5, v46, v5, vcc
	v_add_f32_e32 v5, 1.0, v5
	v_rcp_f32_e32 v5, v5
	s_nop 0
	v_pk_mul_f32 v[2:3], v[2:3], v[4:5]
	s_nop 0
	;;#ASMSTART
	v_pk_mul_f32 v[0:1], v[2:3], v[0:1]
	;;#ASMEND
	s_load_dword s2, s[0:1], 0xc
	v_cvt_f16_f32_e32 v4, v0
	v_cvt_f16_f32_e32 v5, v1
	v_pack_b32_f16 v1, v25, v33
	v_pack_b32_f16 v3, v27, v29
	s_waitcnt lgkmcnt(0)
	s_and_b32 s2, s2, 0xffff
	s_lshl_b32 s2, s2, 4
	v_lshl_add_u64 v[44:45], s[2:3], 0, v[44:45]
	v_pack_b32_f16 v0, v24, v32
	v_pack_b32_f16 v2, v26, v28
	v_cmp_le_i64_e32 vcc, s[24:25], v[44:45]
	buffer_store_dwordx4 v[0:3], v47, s[4:7], 0 offen
	s_or_b64 s[26:27], vcc, s[26:27]
	s_nop 0
	v_pack_b32_f16 v1, v9, v17
	v_pack_b32_f16 v3, v4, v5
	;; [unrolled: 1-line block ×4, first 2 shown]
	buffer_store_dwordx4 v[0:3], v47, s[4:7], 16 offen
	s_andn2_b64 exec, exec, s[26:27]
	s_cbranch_execnz .LBB125_8
.LBB125_9:
	s_endpgm
	.section	.rodata,"a",@progbits
	.p2align	6, 0x0
	.amdhsa_kernel _ZN5aiter23act_and_mul_bias_kernelIDF16_DF16_afTnPFfRKT2_EXadL_ZNS_11silu_kernelIfEEfRKT_EELi16EEEvPT0_PS8_PKT1_PS2_il
		.amdhsa_group_segment_fixed_size 0
		.amdhsa_private_segment_fixed_size 0
		.amdhsa_kernarg_size 304
		.amdhsa_user_sgpr_count 2
		.amdhsa_user_sgpr_dispatch_ptr 0
		.amdhsa_user_sgpr_queue_ptr 0
		.amdhsa_user_sgpr_kernarg_segment_ptr 1
		.amdhsa_user_sgpr_dispatch_id 0
		.amdhsa_user_sgpr_kernarg_preload_length 0
		.amdhsa_user_sgpr_kernarg_preload_offset 0
		.amdhsa_user_sgpr_private_segment_size 0
		.amdhsa_uses_dynamic_stack 0
		.amdhsa_enable_private_segment 0
		.amdhsa_system_sgpr_workgroup_id_x 1
		.amdhsa_system_sgpr_workgroup_id_y 0
		.amdhsa_system_sgpr_workgroup_id_z 0
		.amdhsa_system_sgpr_workgroup_info 0
		.amdhsa_system_vgpr_workitem_id 0
		.amdhsa_next_free_vgpr 54
		.amdhsa_next_free_sgpr 31
		.amdhsa_accum_offset 56
		.amdhsa_reserve_vcc 1
		.amdhsa_float_round_mode_32 0
		.amdhsa_float_round_mode_16_64 0
		.amdhsa_float_denorm_mode_32 3
		.amdhsa_float_denorm_mode_16_64 3
		.amdhsa_dx10_clamp 1
		.amdhsa_ieee_mode 1
		.amdhsa_fp16_overflow 0
		.amdhsa_tg_split 0
		.amdhsa_exception_fp_ieee_invalid_op 0
		.amdhsa_exception_fp_denorm_src 0
		.amdhsa_exception_fp_ieee_div_zero 0
		.amdhsa_exception_fp_ieee_overflow 0
		.amdhsa_exception_fp_ieee_underflow 0
		.amdhsa_exception_fp_ieee_inexact 0
		.amdhsa_exception_int_div_zero 0
	.end_amdhsa_kernel
	.section	.text._ZN5aiter23act_and_mul_bias_kernelIDF16_DF16_afTnPFfRKT2_EXadL_ZNS_11silu_kernelIfEEfRKT_EELi16EEEvPT0_PS8_PKT1_PS2_il,"axG",@progbits,_ZN5aiter23act_and_mul_bias_kernelIDF16_DF16_afTnPFfRKT2_EXadL_ZNS_11silu_kernelIfEEfRKT_EELi16EEEvPT0_PS8_PKT1_PS2_il,comdat
.Lfunc_end125:
	.size	_ZN5aiter23act_and_mul_bias_kernelIDF16_DF16_afTnPFfRKT2_EXadL_ZNS_11silu_kernelIfEEfRKT_EELi16EEEvPT0_PS8_PKT1_PS2_il, .Lfunc_end125-_ZN5aiter23act_and_mul_bias_kernelIDF16_DF16_afTnPFfRKT2_EXadL_ZNS_11silu_kernelIfEEfRKT_EELi16EEEvPT0_PS8_PKT1_PS2_il
                                        ; -- End function
	.section	.AMDGPU.csdata,"",@progbits
; Kernel info:
; codeLenInByte = 2748
; NumSgprs: 37
; NumVgprs: 54
; NumAgprs: 0
; TotalNumVgprs: 54
; ScratchSize: 0
; MemoryBound: 0
; FloatMode: 240
; IeeeMode: 1
; LDSByteSize: 0 bytes/workgroup (compile time only)
; SGPRBlocks: 4
; VGPRBlocks: 6
; NumSGPRsForWavesPerEU: 37
; NumVGPRsForWavesPerEU: 54
; AccumOffset: 56
; Occupancy: 8
; WaveLimiterHint : 0
; COMPUTE_PGM_RSRC2:SCRATCH_EN: 0
; COMPUTE_PGM_RSRC2:USER_SGPR: 2
; COMPUTE_PGM_RSRC2:TRAP_HANDLER: 0
; COMPUTE_PGM_RSRC2:TGID_X_EN: 1
; COMPUTE_PGM_RSRC2:TGID_Y_EN: 0
; COMPUTE_PGM_RSRC2:TGID_Z_EN: 0
; COMPUTE_PGM_RSRC2:TIDIG_COMP_CNT: 0
; COMPUTE_PGM_RSRC3_GFX90A:ACCUM_OFFSET: 13
; COMPUTE_PGM_RSRC3_GFX90A:TG_SPLIT: 0
	.section	.text._ZN5aiter23act_and_mul_bias_kernelIDF16_DF16_afTnPFfRKT2_EXadL_ZNS_11silu_kernelIfEEfRKT_EELi8EEEvPT0_PS8_PKT1_PS2_il,"axG",@progbits,_ZN5aiter23act_and_mul_bias_kernelIDF16_DF16_afTnPFfRKT2_EXadL_ZNS_11silu_kernelIfEEfRKT_EELi8EEEvPT0_PS8_PKT1_PS2_il,comdat
	.protected	_ZN5aiter23act_and_mul_bias_kernelIDF16_DF16_afTnPFfRKT2_EXadL_ZNS_11silu_kernelIfEEfRKT_EELi8EEEvPT0_PS8_PKT1_PS2_il ; -- Begin function _ZN5aiter23act_and_mul_bias_kernelIDF16_DF16_afTnPFfRKT2_EXadL_ZNS_11silu_kernelIfEEfRKT_EELi8EEEvPT0_PS8_PKT1_PS2_il
	.globl	_ZN5aiter23act_and_mul_bias_kernelIDF16_DF16_afTnPFfRKT2_EXadL_ZNS_11silu_kernelIfEEfRKT_EELi8EEEvPT0_PS8_PKT1_PS2_il
	.p2align	8
	.type	_ZN5aiter23act_and_mul_bias_kernelIDF16_DF16_afTnPFfRKT2_EXadL_ZNS_11silu_kernelIfEEfRKT_EELi8EEEvPT0_PS8_PKT1_PS2_il,@function
_ZN5aiter23act_and_mul_bias_kernelIDF16_DF16_afTnPFfRKT2_EXadL_ZNS_11silu_kernelIfEEfRKT_EELi8EEEvPT0_PS8_PKT1_PS2_il: ; @_ZN5aiter23act_and_mul_bias_kernelIDF16_DF16_afTnPFfRKT2_EXadL_ZNS_11silu_kernelIfEEfRKT_EELi8EEEvPT0_PS8_PKT1_PS2_il
; %bb.0:
	s_load_dwordx2 s[4:5], s[0:1], 0x10
	s_load_dword s14, s[0:1], 0x20
	s_load_dwordx2 s[8:9], s[0:1], 0x28
	v_mov_b32_e32 v1, s2
	s_load_dwordx2 s[10:11], s[0:1], 0x0
	s_waitcnt lgkmcnt(0)
	global_load_ubyte v1, v1, s[4:5]
	s_add_i32 s3, s14, 1
	v_mov_b64_e32 v[2:3], s[8:9]
	s_lshr_b32 s8, s3, 31
	s_add_i32 s3, s3, s8
	s_lshl_b32 s3, s3, 1
	s_ashr_i32 s15, s14, 31
	s_and_b32 s18, s3, -4
	s_mul_hi_u32 s4, s14, s2
	s_mul_i32 s9, s15, s2
	s_mov_b32 s5, 0
	s_mul_i32 s12, s14, s2
	s_add_i32 s13, s4, s9
	s_lshl_b64 s[8:9], s[12:13], 1
	s_mov_b64 s[6:7], -1
	v_lshlrev_b32_e32 v24, 3, v0
	s_waitcnt vmcnt(0)
	v_readfirstlane_b32 s3, v1
	s_nop 1
	v_mov_b32_e32 v4, s3
	s_sext_i32_i8 s3, s3
	v_readfirstlane_b32 s4, v4
	s_bfe_i64 s[4:5], s[4:5], 0x80000
	s_add_u32 s16, s10, s8
	v_cmp_lt_i64_e32 vcc, s[4:5], v[2:3]
	s_addc_u32 s5, s11, s9
	s_and_b32 s17, s5, 0xffff
	s_cmp_gt_i32 s3, -1
	s_cselect_b64 s[8:9], -1, 0
	s_and_b64 s[8:9], s[8:9], vcc
	s_and_b64 vcc, exec, s[8:9]
	s_cbranch_vccnz .LBB126_5
; %bb.1:
	v_cmp_gt_i32_e32 vcc, s14, v24
	s_and_saveexec_b64 s[6:7], vcc
	s_cbranch_execz .LBB126_4
; %bb.2:
	s_load_dword s3, s[0:1], 0x3c
	v_mov_b32_e32 v25, 0
	s_mov_b32 s9, 0
	v_lshlrev_b32_e32 v6, 4, v0
	s_mov_b64 s[10:11], 0
	s_waitcnt lgkmcnt(0)
	s_and_b32 s3, s3, 0xffff
	s_lshl_b32 s8, s3, 3
	s_lshl_b32 s3, s3, 4
	s_mov_b32 s19, 0x20000
	v_mov_b32_e32 v0, v25
	v_mov_b32_e32 v1, v25
	;; [unrolled: 1-line block ×4, first 2 shown]
	v_mov_b64_e32 v[4:5], v[24:25]
.LBB126_3:                              ; =>This Inner Loop Header: Depth=1
	v_lshl_add_u64 v[4:5], s[8:9], 0, v[4:5]
	v_cmp_le_i64_e32 vcc, s[14:15], v[4:5]
	buffer_store_dwordx4 v[0:3], v6, s[16:19], 0 offen
	s_or_b64 s[10:11], vcc, s[10:11]
	v_add_u32_e32 v6, s3, v6
	s_andn2_b64 exec, exec, s[10:11]
	s_cbranch_execnz .LBB126_3
.LBB126_4:
	s_or_b64 exec, exec, s[6:7]
	s_mov_b64 s[6:7], 0
.LBB126_5:
	s_andn2_b64 vcc, exec, s[6:7]
	s_cbranch_vccnz .LBB126_9
; %bb.6:
	v_cmp_gt_i32_e32 vcc, s14, v24
	s_and_saveexec_b64 s[6:7], vcc
	s_cbranch_execz .LBB126_9
; %bb.7:
	s_load_dwordx2 s[6:7], s[0:1], 0x8
	s_load_dwordx2 s[8:9], s[0:1], 0x18
	s_mul_hi_i32 s5, s14, s4
	s_mul_i32 s4, s14, s4
	s_lshl_b64 s[4:5], s[4:5], 3
	s_mov_b32 s19, 0x20000
	s_waitcnt lgkmcnt(0)
	s_add_u32 s20, s8, s4
	s_addc_u32 s3, s9, s5
	s_lshl_b64 s[4:5], s[14:15], 2
	s_add_u32 s24, s20, s4
	s_addc_u32 s4, s3, s5
	s_and_b32 s21, s3, 0xffff
	s_and_b32 s25, s4, 0xffff
	s_mul_i32 s3, s2, s15
	s_mul_hi_u32 s4, s2, s14
	s_add_i32 s3, s4, s3
	s_mul_i32 s2, s2, s14
	s_lshl_b32 s26, s14, 2
	s_lshl_b64 s[2:3], s[2:3], 2
	s_add_u32 s28, s6, s2
	s_addc_u32 s4, s7, s3
	s_lshl_b64 s[2:3], s[14:15], 1
	s_add_u32 s36, s28, s2
	s_addc_u32 s2, s4, s3
	s_and_b32 s29, s4, 0xffff
	s_and_b32 s37, s2, 0xffff
	s_add_u32 s40, s0, 48
	s_mov_b32 s35, 0
	s_mov_b32 s27, s19
	v_mov_b32_e32 v25, 0
	s_addc_u32 s41, s1, 0
	s_mov_b64 s[42:43], 0
	s_mov_b32 s30, s18
	s_mov_b32 s31, s19
	;; [unrolled: 1-line block ×5, first 2 shown]
	v_mov_b32_e32 v30, 0x7f800000
	s_mov_b32 s38, s18
	s_mov_b32 s39, s19
	;; [unrolled: 1-line block ×4, first 2 shown]
.LBB126_8:                              ; =>This Inner Loop Header: Depth=1
	v_lshlrev_b32_e32 v31, 1, v24
	v_lshlrev_b32_e32 v26, 2, v24
	buffer_load_dwordx4 v[4:7], v31, s[36:39], 0 offen
	buffer_load_dwordx4 v[0:3], v31, s[28:31], 0 offen
	;; [unrolled: 1-line block ×6, first 2 shown]
	s_waitcnt vmcnt(5)
	v_cvt_f32_f16_e32 v26, v4
	s_waitcnt vmcnt(4)
	v_cvt_f32_f16_e32 v28, v0
	v_cvt_f32_f16_sdwa v29, v0 dst_sel:DWORD dst_unused:UNUSED_PAD src0_sel:WORD_1
	v_cvt_f32_f16_e32 v32, v1
	v_cvt_f32_f16_sdwa v33, v1 dst_sel:DWORD dst_unused:UNUSED_PAD src0_sel:WORD_1
	;; [unrolled: 2-line block ×4, first 2 shown]
	v_cvt_f32_f16_sdwa v27, v4 dst_sel:DWORD dst_unused:UNUSED_PAD src0_sel:WORD_1
	v_cvt_f32_f16_e32 v4, v5
	v_cvt_f32_f16_sdwa v5, v5 dst_sel:DWORD dst_unused:UNUSED_PAD src0_sel:WORD_1
	v_cvt_f32_f16_e32 v34, v6
	;; [unrolled: 2-line block ×3, first 2 shown]
	v_cvt_f32_f16_sdwa v7, v7 dst_sel:DWORD dst_unused:UNUSED_PAD src0_sel:WORD_1
	s_waitcnt vmcnt(2)
	v_pk_add_f32 v[12:13], v[12:13], v[28:29]
	v_pk_add_f32 v[14:15], v[14:15], v[32:33]
	s_waitcnt vmcnt(0)
	v_pk_add_f32 v[8:9], v[8:9], v[36:37]
	v_pk_add_f32 v[10:11], v[10:11], v[38:39]
	;; [unrolled: 1-line block ×6, first 2 shown]
	v_mul_f32_e32 v16, 0xbfb8aa3b, v12
	v_mul_f32_e32 v17, 0xbfb8aa3b, v13
	;; [unrolled: 1-line block ×8, first 2 shown]
	v_fma_f32 v26, v12, s33, -v16
	v_rndne_f32_e32 v27, v16
	v_fma_f32 v28, v13, s33, -v17
	v_rndne_f32_e32 v29, v17
	;; [unrolled: 2-line block ×8, first 2 shown]
	v_fmac_f32_e32 v26, 0xb2a5705f, v12
	v_sub_f32_e32 v16, v16, v27
	v_fmac_f32_e32 v28, 0xb2a5705f, v13
	v_sub_f32_e32 v17, v17, v29
	;; [unrolled: 2-line block ×8, first 2 shown]
	v_add_f32_e32 v16, v16, v26
	v_add_f32_e32 v17, v17, v28
	;; [unrolled: 1-line block ×8, first 2 shown]
	v_cvt_i32_f32_e32 v27, v27
	v_cvt_i32_f32_e32 v29, v29
	;; [unrolled: 1-line block ×8, first 2 shown]
	v_exp_f32_e32 v16, v16
	v_exp_f32_e32 v17, v17
	;; [unrolled: 1-line block ×8, first 2 shown]
	v_ldexp_f32 v16, v16, v27
	v_ldexp_f32 v17, v17, v29
	v_cmp_nlt_f32_e32 vcc, s44, v13
	v_ldexp_f32 v18, v18, v33
	v_cmp_nlt_f32_e64 s[0:1], s44, v14
	v_ldexp_f32 v19, v19, v35
	v_cmp_nlt_f32_e64 s[2:3], s44, v15
	;; [unrolled: 2-line block ×6, first 2 shown]
	v_cmp_nlt_f32_e64 s[12:13], s44, v12
	v_cndmask_b32_e32 v17, 0, v17, vcc
	v_cmp_ngt_f32_e32 vcc, s45, v13
	v_cndmask_b32_e64 v16, 0, v16, s[12:13]
	v_cndmask_b32_e64 v18, 0, v18, s[0:1]
	v_cmp_ngt_f32_e64 s[0:1], s45, v14
	v_cndmask_b32_e64 v19, 0, v19, s[2:3]
	v_cmp_ngt_f32_e64 s[2:3], s45, v15
	v_cndmask_b32_e64 v20, 0, v20, s[4:5]
	v_cmp_ngt_f32_e64 s[4:5], s45, v8
	v_cndmask_b32_e64 v21, 0, v21, s[6:7]
	v_cmp_ngt_f32_e64 s[6:7], s45, v9
	v_cndmask_b32_e64 v22, 0, v22, s[8:9]
	v_cmp_ngt_f32_e64 s[8:9], s45, v10
	v_cndmask_b32_e64 v23, 0, v23, s[10:11]
	v_cmp_ngt_f32_e64 s[10:11], s45, v11
	v_cmp_ngt_f32_e64 s[12:13], s45, v12
	v_cndmask_b32_e32 v17, v30, v17, vcc
	v_cndmask_b32_e64 v18, v30, v18, s[0:1]
	v_cndmask_b32_e64 v16, v30, v16, s[12:13]
	;; [unrolled: 1-line block ×7, first 2 shown]
	v_add_f32_e32 v16, 1.0, v16
	v_add_f32_e32 v17, 1.0, v17
	v_add_f32_e32 v18, 1.0, v18
	v_add_f32_e32 v19, 1.0, v19
	v_add_f32_e32 v20, 1.0, v20
	v_add_f32_e32 v21, 1.0, v21
	v_add_f32_e32 v22, 1.0, v22
	v_add_f32_e32 v23, 1.0, v23
	v_rcp_f32_e32 v16, v16
	v_rcp_f32_e32 v17, v17
	;; [unrolled: 1-line block ×8, first 2 shown]
	v_pk_mul_f32 v[12:13], v[12:13], v[16:17]
	v_pk_mul_f32 v[14:15], v[14:15], v[18:19]
	;; [unrolled: 1-line block ×4, first 2 shown]
	;;#ASMSTART
	v_pk_mul_f32 v[0:1], v[12:13], v[0:1]
	;;#ASMEND
	;;#ASMSTART
	v_pk_mul_f32 v[2:3], v[14:15], v[2:3]
	;;#ASMEND
	;; [unrolled: 3-line block ×3, first 2 shown]
	s_nop 0
	;;#ASMSTART
	v_pk_mul_f32 v[6:7], v[10:11], v[6:7]
	;;#ASMEND
	s_load_dword s0, s[40:41], 0xc
	v_cvt_f16_f32_e32 v0, v0
	v_cvt_f16_f32_e32 v8, v1
	;; [unrolled: 1-line block ×8, first 2 shown]
	s_waitcnt lgkmcnt(0)
	s_and_b32 s0, s0, 0xffff
	s_lshl_b32 s34, s0, 3
	v_lshl_add_u64 v[24:25], s[34:35], 0, v[24:25]
	v_cmp_le_i64_e32 vcc, s[14:15], v[24:25]
	v_pack_b32_f16 v1, v1, v2
	v_pack_b32_f16 v3, v3, v6
	v_pack_b32_f16 v0, v0, v8
	v_pack_b32_f16 v2, v4, v5
	s_or_b64 s[42:43], vcc, s[42:43]
	buffer_store_dwordx4 v[0:3], v31, s[16:19], 0 offen
	s_andn2_b64 exec, exec, s[42:43]
	s_cbranch_execnz .LBB126_8
.LBB126_9:
	s_endpgm
	.section	.rodata,"a",@progbits
	.p2align	6, 0x0
	.amdhsa_kernel _ZN5aiter23act_and_mul_bias_kernelIDF16_DF16_afTnPFfRKT2_EXadL_ZNS_11silu_kernelIfEEfRKT_EELi8EEEvPT0_PS8_PKT1_PS2_il
		.amdhsa_group_segment_fixed_size 0
		.amdhsa_private_segment_fixed_size 0
		.amdhsa_kernarg_size 304
		.amdhsa_user_sgpr_count 2
		.amdhsa_user_sgpr_dispatch_ptr 0
		.amdhsa_user_sgpr_queue_ptr 0
		.amdhsa_user_sgpr_kernarg_segment_ptr 1
		.amdhsa_user_sgpr_dispatch_id 0
		.amdhsa_user_sgpr_kernarg_preload_length 0
		.amdhsa_user_sgpr_kernarg_preload_offset 0
		.amdhsa_user_sgpr_private_segment_size 0
		.amdhsa_uses_dynamic_stack 0
		.amdhsa_enable_private_segment 0
		.amdhsa_system_sgpr_workgroup_id_x 1
		.amdhsa_system_sgpr_workgroup_id_y 0
		.amdhsa_system_sgpr_workgroup_id_z 0
		.amdhsa_system_sgpr_workgroup_info 0
		.amdhsa_system_vgpr_workitem_id 0
		.amdhsa_next_free_vgpr 44
		.amdhsa_next_free_sgpr 46
		.amdhsa_accum_offset 44
		.amdhsa_reserve_vcc 1
		.amdhsa_float_round_mode_32 0
		.amdhsa_float_round_mode_16_64 0
		.amdhsa_float_denorm_mode_32 3
		.amdhsa_float_denorm_mode_16_64 3
		.amdhsa_dx10_clamp 1
		.amdhsa_ieee_mode 1
		.amdhsa_fp16_overflow 0
		.amdhsa_tg_split 0
		.amdhsa_exception_fp_ieee_invalid_op 0
		.amdhsa_exception_fp_denorm_src 0
		.amdhsa_exception_fp_ieee_div_zero 0
		.amdhsa_exception_fp_ieee_overflow 0
		.amdhsa_exception_fp_ieee_underflow 0
		.amdhsa_exception_fp_ieee_inexact 0
		.amdhsa_exception_int_div_zero 0
	.end_amdhsa_kernel
	.section	.text._ZN5aiter23act_and_mul_bias_kernelIDF16_DF16_afTnPFfRKT2_EXadL_ZNS_11silu_kernelIfEEfRKT_EELi8EEEvPT0_PS8_PKT1_PS2_il,"axG",@progbits,_ZN5aiter23act_and_mul_bias_kernelIDF16_DF16_afTnPFfRKT2_EXadL_ZNS_11silu_kernelIfEEfRKT_EELi8EEEvPT0_PS8_PKT1_PS2_il,comdat
.Lfunc_end126:
	.size	_ZN5aiter23act_and_mul_bias_kernelIDF16_DF16_afTnPFfRKT2_EXadL_ZNS_11silu_kernelIfEEfRKT_EELi8EEEvPT0_PS8_PKT1_PS2_il, .Lfunc_end126-_ZN5aiter23act_and_mul_bias_kernelIDF16_DF16_afTnPFfRKT2_EXadL_ZNS_11silu_kernelIfEEfRKT_EELi8EEEvPT0_PS8_PKT1_PS2_il
                                        ; -- End function
	.section	.AMDGPU.csdata,"",@progbits
; Kernel info:
; codeLenInByte = 1688
; NumSgprs: 52
; NumVgprs: 44
; NumAgprs: 0
; TotalNumVgprs: 44
; ScratchSize: 0
; MemoryBound: 0
; FloatMode: 240
; IeeeMode: 1
; LDSByteSize: 0 bytes/workgroup (compile time only)
; SGPRBlocks: 6
; VGPRBlocks: 5
; NumSGPRsForWavesPerEU: 52
; NumVGPRsForWavesPerEU: 44
; AccumOffset: 44
; Occupancy: 8
; WaveLimiterHint : 0
; COMPUTE_PGM_RSRC2:SCRATCH_EN: 0
; COMPUTE_PGM_RSRC2:USER_SGPR: 2
; COMPUTE_PGM_RSRC2:TRAP_HANDLER: 0
; COMPUTE_PGM_RSRC2:TGID_X_EN: 1
; COMPUTE_PGM_RSRC2:TGID_Y_EN: 0
; COMPUTE_PGM_RSRC2:TGID_Z_EN: 0
; COMPUTE_PGM_RSRC2:TIDIG_COMP_CNT: 0
; COMPUTE_PGM_RSRC3_GFX90A:ACCUM_OFFSET: 10
; COMPUTE_PGM_RSRC3_GFX90A:TG_SPLIT: 0
	.section	.text._ZN5aiter23act_and_mul_bias_kernelIDF16_DF16_afTnPFfRKT2_EXadL_ZNS_11silu_kernelIfEEfRKT_EELi4EEEvPT0_PS8_PKT1_PS2_il,"axG",@progbits,_ZN5aiter23act_and_mul_bias_kernelIDF16_DF16_afTnPFfRKT2_EXadL_ZNS_11silu_kernelIfEEfRKT_EELi4EEEvPT0_PS8_PKT1_PS2_il,comdat
	.protected	_ZN5aiter23act_and_mul_bias_kernelIDF16_DF16_afTnPFfRKT2_EXadL_ZNS_11silu_kernelIfEEfRKT_EELi4EEEvPT0_PS8_PKT1_PS2_il ; -- Begin function _ZN5aiter23act_and_mul_bias_kernelIDF16_DF16_afTnPFfRKT2_EXadL_ZNS_11silu_kernelIfEEfRKT_EELi4EEEvPT0_PS8_PKT1_PS2_il
	.globl	_ZN5aiter23act_and_mul_bias_kernelIDF16_DF16_afTnPFfRKT2_EXadL_ZNS_11silu_kernelIfEEfRKT_EELi4EEEvPT0_PS8_PKT1_PS2_il
	.p2align	8
	.type	_ZN5aiter23act_and_mul_bias_kernelIDF16_DF16_afTnPFfRKT2_EXadL_ZNS_11silu_kernelIfEEfRKT_EELi4EEEvPT0_PS8_PKT1_PS2_il,@function
_ZN5aiter23act_and_mul_bias_kernelIDF16_DF16_afTnPFfRKT2_EXadL_ZNS_11silu_kernelIfEEfRKT_EELi4EEEvPT0_PS8_PKT1_PS2_il: ; @_ZN5aiter23act_and_mul_bias_kernelIDF16_DF16_afTnPFfRKT2_EXadL_ZNS_11silu_kernelIfEEfRKT_EELi4EEEvPT0_PS8_PKT1_PS2_il
; %bb.0:
	s_load_dwordx2 s[4:5], s[0:1], 0x10
	s_load_dword s6, s[0:1], 0x20
	s_load_dwordx2 s[8:9], s[0:1], 0x28
	v_mov_b32_e32 v1, s2
	s_load_dwordx2 s[14:15], s[0:1], 0x0
	s_waitcnt lgkmcnt(0)
	global_load_ubyte v1, v1, s[4:5]
	s_add_i32 s3, s6, 1
	s_ashr_i32 s7, s6, 31
	v_mov_b64_e32 v[2:3], s[8:9]
	s_lshr_b32 s8, s3, 31
	s_mul_hi_u32 s4, s6, s2
	s_mul_i32 s9, s7, s2
	s_add_i32 s3, s3, s8
	s_mul_i32 s10, s6, s2
	s_add_i32 s11, s4, s9
	s_lshl_b32 s3, s3, 1
	s_lshl_b64 s[8:9], s[10:11], 1
	s_and_b32 s10, s3, -4
	s_mov_b32 s5, 0
	s_mov_b64 s[12:13], -1
	s_waitcnt vmcnt(0)
	v_readfirstlane_b32 s3, v1
	s_nop 1
	v_mov_b32_e32 v4, s3
	s_sext_i32_i8 s3, s3
	v_readfirstlane_b32 s4, v4
	s_bfe_i64 s[4:5], s[4:5], 0x80000
	s_add_u32 s8, s14, s8
	v_cmp_lt_i64_e32 vcc, s[4:5], v[2:3]
	s_addc_u32 s5, s15, s9
	s_and_b32 s9, s5, 0xffff
	s_cmp_gt_i32 s3, -1
	s_cselect_b64 s[14:15], -1, 0
	s_and_b64 s[14:15], s[14:15], vcc
	s_and_b64 vcc, exec, s[14:15]
	v_lshlrev_b32_e32 v2, 2, v0
	s_cbranch_vccnz .LBB127_5
; %bb.1:
	v_cmp_gt_i32_e32 vcc, s6, v2
	s_and_saveexec_b64 s[12:13], vcc
	s_cbranch_execz .LBB127_4
; %bb.2:
	s_load_dword s3, s[0:1], 0x3c
	v_mov_b32_e32 v3, 0
	s_mov_b32 s15, 0
	v_lshlrev_b32_e32 v6, 3, v0
	s_mov_b64 s[16:17], 0
	s_waitcnt lgkmcnt(0)
	s_and_b32 s3, s3, 0xffff
	s_lshl_b32 s14, s3, 2
	s_lshl_b32 s3, s3, 3
	s_mov_b32 s11, 0x20000
	v_mov_b32_e32 v0, v3
	v_mov_b32_e32 v1, v3
	v_mov_b64_e32 v[4:5], v[2:3]
.LBB127_3:                              ; =>This Inner Loop Header: Depth=1
	v_lshl_add_u64 v[4:5], s[14:15], 0, v[4:5]
	v_cmp_le_i64_e32 vcc, s[6:7], v[4:5]
	buffer_store_dwordx2 v[0:1], v6, s[8:11], 0 offen
	s_or_b64 s[16:17], vcc, s[16:17]
	v_add_u32_e32 v6, s3, v6
	s_andn2_b64 exec, exec, s[16:17]
	s_cbranch_execnz .LBB127_3
.LBB127_4:
	s_or_b64 exec, exec, s[12:13]
	s_mov_b64 s[12:13], 0
.LBB127_5:
	s_andn2_b64 vcc, exec, s[12:13]
	s_cbranch_vccnz .LBB127_9
; %bb.6:
	v_cmp_gt_i32_e32 vcc, s6, v2
	s_and_saveexec_b64 s[12:13], vcc
	s_cbranch_execz .LBB127_9
; %bb.7:
	s_load_dwordx2 s[14:15], s[0:1], 0x8
	s_load_dwordx2 s[12:13], s[0:1], 0x18
	s_mul_hi_i32 s5, s6, s4
	s_mul_i32 s4, s6, s4
	s_lshl_b64 s[4:5], s[4:5], 3
	s_mov_b32 s11, 0x20000
	s_waitcnt lgkmcnt(0)
	s_add_u32 s12, s12, s4
	s_addc_u32 s3, s13, s5
	s_lshl_b64 s[4:5], s[6:7], 2
	s_add_u32 s16, s12, s4
	s_addc_u32 s4, s3, s5
	s_and_b32 s13, s3, 0xffff
	s_and_b32 s17, s4, 0xffff
	s_mul_i32 s3, s2, s7
	s_mul_hi_u32 s4, s2, s6
	s_add_i32 s3, s4, s3
	s_mul_i32 s2, s2, s6
	s_lshl_b32 s18, s6, 2
	s_lshl_b64 s[2:3], s[2:3], 2
	s_add_u32 s20, s14, s2
	s_addc_u32 s4, s15, s3
	s_lshl_b64 s[2:3], s[6:7], 1
	s_add_u32 s24, s20, s2
	s_addc_u32 s2, s4, s3
	s_and_b32 s21, s4, 0xffff
	s_and_b32 s25, s2, 0xffff
	s_add_u32 s30, s0, 48
	s_mov_b32 s29, 0
	s_mov_b32 s19, s11
	v_mov_b32_e32 v3, 0
	s_addc_u32 s31, s1, 0
	s_mov_b64 s[34:35], 0
	s_mov_b32 s22, s10
	s_mov_b32 s23, s11
	;; [unrolled: 1-line block ×5, first 2 shown]
	v_mov_b32_e32 v0, 0x7f800000
	s_mov_b32 s26, s10
	s_mov_b32 s27, s11
	;; [unrolled: 1-line block ×4, first 2 shown]
.LBB127_8:                              ; =>This Inner Loop Header: Depth=1
	v_lshlrev_b32_e32 v1, 1, v2
	v_lshlrev_b32_e32 v16, 2, v2
	buffer_load_dwordx2 v[12:13], v1, s[24:27], 0 offen
	buffer_load_dwordx2 v[14:15], v1, s[20:23], 0 offen
	buffer_load_dwordx4 v[4:7], v16, s[12:15], 0 offen
	buffer_load_dwordx4 v[8:11], v16, s[16:19], 0 offen
	s_waitcnt vmcnt(3)
	v_cvt_f32_f16_e32 v16, v12
	s_waitcnt vmcnt(2)
	v_cvt_f32_f16_e32 v18, v14
	v_cvt_f32_f16_sdwa v19, v14 dst_sel:DWORD dst_unused:UNUSED_PAD src0_sel:WORD_1
	v_cvt_f32_f16_e32 v14, v15
	v_cvt_f32_f16_sdwa v15, v15 dst_sel:DWORD dst_unused:UNUSED_PAD src0_sel:WORD_1
	v_cvt_f32_f16_sdwa v17, v12 dst_sel:DWORD dst_unused:UNUSED_PAD src0_sel:WORD_1
	v_cvt_f32_f16_e32 v12, v13
	v_cvt_f32_f16_sdwa v13, v13 dst_sel:DWORD dst_unused:UNUSED_PAD src0_sel:WORD_1
	s_waitcnt vmcnt(1)
	v_pk_add_f32 v[4:5], v[4:5], v[18:19]
	v_pk_add_f32 v[6:7], v[6:7], v[14:15]
	s_waitcnt vmcnt(0)
	v_pk_add_f32 v[8:9], v[8:9], v[16:17]
	v_pk_add_f32 v[10:11], v[10:11], v[12:13]
	v_mul_f32_e32 v12, 0xbfb8aa3b, v4
	v_mul_f32_e32 v13, 0xbfb8aa3b, v5
	;; [unrolled: 1-line block ×4, first 2 shown]
	v_fma_f32 v16, v4, s33, -v12
	v_rndne_f32_e32 v17, v12
	v_fma_f32 v18, v5, s33, -v13
	v_rndne_f32_e32 v19, v13
	v_fma_f32 v20, v6, s33, -v14
	v_rndne_f32_e32 v21, v14
	v_fma_f32 v22, v7, s33, -v15
	v_rndne_f32_e32 v23, v15
	v_fmac_f32_e32 v16, 0xb2a5705f, v4
	v_sub_f32_e32 v12, v12, v17
	v_fmac_f32_e32 v18, 0xb2a5705f, v5
	v_sub_f32_e32 v13, v13, v19
	;; [unrolled: 2-line block ×4, first 2 shown]
	v_add_f32_e32 v12, v12, v16
	v_add_f32_e32 v13, v13, v18
	;; [unrolled: 1-line block ×4, first 2 shown]
	v_cvt_i32_f32_e32 v17, v17
	v_cvt_i32_f32_e32 v19, v19
	;; [unrolled: 1-line block ×4, first 2 shown]
	v_exp_f32_e32 v12, v12
	v_exp_f32_e32 v13, v13
	;; [unrolled: 1-line block ×4, first 2 shown]
	v_ldexp_f32 v12, v12, v17
	v_ldexp_f32 v13, v13, v19
	v_cmp_nlt_f32_e32 vcc, s36, v5
	v_ldexp_f32 v14, v14, v21
	v_cmp_nlt_f32_e64 s[0:1], s36, v6
	v_ldexp_f32 v15, v15, v23
	v_cmp_nlt_f32_e64 s[2:3], s36, v7
	v_cmp_nlt_f32_e64 s[4:5], s36, v4
	v_cndmask_b32_e32 v13, 0, v13, vcc
	v_cmp_ngt_f32_e32 vcc, s37, v5
	v_cndmask_b32_e64 v12, 0, v12, s[4:5]
	v_cndmask_b32_e64 v14, 0, v14, s[0:1]
	v_cmp_ngt_f32_e64 s[0:1], s37, v6
	v_cndmask_b32_e64 v15, 0, v15, s[2:3]
	v_cmp_ngt_f32_e64 s[2:3], s37, v7
	v_cmp_ngt_f32_e64 s[4:5], s37, v4
	v_cndmask_b32_e32 v13, v0, v13, vcc
	v_cndmask_b32_e64 v14, v0, v14, s[0:1]
	v_cndmask_b32_e64 v12, v0, v12, s[4:5]
	;; [unrolled: 1-line block ×3, first 2 shown]
	v_add_f32_e32 v12, 1.0, v12
	v_add_f32_e32 v13, 1.0, v13
	;; [unrolled: 1-line block ×4, first 2 shown]
	v_rcp_f32_e32 v12, v12
	v_rcp_f32_e32 v13, v13
	;; [unrolled: 1-line block ×4, first 2 shown]
	v_pk_mul_f32 v[4:5], v[4:5], v[12:13]
	s_nop 0
	;;#ASMSTART
	v_pk_mul_f32 v[4:5], v[4:5], v[8:9]
	;;#ASMEND
	v_pk_mul_f32 v[6:7], v[6:7], v[14:15]
	v_cvt_f16_f32_e32 v4, v4
	;;#ASMSTART
	v_pk_mul_f32 v[6:7], v[6:7], v[10:11]
	;;#ASMEND
	s_load_dword s0, s[30:31], 0xc
	v_cvt_f16_f32_e32 v6, v6
	v_cvt_f16_f32_e32 v7, v7
	;; [unrolled: 1-line block ×3, first 2 shown]
	s_waitcnt lgkmcnt(0)
	s_and_b32 s0, s0, 0xffff
	s_lshl_b32 s28, s0, 2
	v_lshl_add_u64 v[2:3], s[28:29], 0, v[2:3]
	v_cmp_le_i64_e32 vcc, s[6:7], v[2:3]
	v_pack_b32_f16 v5, v6, v7
	v_pack_b32_f16 v4, v4, v8
	s_or_b64 s[34:35], vcc, s[34:35]
	buffer_store_dwordx2 v[4:5], v1, s[8:11], 0 offen
	s_andn2_b64 exec, exec, s[34:35]
	s_cbranch_execnz .LBB127_8
.LBB127_9:
	s_endpgm
	.section	.rodata,"a",@progbits
	.p2align	6, 0x0
	.amdhsa_kernel _ZN5aiter23act_and_mul_bias_kernelIDF16_DF16_afTnPFfRKT2_EXadL_ZNS_11silu_kernelIfEEfRKT_EELi4EEEvPT0_PS8_PKT1_PS2_il
		.amdhsa_group_segment_fixed_size 0
		.amdhsa_private_segment_fixed_size 0
		.amdhsa_kernarg_size 304
		.amdhsa_user_sgpr_count 2
		.amdhsa_user_sgpr_dispatch_ptr 0
		.amdhsa_user_sgpr_queue_ptr 0
		.amdhsa_user_sgpr_kernarg_segment_ptr 1
		.amdhsa_user_sgpr_dispatch_id 0
		.amdhsa_user_sgpr_kernarg_preload_length 0
		.amdhsa_user_sgpr_kernarg_preload_offset 0
		.amdhsa_user_sgpr_private_segment_size 0
		.amdhsa_uses_dynamic_stack 0
		.amdhsa_enable_private_segment 0
		.amdhsa_system_sgpr_workgroup_id_x 1
		.amdhsa_system_sgpr_workgroup_id_y 0
		.amdhsa_system_sgpr_workgroup_id_z 0
		.amdhsa_system_sgpr_workgroup_info 0
		.amdhsa_system_vgpr_workitem_id 0
		.amdhsa_next_free_vgpr 24
		.amdhsa_next_free_sgpr 38
		.amdhsa_accum_offset 24
		.amdhsa_reserve_vcc 1
		.amdhsa_float_round_mode_32 0
		.amdhsa_float_round_mode_16_64 0
		.amdhsa_float_denorm_mode_32 3
		.amdhsa_float_denorm_mode_16_64 3
		.amdhsa_dx10_clamp 1
		.amdhsa_ieee_mode 1
		.amdhsa_fp16_overflow 0
		.amdhsa_tg_split 0
		.amdhsa_exception_fp_ieee_invalid_op 0
		.amdhsa_exception_fp_denorm_src 0
		.amdhsa_exception_fp_ieee_div_zero 0
		.amdhsa_exception_fp_ieee_overflow 0
		.amdhsa_exception_fp_ieee_underflow 0
		.amdhsa_exception_fp_ieee_inexact 0
		.amdhsa_exception_int_div_zero 0
	.end_amdhsa_kernel
	.section	.text._ZN5aiter23act_and_mul_bias_kernelIDF16_DF16_afTnPFfRKT2_EXadL_ZNS_11silu_kernelIfEEfRKT_EELi4EEEvPT0_PS8_PKT1_PS2_il,"axG",@progbits,_ZN5aiter23act_and_mul_bias_kernelIDF16_DF16_afTnPFfRKT2_EXadL_ZNS_11silu_kernelIfEEfRKT_EELi4EEEvPT0_PS8_PKT1_PS2_il,comdat
.Lfunc_end127:
	.size	_ZN5aiter23act_and_mul_bias_kernelIDF16_DF16_afTnPFfRKT2_EXadL_ZNS_11silu_kernelIfEEfRKT_EELi4EEEvPT0_PS8_PKT1_PS2_il, .Lfunc_end127-_ZN5aiter23act_and_mul_bias_kernelIDF16_DF16_afTnPFfRKT2_EXadL_ZNS_11silu_kernelIfEEfRKT_EELi4EEEvPT0_PS8_PKT1_PS2_il
                                        ; -- End function
	.section	.AMDGPU.csdata,"",@progbits
; Kernel info:
; codeLenInByte = 1152
; NumSgprs: 44
; NumVgprs: 24
; NumAgprs: 0
; TotalNumVgprs: 24
; ScratchSize: 0
; MemoryBound: 0
; FloatMode: 240
; IeeeMode: 1
; LDSByteSize: 0 bytes/workgroup (compile time only)
; SGPRBlocks: 5
; VGPRBlocks: 2
; NumSGPRsForWavesPerEU: 44
; NumVGPRsForWavesPerEU: 24
; AccumOffset: 24
; Occupancy: 8
; WaveLimiterHint : 0
; COMPUTE_PGM_RSRC2:SCRATCH_EN: 0
; COMPUTE_PGM_RSRC2:USER_SGPR: 2
; COMPUTE_PGM_RSRC2:TRAP_HANDLER: 0
; COMPUTE_PGM_RSRC2:TGID_X_EN: 1
; COMPUTE_PGM_RSRC2:TGID_Y_EN: 0
; COMPUTE_PGM_RSRC2:TGID_Z_EN: 0
; COMPUTE_PGM_RSRC2:TIDIG_COMP_CNT: 0
; COMPUTE_PGM_RSRC3_GFX90A:ACCUM_OFFSET: 5
; COMPUTE_PGM_RSRC3_GFX90A:TG_SPLIT: 0
	.section	.text._ZN5aiter23act_and_mul_bias_kernelIDF16_DF16_afTnPFfRKT2_EXadL_ZNS_11silu_kernelIfEEfRKT_EELi2EEEvPT0_PS8_PKT1_PS2_il,"axG",@progbits,_ZN5aiter23act_and_mul_bias_kernelIDF16_DF16_afTnPFfRKT2_EXadL_ZNS_11silu_kernelIfEEfRKT_EELi2EEEvPT0_PS8_PKT1_PS2_il,comdat
	.protected	_ZN5aiter23act_and_mul_bias_kernelIDF16_DF16_afTnPFfRKT2_EXadL_ZNS_11silu_kernelIfEEfRKT_EELi2EEEvPT0_PS8_PKT1_PS2_il ; -- Begin function _ZN5aiter23act_and_mul_bias_kernelIDF16_DF16_afTnPFfRKT2_EXadL_ZNS_11silu_kernelIfEEfRKT_EELi2EEEvPT0_PS8_PKT1_PS2_il
	.globl	_ZN5aiter23act_and_mul_bias_kernelIDF16_DF16_afTnPFfRKT2_EXadL_ZNS_11silu_kernelIfEEfRKT_EELi2EEEvPT0_PS8_PKT1_PS2_il
	.p2align	8
	.type	_ZN5aiter23act_and_mul_bias_kernelIDF16_DF16_afTnPFfRKT2_EXadL_ZNS_11silu_kernelIfEEfRKT_EELi2EEEvPT0_PS8_PKT1_PS2_il,@function
_ZN5aiter23act_and_mul_bias_kernelIDF16_DF16_afTnPFfRKT2_EXadL_ZNS_11silu_kernelIfEEfRKT_EELi2EEEvPT0_PS8_PKT1_PS2_il: ; @_ZN5aiter23act_and_mul_bias_kernelIDF16_DF16_afTnPFfRKT2_EXadL_ZNS_11silu_kernelIfEEfRKT_EELi2EEEvPT0_PS8_PKT1_PS2_il
; %bb.0:
	s_load_dwordx2 s[4:5], s[0:1], 0x10
	s_load_dword s24, s[0:1], 0x20
	s_load_dwordx2 s[6:7], s[0:1], 0x28
	v_mov_b32_e32 v1, s2
	s_mov_b32 s9, 0
	s_waitcnt lgkmcnt(0)
	global_load_ubyte v1, v1, s[4:5]
	s_add_i32 s3, s24, 1
	v_mov_b64_e32 v[2:3], s[6:7]
	s_lshr_b32 s6, s3, 31
	s_add_i32 s3, s3, s6
	s_load_dwordx2 s[4:5], s[0:1], 0x0
	s_lshl_b32 s3, s3, 1
	s_ashr_i32 s25, s24, 31
	s_and_b32 s6, s3, -4
	s_mul_hi_u32 s8, s24, s2
	s_mul_i32 s7, s25, s2
	s_mul_i32 s12, s24, s2
	s_add_i32 s13, s8, s7
	s_lshl_b64 s[12:13], s[12:13], 1
	s_mov_b64 s[10:11], -1
	s_waitcnt vmcnt(0)
	v_readfirstlane_b32 s3, v1
	s_nop 1
	v_mov_b32_e32 v4, s3
	s_sext_i32_i8 s3, s3
	v_readfirstlane_b32 s8, v4
	s_bfe_i64 s[8:9], s[8:9], 0x80000
	s_waitcnt lgkmcnt(0)
	s_add_u32 s4, s4, s12
	s_addc_u32 s5, s5, s13
	s_and_b32 s5, s5, 0xffff
	s_cmp_gt_i32 s3, -1
	v_cmp_lt_i64_e32 vcc, s[8:9], v[2:3]
	s_cselect_b64 s[12:13], -1, 0
	s_and_b64 s[12:13], s[12:13], vcc
	s_and_b64 vcc, exec, s[12:13]
	v_lshlrev_b32_e32 v2, 1, v0
	s_cbranch_vccnz .LBB128_5
; %bb.1:
	v_cmp_gt_i32_e32 vcc, s24, v2
	s_and_saveexec_b64 s[10:11], vcc
	s_cbranch_execz .LBB128_4
; %bb.2:
	s_load_dword s3, s[0:1], 0x3c
	v_mov_b32_e32 v3, 0
	s_mov_b32 s13, 0
	v_lshlrev_b32_e32 v4, 2, v0
	s_mov_b64 s[14:15], 0
	s_waitcnt lgkmcnt(0)
	s_and_b32 s3, s3, 0xffff
	s_lshl_b32 s12, s3, 1
	s_lshl_b32 s3, s3, 2
	s_mov_b32 s7, 0x20000
	v_mov_b64_e32 v[0:1], v[2:3]
.LBB128_3:                              ; =>This Inner Loop Header: Depth=1
	v_lshl_add_u64 v[0:1], s[12:13], 0, v[0:1]
	v_cmp_le_i64_e32 vcc, s[24:25], v[0:1]
	buffer_store_dword v3, v4, s[4:7], 0 offen
	s_or_b64 s[14:15], vcc, s[14:15]
	v_add_u32_e32 v4, s3, v4
	s_andn2_b64 exec, exec, s[14:15]
	s_cbranch_execnz .LBB128_3
.LBB128_4:
	s_or_b64 exec, exec, s[10:11]
	s_mov_b64 s[10:11], 0
.LBB128_5:
	s_andn2_b64 vcc, exec, s[10:11]
	s_cbranch_vccnz .LBB128_9
; %bb.6:
	v_cmp_gt_i32_e32 vcc, s24, v2
	s_and_saveexec_b64 s[10:11], vcc
	s_cbranch_execz .LBB128_9
; %bb.7:
	s_load_dwordx2 s[10:11], s[0:1], 0x8
	s_load_dwordx2 s[12:13], s[0:1], 0x18
	s_mul_hi_i32 s9, s24, s8
	s_mul_i32 s8, s24, s8
	s_lshl_b64 s[8:9], s[8:9], 3
	s_mul_i32 s16, s2, s25
	s_waitcnt lgkmcnt(0)
	s_add_u32 s8, s12, s8
	s_addc_u32 s7, s13, s9
	s_lshl_b64 s[12:13], s[24:25], 2
	s_add_u32 s12, s8, s12
	s_mul_hi_u32 s17, s2, s24
	s_addc_u32 s13, s7, s13
	s_add_i32 s17, s17, s16
	s_mul_i32 s16, s2, s24
	s_lshl_b32 s14, s24, 2
	s_and_b32 s9, s7, 0xffff
	s_and_b32 s13, s13, 0xffff
	s_lshl_b64 s[16:17], s[16:17], 2
	s_add_u32 s16, s10, s16
	s_addc_u32 s2, s11, s17
	s_lshl_b64 s[10:11], s[24:25], 1
	s_add_u32 s20, s16, s10
	s_addc_u32 s10, s2, s11
	s_and_b32 s17, s2, 0xffff
	s_and_b32 s21, s10, 0xffff
	s_mov_b32 s7, 0x20000
	s_add_u32 s26, s0, 48
	s_mov_b32 s3, 0
	s_mov_b32 s15, s7
	v_mov_b32_e32 v3, 0
	s_addc_u32 s27, s1, 0
	s_mov_b64 s[28:29], 0
	s_mov_b32 s18, s6
	s_mov_b32 s19, s7
	s_mov_b32 s30, 0xbfb8aa3b
	s_mov_b32 s31, 0x42ce8ed0
	s_mov_b32 s33, 0xc2b17218
	v_mov_b32_e32 v0, 0x7f800000
	s_mov_b32 s22, s6
	s_mov_b32 s23, s7
	;; [unrolled: 1-line block ×4, first 2 shown]
.LBB128_8:                              ; =>This Inner Loop Header: Depth=1
	v_lshlrev_b32_e32 v1, 1, v2
	v_lshlrev_b32_e32 v8, 2, v2
	buffer_load_dword v9, v1, s[20:23], 0 offen
	buffer_load_dword v11, v1, s[16:19], 0 offen
	buffer_load_dwordx2 v[4:5], v8, s[8:11], 0 offen
	buffer_load_dwordx2 v[6:7], v8, s[12:15], 0 offen
	s_waitcnt vmcnt(3)
	v_cvt_f32_f16_e32 v8, v9
	s_waitcnt vmcnt(2)
	v_cvt_f32_f16_e32 v10, v11
	v_cvt_f32_f16_sdwa v11, v11 dst_sel:DWORD dst_unused:UNUSED_PAD src0_sel:WORD_1
	v_cvt_f32_f16_sdwa v9, v9 dst_sel:DWORD dst_unused:UNUSED_PAD src0_sel:WORD_1
	s_waitcnt vmcnt(1)
	v_pk_add_f32 v[4:5], v[4:5], v[10:11]
	s_waitcnt vmcnt(0)
	v_pk_add_f32 v[6:7], v[6:7], v[8:9]
	v_mul_f32_e32 v8, 0xbfb8aa3b, v5
	v_mul_f32_e32 v9, 0xbfb8aa3b, v4
	v_fma_f32 v10, v5, s30, -v8
	v_rndne_f32_e32 v11, v8
	v_fma_f32 v12, v4, s30, -v9
	v_rndne_f32_e32 v13, v9
	v_fmac_f32_e32 v10, 0xb2a5705f, v5
	v_sub_f32_e32 v8, v8, v11
	v_fmac_f32_e32 v12, 0xb2a5705f, v4
	v_sub_f32_e32 v9, v9, v13
	v_add_f32_e32 v8, v8, v10
	v_add_f32_e32 v9, v9, v12
	v_cvt_i32_f32_e32 v11, v11
	v_cvt_i32_f32_e32 v13, v13
	v_exp_f32_e32 v8, v8
	v_exp_f32_e32 v9, v9
	v_cmp_nlt_f32_e32 vcc, s31, v4
	v_cmp_nlt_f32_e64 s[0:1], s31, v5
	v_ldexp_f32 v8, v8, v11
	v_ldexp_f32 v9, v9, v13
	v_cndmask_b32_e64 v8, 0, v8, s[0:1]
	v_cndmask_b32_e32 v9, 0, v9, vcc
	v_cmp_ngt_f32_e32 vcc, s33, v4
	v_cmp_ngt_f32_e64 s[0:1], s33, v5
	s_nop 0
	v_cndmask_b32_e32 v9, v0, v9, vcc
	v_cndmask_b32_e64 v8, v0, v8, s[0:1]
	v_add_f32_e32 v8, 1.0, v8
	v_add_f32_e32 v10, 1.0, v9
	v_rcp_f32_e32 v9, v8
	v_rcp_f32_e32 v8, v10
	s_nop 0
	v_pk_mul_f32 v[4:5], v[4:5], v[8:9]
	s_nop 0
	;;#ASMSTART
	v_pk_mul_f32 v[4:5], v[4:5], v[6:7]
	;;#ASMEND
	s_load_dword s0, s[26:27], 0xc
	v_cvt_f16_f32_e32 v4, v4
	v_cvt_f16_f32_e32 v5, v5
	s_waitcnt lgkmcnt(0)
	s_and_b32 s0, s0, 0xffff
	s_lshl_b32 s2, s0, 1
	v_lshl_add_u64 v[2:3], s[2:3], 0, v[2:3]
	v_cmp_le_i64_e32 vcc, s[24:25], v[2:3]
	v_pack_b32_f16 v4, v4, v5
	s_or_b64 s[28:29], vcc, s[28:29]
	buffer_store_dword v4, v1, s[4:7], 0 offen
	s_andn2_b64 exec, exec, s[28:29]
	s_cbranch_execnz .LBB128_8
.LBB128_9:
	s_endpgm
	.section	.rodata,"a",@progbits
	.p2align	6, 0x0
	.amdhsa_kernel _ZN5aiter23act_and_mul_bias_kernelIDF16_DF16_afTnPFfRKT2_EXadL_ZNS_11silu_kernelIfEEfRKT_EELi2EEEvPT0_PS8_PKT1_PS2_il
		.amdhsa_group_segment_fixed_size 0
		.amdhsa_private_segment_fixed_size 0
		.amdhsa_kernarg_size 304
		.amdhsa_user_sgpr_count 2
		.amdhsa_user_sgpr_dispatch_ptr 0
		.amdhsa_user_sgpr_queue_ptr 0
		.amdhsa_user_sgpr_kernarg_segment_ptr 1
		.amdhsa_user_sgpr_dispatch_id 0
		.amdhsa_user_sgpr_kernarg_preload_length 0
		.amdhsa_user_sgpr_kernarg_preload_offset 0
		.amdhsa_user_sgpr_private_segment_size 0
		.amdhsa_uses_dynamic_stack 0
		.amdhsa_enable_private_segment 0
		.amdhsa_system_sgpr_workgroup_id_x 1
		.amdhsa_system_sgpr_workgroup_id_y 0
		.amdhsa_system_sgpr_workgroup_id_z 0
		.amdhsa_system_sgpr_workgroup_info 0
		.amdhsa_system_vgpr_workitem_id 0
		.amdhsa_next_free_vgpr 14
		.amdhsa_next_free_sgpr 34
		.amdhsa_accum_offset 16
		.amdhsa_reserve_vcc 1
		.amdhsa_float_round_mode_32 0
		.amdhsa_float_round_mode_16_64 0
		.amdhsa_float_denorm_mode_32 3
		.amdhsa_float_denorm_mode_16_64 3
		.amdhsa_dx10_clamp 1
		.amdhsa_ieee_mode 1
		.amdhsa_fp16_overflow 0
		.amdhsa_tg_split 0
		.amdhsa_exception_fp_ieee_invalid_op 0
		.amdhsa_exception_fp_denorm_src 0
		.amdhsa_exception_fp_ieee_div_zero 0
		.amdhsa_exception_fp_ieee_overflow 0
		.amdhsa_exception_fp_ieee_underflow 0
		.amdhsa_exception_fp_ieee_inexact 0
		.amdhsa_exception_int_div_zero 0
	.end_amdhsa_kernel
	.section	.text._ZN5aiter23act_and_mul_bias_kernelIDF16_DF16_afTnPFfRKT2_EXadL_ZNS_11silu_kernelIfEEfRKT_EELi2EEEvPT0_PS8_PKT1_PS2_il,"axG",@progbits,_ZN5aiter23act_and_mul_bias_kernelIDF16_DF16_afTnPFfRKT2_EXadL_ZNS_11silu_kernelIfEEfRKT_EELi2EEEvPT0_PS8_PKT1_PS2_il,comdat
.Lfunc_end128:
	.size	_ZN5aiter23act_and_mul_bias_kernelIDF16_DF16_afTnPFfRKT2_EXadL_ZNS_11silu_kernelIfEEfRKT_EELi2EEEvPT0_PS8_PKT1_PS2_il, .Lfunc_end128-_ZN5aiter23act_and_mul_bias_kernelIDF16_DF16_afTnPFfRKT2_EXadL_ZNS_11silu_kernelIfEEfRKT_EELi2EEEvPT0_PS8_PKT1_PS2_il
                                        ; -- End function
	.section	.AMDGPU.csdata,"",@progbits
; Kernel info:
; codeLenInByte = 900
; NumSgprs: 40
; NumVgprs: 14
; NumAgprs: 0
; TotalNumVgprs: 14
; ScratchSize: 0
; MemoryBound: 0
; FloatMode: 240
; IeeeMode: 1
; LDSByteSize: 0 bytes/workgroup (compile time only)
; SGPRBlocks: 4
; VGPRBlocks: 1
; NumSGPRsForWavesPerEU: 40
; NumVGPRsForWavesPerEU: 14
; AccumOffset: 16
; Occupancy: 8
; WaveLimiterHint : 0
; COMPUTE_PGM_RSRC2:SCRATCH_EN: 0
; COMPUTE_PGM_RSRC2:USER_SGPR: 2
; COMPUTE_PGM_RSRC2:TRAP_HANDLER: 0
; COMPUTE_PGM_RSRC2:TGID_X_EN: 1
; COMPUTE_PGM_RSRC2:TGID_Y_EN: 0
; COMPUTE_PGM_RSRC2:TGID_Z_EN: 0
; COMPUTE_PGM_RSRC2:TIDIG_COMP_CNT: 0
; COMPUTE_PGM_RSRC3_GFX90A:ACCUM_OFFSET: 3
; COMPUTE_PGM_RSRC3_GFX90A:TG_SPLIT: 0
	.section	.text._ZN5aiter23act_and_mul_bias_kernelIDF16_DF16_afTnPFfRKT2_EXadL_ZNS_11silu_kernelIfEEfRKT_EELi1EEEvPT0_PS8_PKT1_PS2_il,"axG",@progbits,_ZN5aiter23act_and_mul_bias_kernelIDF16_DF16_afTnPFfRKT2_EXadL_ZNS_11silu_kernelIfEEfRKT_EELi1EEEvPT0_PS8_PKT1_PS2_il,comdat
	.protected	_ZN5aiter23act_and_mul_bias_kernelIDF16_DF16_afTnPFfRKT2_EXadL_ZNS_11silu_kernelIfEEfRKT_EELi1EEEvPT0_PS8_PKT1_PS2_il ; -- Begin function _ZN5aiter23act_and_mul_bias_kernelIDF16_DF16_afTnPFfRKT2_EXadL_ZNS_11silu_kernelIfEEfRKT_EELi1EEEvPT0_PS8_PKT1_PS2_il
	.globl	_ZN5aiter23act_and_mul_bias_kernelIDF16_DF16_afTnPFfRKT2_EXadL_ZNS_11silu_kernelIfEEfRKT_EELi1EEEvPT0_PS8_PKT1_PS2_il
	.p2align	8
	.type	_ZN5aiter23act_and_mul_bias_kernelIDF16_DF16_afTnPFfRKT2_EXadL_ZNS_11silu_kernelIfEEfRKT_EELi1EEEvPT0_PS8_PKT1_PS2_il,@function
_ZN5aiter23act_and_mul_bias_kernelIDF16_DF16_afTnPFfRKT2_EXadL_ZNS_11silu_kernelIfEEfRKT_EELi1EEEvPT0_PS8_PKT1_PS2_il: ; @_ZN5aiter23act_and_mul_bias_kernelIDF16_DF16_afTnPFfRKT2_EXadL_ZNS_11silu_kernelIfEEfRKT_EELi1EEEvPT0_PS8_PKT1_PS2_il
; %bb.0:
	s_load_dwordx2 s[4:5], s[0:1], 0x10
	s_load_dword s20, s[0:1], 0x20
	s_load_dwordx2 s[6:7], s[0:1], 0x28
	v_mov_b32_e32 v1, s2
	s_mov_b32 s9, 0
	s_waitcnt lgkmcnt(0)
	global_load_ubyte v1, v1, s[4:5]
	s_add_i32 s3, s20, 1
	s_ashr_i32 s21, s20, 31
	v_mov_b64_e32 v[2:3], s[6:7]
	s_lshr_b32 s6, s3, 31
	s_mul_hi_u32 s8, s20, s2
	s_mul_i32 s7, s21, s2
	s_add_i32 s3, s3, s6
	s_load_dwordx2 s[4:5], s[0:1], 0x0
	s_mul_i32 s10, s20, s2
	s_add_i32 s11, s8, s7
	s_lshl_b32 s3, s3, 1
	s_lshl_b64 s[14:15], s[10:11], 1
	s_and_b32 s10, s3, -4
	s_mov_b64 s[12:13], -1
	s_waitcnt vmcnt(0)
	v_readfirstlane_b32 s3, v1
	s_nop 1
	v_mov_b32_e32 v4, s3
	s_sext_i32_i8 s3, s3
	v_readfirstlane_b32 s8, v4
	s_bfe_i64 s[6:7], s[8:9], 0x80000
	s_waitcnt lgkmcnt(0)
	s_add_u32 s8, s4, s14
	s_addc_u32 s4, s5, s15
	s_and_b32 s9, s4, 0xffff
	s_cmp_gt_i32 s3, -1
	v_cmp_lt_i64_e32 vcc, s[6:7], v[2:3]
	s_cselect_b64 s[4:5], -1, 0
	s_and_b64 s[4:5], s[4:5], vcc
	s_and_b64 vcc, exec, s[4:5]
	v_cmp_gt_i32_e64 s[4:5], s20, v0
	s_cbranch_vccnz .LBB129_5
; %bb.1:
	s_and_saveexec_b64 s[12:13], s[4:5]
	s_cbranch_execz .LBB129_4
; %bb.2:
	s_load_dword s3, s[0:1], 0x3c
	v_mov_b32_e32 v1, 0
	s_mov_b32 s5, 0
	v_lshlrev_b32_e32 v4, 1, v0
	s_mov_b64 s[14:15], 0
	s_waitcnt lgkmcnt(0)
	s_and_b32 s4, s3, 0xffff
	s_lshl_b32 s3, s4, 1
	s_mov_b32 s11, 0x20000
	v_mov_b64_e32 v[2:3], v[0:1]
.LBB129_3:                              ; =>This Inner Loop Header: Depth=1
	v_lshl_add_u64 v[2:3], v[2:3], 0, s[4:5]
	v_cmp_le_i64_e32 vcc, s[20:21], v[2:3]
	buffer_store_short v1, v4, s[8:11], 0 offen
	s_or_b64 s[14:15], vcc, s[14:15]
	v_add_u32_e32 v4, s3, v4
	s_andn2_b64 exec, exec, s[14:15]
	s_cbranch_execnz .LBB129_3
.LBB129_4:
	s_or_b64 exec, exec, s[12:13]
	s_mov_b64 s[12:13], 0
.LBB129_5:
	s_andn2_b64 vcc, exec, s[12:13]
	s_cbranch_vccnz .LBB129_9
; %bb.6:
	v_cmp_gt_i32_e32 vcc, s20, v0
	s_and_saveexec_b64 s[4:5], vcc
	s_cbranch_execz .LBB129_9
; %bb.7:
	s_load_dwordx2 s[12:13], s[0:1], 0x8
	s_load_dwordx2 s[4:5], s[0:1], 0x18
	s_mul_hi_i32 s7, s20, s6
	s_mul_i32 s6, s20, s6
	s_lshl_b64 s[6:7], s[6:7], 3
	s_load_dword s14, s[0:1], 0x3c
	s_waitcnt lgkmcnt(0)
	s_add_u32 s4, s4, s6
	s_addc_u32 s3, s5, s7
	s_lshl_b64 s[0:1], s[20:21], 2
	s_add_u32 s0, s4, s0
	s_addc_u32 s1, s3, s1
	s_and_b32 s5, s3, 0xffff
	s_mul_i32 s3, s2, s21
	s_mul_hi_u32 s15, s2, s20
	s_add_i32 s3, s15, s3
	s_mul_i32 s2, s2, s20
	s_lshl_b32 s6, s20, 2
	s_and_b32 s1, s1, 0xffff
	s_lshl_b64 s[2:3], s[2:3], 2
	s_add_u32 s12, s12, s2
	s_addc_u32 s13, s13, s3
	s_lshl_b64 s[2:3], s[20:21], 1
	s_add_u32 s16, s12, s2
	s_mov_b32 s11, 0x20000
	s_addc_u32 s2, s13, s3
	s_and_b32 s22, s14, 0xffff
	s_mov_b32 s23, 0
	s_mov_b32 s7, s11
	s_and_b32 s13, s13, 0xffff
	s_and_b32 s17, s2, 0xffff
	v_mov_b32_e32 v1, 0
	v_lshlrev_b32_e32 v2, 2, v0
	s_lshl_b32 s26, s22, 2
	v_lshlrev_b32_e32 v3, 1, v0
	s_lshl_b32 s27, s22, 1
	s_mov_b64 s[24:25], 0
	s_mov_b32 s28, 0xbfb8aa3b
	s_mov_b32 s29, 0x42ce8ed0
	;; [unrolled: 1-line block ×3, first 2 shown]
	v_mov_b32_e32 v4, 0x7f800000
	s_mov_b32 s14, s10
	s_mov_b32 s15, s11
	;; [unrolled: 1-line block ×4, first 2 shown]
.LBB129_8:                              ; =>This Inner Loop Header: Depth=1
	buffer_load_ushort v5, v3, s[12:15], 0 offen
	buffer_load_ushort v8, v3, s[16:19], 0 offen
	s_mov_b32 s2, s6
	s_mov_b32 s3, s7
	buffer_load_dword v7, v2, s[4:7], 0 offen
	buffer_load_dword v6, v2, s[0:3], 0 offen
	v_lshl_add_u64 v[0:1], v[0:1], 0, s[22:23]
	v_add_u32_e32 v2, s26, v2
	s_waitcnt vmcnt(3)
	v_cvt_f32_f16_e32 v9, v5
	s_waitcnt vmcnt(2)
	v_cvt_f32_f16_e32 v8, v8
	s_waitcnt vmcnt(0)
	v_pk_add_f32 v[6:7], v[8:9], v[6:7]
	s_nop 0
	v_mul_f32_e32 v5, 0xbfb8aa3b, v7
	v_fma_f32 v8, v7, s28, -v5
	v_rndne_f32_e32 v9, v5
	v_fmac_f32_e32 v8, 0xb2a5705f, v7
	v_sub_f32_e32 v5, v5, v9
	v_add_f32_e32 v5, v5, v8
	v_cvt_i32_f32_e32 v9, v9
	v_exp_f32_e32 v5, v5
	v_cmp_nlt_f32_e32 vcc, s29, v7
	v_ldexp_f32 v5, v5, v9
	s_nop 0
	v_cndmask_b32_e32 v5, 0, v5, vcc
	v_cmp_ngt_f32_e32 vcc, s30, v7
	s_nop 1
	v_cndmask_b32_e32 v5, v4, v5, vcc
	v_add_f32_e32 v5, 1.0, v5
	v_rcp_f32_e32 v5, v5
	v_cmp_le_i64_e32 vcc, s[20:21], v[0:1]
	s_or_b64 s[24:25], vcc, s[24:25]
	v_mul_f32_e32 v5, v7, v5
	v_fma_mixlo_f16 v5, v6, v5, 0
	buffer_store_short v5, v3, s[8:11], 0 offen
	v_add_u32_e32 v3, s27, v3
	s_andn2_b64 exec, exec, s[24:25]
	s_cbranch_execnz .LBB129_8
.LBB129_9:
	s_endpgm
	.section	.rodata,"a",@progbits
	.p2align	6, 0x0
	.amdhsa_kernel _ZN5aiter23act_and_mul_bias_kernelIDF16_DF16_afTnPFfRKT2_EXadL_ZNS_11silu_kernelIfEEfRKT_EELi1EEEvPT0_PS8_PKT1_PS2_il
		.amdhsa_group_segment_fixed_size 0
		.amdhsa_private_segment_fixed_size 0
		.amdhsa_kernarg_size 304
		.amdhsa_user_sgpr_count 2
		.amdhsa_user_sgpr_dispatch_ptr 0
		.amdhsa_user_sgpr_queue_ptr 0
		.amdhsa_user_sgpr_kernarg_segment_ptr 1
		.amdhsa_user_sgpr_dispatch_id 0
		.amdhsa_user_sgpr_kernarg_preload_length 0
		.amdhsa_user_sgpr_kernarg_preload_offset 0
		.amdhsa_user_sgpr_private_segment_size 0
		.amdhsa_uses_dynamic_stack 0
		.amdhsa_enable_private_segment 0
		.amdhsa_system_sgpr_workgroup_id_x 1
		.amdhsa_system_sgpr_workgroup_id_y 0
		.amdhsa_system_sgpr_workgroup_id_z 0
		.amdhsa_system_sgpr_workgroup_info 0
		.amdhsa_system_vgpr_workitem_id 0
		.amdhsa_next_free_vgpr 10
		.amdhsa_next_free_sgpr 31
		.amdhsa_accum_offset 12
		.amdhsa_reserve_vcc 1
		.amdhsa_float_round_mode_32 0
		.amdhsa_float_round_mode_16_64 0
		.amdhsa_float_denorm_mode_32 3
		.amdhsa_float_denorm_mode_16_64 3
		.amdhsa_dx10_clamp 1
		.amdhsa_ieee_mode 1
		.amdhsa_fp16_overflow 0
		.amdhsa_tg_split 0
		.amdhsa_exception_fp_ieee_invalid_op 0
		.amdhsa_exception_fp_denorm_src 0
		.amdhsa_exception_fp_ieee_div_zero 0
		.amdhsa_exception_fp_ieee_overflow 0
		.amdhsa_exception_fp_ieee_underflow 0
		.amdhsa_exception_fp_ieee_inexact 0
		.amdhsa_exception_int_div_zero 0
	.end_amdhsa_kernel
	.section	.text._ZN5aiter23act_and_mul_bias_kernelIDF16_DF16_afTnPFfRKT2_EXadL_ZNS_11silu_kernelIfEEfRKT_EELi1EEEvPT0_PS8_PKT1_PS2_il,"axG",@progbits,_ZN5aiter23act_and_mul_bias_kernelIDF16_DF16_afTnPFfRKT2_EXadL_ZNS_11silu_kernelIfEEfRKT_EELi1EEEvPT0_PS8_PKT1_PS2_il,comdat
.Lfunc_end129:
	.size	_ZN5aiter23act_and_mul_bias_kernelIDF16_DF16_afTnPFfRKT2_EXadL_ZNS_11silu_kernelIfEEfRKT_EELi1EEEvPT0_PS8_PKT1_PS2_il, .Lfunc_end129-_ZN5aiter23act_and_mul_bias_kernelIDF16_DF16_afTnPFfRKT2_EXadL_ZNS_11silu_kernelIfEEfRKT_EELi1EEEvPT0_PS8_PKT1_PS2_il
                                        ; -- End function
	.section	.AMDGPU.csdata,"",@progbits
; Kernel info:
; codeLenInByte = 756
; NumSgprs: 37
; NumVgprs: 10
; NumAgprs: 0
; TotalNumVgprs: 10
; ScratchSize: 0
; MemoryBound: 0
; FloatMode: 240
; IeeeMode: 1
; LDSByteSize: 0 bytes/workgroup (compile time only)
; SGPRBlocks: 4
; VGPRBlocks: 1
; NumSGPRsForWavesPerEU: 37
; NumVGPRsForWavesPerEU: 10
; AccumOffset: 12
; Occupancy: 8
; WaveLimiterHint : 0
; COMPUTE_PGM_RSRC2:SCRATCH_EN: 0
; COMPUTE_PGM_RSRC2:USER_SGPR: 2
; COMPUTE_PGM_RSRC2:TRAP_HANDLER: 0
; COMPUTE_PGM_RSRC2:TGID_X_EN: 1
; COMPUTE_PGM_RSRC2:TGID_Y_EN: 0
; COMPUTE_PGM_RSRC2:TGID_Z_EN: 0
; COMPUTE_PGM_RSRC2:TIDIG_COMP_CNT: 0
; COMPUTE_PGM_RSRC3_GFX90A:ACCUM_OFFSET: 2
; COMPUTE_PGM_RSRC3_GFX90A:TG_SPLIT: 0
	.section	.text._ZN5aiter23act_and_mul_bias_kernelIttafTnPFfRKT2_EXadL_ZNS_11silu_kernelIfEEfRKT_EELi32EEEvPT0_PS8_PKT1_PS2_il,"axG",@progbits,_ZN5aiter23act_and_mul_bias_kernelIttafTnPFfRKT2_EXadL_ZNS_11silu_kernelIfEEfRKT_EELi32EEEvPT0_PS8_PKT1_PS2_il,comdat
	.protected	_ZN5aiter23act_and_mul_bias_kernelIttafTnPFfRKT2_EXadL_ZNS_11silu_kernelIfEEfRKT_EELi32EEEvPT0_PS8_PKT1_PS2_il ; -- Begin function _ZN5aiter23act_and_mul_bias_kernelIttafTnPFfRKT2_EXadL_ZNS_11silu_kernelIfEEfRKT_EELi32EEEvPT0_PS8_PKT1_PS2_il
	.globl	_ZN5aiter23act_and_mul_bias_kernelIttafTnPFfRKT2_EXadL_ZNS_11silu_kernelIfEEfRKT_EELi32EEEvPT0_PS8_PKT1_PS2_il
	.p2align	8
	.type	_ZN5aiter23act_and_mul_bias_kernelIttafTnPFfRKT2_EXadL_ZNS_11silu_kernelIfEEfRKT_EELi32EEEvPT0_PS8_PKT1_PS2_il,@function
_ZN5aiter23act_and_mul_bias_kernelIttafTnPFfRKT2_EXadL_ZNS_11silu_kernelIfEEfRKT_EELi32EEEvPT0_PS8_PKT1_PS2_il: ; @_ZN5aiter23act_and_mul_bias_kernelIttafTnPFfRKT2_EXadL_ZNS_11silu_kernelIfEEfRKT_EELi32EEEvPT0_PS8_PKT1_PS2_il
; %bb.0:
	s_load_dwordx2 s[4:5], s[0:1], 0x10
	s_load_dword s6, s[0:1], 0x20
	s_load_dwordx2 s[8:9], s[0:1], 0x28
	v_mov_b32_e32 v1, s2
	s_load_dwordx2 s[14:15], s[0:1], 0x0
	s_waitcnt lgkmcnt(0)
	global_load_ubyte v1, v1, s[4:5]
	s_add_i32 s3, s6, 1
	s_ashr_i32 s7, s6, 31
	v_mov_b64_e32 v[2:3], s[8:9]
	s_lshr_b32 s8, s3, 31
	s_mul_hi_u32 s4, s6, s2
	s_mul_i32 s9, s7, s2
	s_add_i32 s3, s3, s8
	s_mul_i32 s10, s6, s2
	s_add_i32 s11, s4, s9
	s_lshl_b32 s3, s3, 1
	s_lshl_b64 s[8:9], s[10:11], 1
	s_and_b32 s10, s3, -4
	s_mov_b32 s5, 0
	s_mov_b64 s[12:13], -1
	s_waitcnt vmcnt(0)
	v_readfirstlane_b32 s3, v1
	s_nop 1
	v_mov_b32_e32 v4, s3
	s_sext_i32_i8 s3, s3
	v_readfirstlane_b32 s4, v4
	s_bfe_i64 s[4:5], s[4:5], 0x80000
	s_add_u32 s8, s14, s8
	v_cmp_lt_i64_e32 vcc, s[4:5], v[2:3]
	s_addc_u32 s5, s15, s9
	s_and_b32 s9, s5, 0xffff
	s_cmp_gt_i32 s3, -1
	s_cselect_b64 s[14:15], -1, 0
	s_and_b64 s[14:15], s[14:15], vcc
	s_and_b64 vcc, exec, s[14:15]
	v_lshlrev_b32_e32 v4, 5, v0
	s_cbranch_vccnz .LBB130_5
; %bb.1:
	v_cmp_gt_i32_e32 vcc, s6, v4
	s_and_saveexec_b64 s[12:13], vcc
	s_cbranch_execz .LBB130_4
; %bb.2:
	s_load_dword s3, s[0:1], 0x3c
	s_mov_b32 s15, 0
	s_mov_b32 s20, s15
	;; [unrolled: 1-line block ×3, first 2 shown]
	v_mov_b32_e32 v5, 0
	v_lshlrev_b32_e32 v8, 6, v0
	s_waitcnt lgkmcnt(0)
	s_and_b32 s3, s3, 0xffff
	s_mov_b32 s22, s15
	s_mov_b32 s23, s15
	v_mov_b64_e32 v[0:1], s[20:21]
	s_lshl_b32 s14, s3, 5
	s_lshl_b32 s3, s3, 6
	s_mov_b64 s[16:17], 0
	s_mov_b32 s11, 0x20000
	v_mov_b64_e32 v[2:3], s[22:23]
	v_mov_b64_e32 v[6:7], v[4:5]
.LBB130_3:                              ; =>This Inner Loop Header: Depth=1
	v_lshl_add_u64 v[6:7], s[14:15], 0, v[6:7]
	v_cmp_le_i64_e32 vcc, s[6:7], v[6:7]
	buffer_store_dwordx4 v[0:3], v8, s[8:11], 0 offen
	buffer_store_dwordx4 v[0:3], v8, s[8:11], 16 offen
	;; [unrolled: 1-line block ×4, first 2 shown]
	s_or_b64 s[16:17], vcc, s[16:17]
	v_add_u32_e32 v8, s3, v8
	s_andn2_b64 exec, exec, s[16:17]
	s_cbranch_execnz .LBB130_3
.LBB130_4:
	s_or_b64 exec, exec, s[12:13]
	s_mov_b64 s[12:13], 0
.LBB130_5:
	s_andn2_b64 vcc, exec, s[12:13]
	s_cbranch_vccnz .LBB130_9
; %bb.6:
	v_cmp_gt_i32_e32 vcc, s6, v4
	s_and_saveexec_b64 s[12:13], vcc
	s_cbranch_execz .LBB130_9
; %bb.7:
	s_load_dwordx2 s[18:19], s[0:1], 0x8
	s_load_dwordx2 s[12:13], s[0:1], 0x18
	s_mul_hi_i32 s5, s6, s4
	s_mul_i32 s4, s6, s4
	s_lshl_b64 s[4:5], s[4:5], 3
	s_mov_b32 s11, 0x20000
	s_waitcnt lgkmcnt(0)
	s_add_u32 s12, s12, s4
	s_addc_u32 s3, s13, s5
	s_lshl_b64 s[4:5], s[6:7], 2
	s_add_u32 s16, s12, s4
	s_addc_u32 s4, s3, s5
	s_and_b32 s13, s3, 0xffff
	s_and_b32 s17, s4, 0xffff
	s_mul_i32 s3, s2, s7
	s_mul_hi_u32 s4, s2, s6
	s_add_i32 s3, s4, s3
	s_mul_i32 s2, s2, s6
	s_lshl_b32 s14, s6, 2
	s_lshl_b64 s[2:3], s[2:3], 2
	s_add_u32 s20, s18, s2
	s_addc_u32 s4, s19, s3
	s_lshl_b64 s[2:3], s[6:7], 1
	s_add_u32 s24, s20, s2
	s_addc_u32 s2, s4, s3
	s_and_b32 s21, s4, 0xffff
	s_and_b32 s25, s2, 0xffff
	s_add_u32 s30, s0, 48
	s_mov_b32 s29, 0
	s_mov_b32 s15, s11
	v_mov_b32_e32 v5, 0
	s_addc_u32 s31, s1, 0
	s_mov_b64 s[34:35], 0
	s_mov_b32 s22, s10
	s_mov_b32 s23, s11
	s_movk_i32 s33, 0x50
	s_movk_i32 s36, 0x60
	;; [unrolled: 1-line block ×3, first 2 shown]
	s_mov_b32 s38, 0xbfb8aa3b
	s_mov_b32 s39, 0x42ce8ed0
	s_mov_b32 s40, 0xc2b17218
	v_mov_b32_e32 v76, 0x7f800000
	s_mov_b32 s41, 0x7060302
	s_mov_b32 s26, s10
	;; [unrolled: 1-line block ×3, first 2 shown]
.LBB130_8:                              ; =>This Inner Loop Header: Depth=1
	v_lshlrev_b32_e32 v77, 1, v4
	buffer_load_dwordx4 v[10:13], v77, s[24:27], 0 offen
	buffer_load_dwordx4 v[14:17], v77, s[20:23], 0 offen
	;; [unrolled: 1-line block ×8, first 2 shown]
	s_mov_b32 s18, s14
	s_mov_b32 s19, s15
	v_lshlrev_b32_e32 v82, 2, v4
	buffer_load_dwordx4 v[78:81], v82, s[16:19], 64 offen
	s_waitcnt vmcnt(8)
	v_and_b32_e32 v1, 0xffff0000, v10
	v_lshlrev_b32_e32 v0, 16, v10
	s_waitcnt vmcnt(7)
	v_and_b32_e32 v63, 0xffff0000, v14
	v_lshlrev_b32_e32 v62, 16, v14
	v_and_b32_e32 v3, 0xffff0000, v11
	v_lshlrev_b32_e32 v2, 16, v11
	;; [unrolled: 2-line block ×7, first 2 shown]
	s_waitcnt vmcnt(6)
	v_and_b32_e32 v13, 0xffff0000, v18
	v_lshlrev_b32_e32 v12, 16, v18
	s_waitcnt vmcnt(5)
	v_and_b32_e32 v55, 0xffff0000, v22
	v_lshlrev_b32_e32 v54, 16, v22
	v_and_b32_e32 v61, 0xffff0000, v19
	v_lshlrev_b32_e32 v60, 16, v19
	v_and_b32_e32 v59, 0xffff0000, v23
	v_lshlrev_b32_e32 v58, 16, v23
	v_and_b32_e32 v15, 0xffff0000, v20
	v_lshlrev_b32_e32 v14, 16, v20
	v_and_b32_e32 v19, 0xffff0000, v24
	v_lshlrev_b32_e32 v18, 16, v24
	v_and_b32_e32 v17, 0xffff0000, v21
	v_lshlrev_b32_e32 v16, 16, v21
	v_and_b32_e32 v47, 0xffff0000, v25
	v_lshlrev_b32_e32 v46, 16, v25
	s_waitcnt vmcnt(4)
	v_and_b32_e32 v21, 0xffff0000, v26
	v_lshlrev_b32_e32 v20, 16, v26
	v_and_b32_e32 v49, 0xffff0000, v27
	v_lshlrev_b32_e32 v48, 16, v27
	v_and_b32_e32 v23, 0xffff0000, v28
	v_lshlrev_b32_e32 v22, 16, v28
	v_and_b32_e32 v25, 0xffff0000, v29
	v_lshlrev_b32_e32 v24, 16, v29
	s_waitcnt vmcnt(3)
	v_and_b32_e32 v51, 0xffff0000, v30
	v_lshlrev_b32_e32 v50, 16, v30
	v_and_b32_e32 v53, 0xffff0000, v31
	v_lshlrev_b32_e32 v52, 16, v31
	v_and_b32_e32 v27, 0xffff0000, v32
	v_lshlrev_b32_e32 v26, 16, v32
	v_and_b32_e32 v39, 0xffff0000, v33
	v_lshlrev_b32_e32 v38, 16, v33
	s_waitcnt vmcnt(2)
	v_and_b32_e32 v29, 0xffff0000, v34
	v_lshlrev_b32_e32 v28, 16, v34
	v_and_b32_e32 v41, 0xffff0000, v35
	v_lshlrev_b32_e32 v40, 16, v35
	v_and_b32_e32 v31, 0xffff0000, v36
	v_lshlrev_b32_e32 v30, 16, v36
	v_and_b32_e32 v33, 0xffff0000, v37
	v_lshlrev_b32_e32 v32, 16, v37
	s_waitcnt vmcnt(1)
	v_and_b32_e32 v43, 0xffff0000, v66
	v_lshlrev_b32_e32 v42, 16, v66
	v_and_b32_e32 v45, 0xffff0000, v67
	v_lshlrev_b32_e32 v44, 16, v67
	v_and_b32_e32 v37, 0xffff0000, v68
	v_lshlrev_b32_e32 v36, 16, v68
	v_and_b32_e32 v35, 0xffff0000, v69
	v_lshlrev_b32_e32 v34, 16, v69
	buffer_load_dwordx4 v[66:69], v82, s[16:19], 0 offen
	s_waitcnt vmcnt(0)
	v_pk_add_f32 v[0:1], v[66:67], v[0:1]
	v_pk_add_f32 v[2:3], v[68:69], v[2:3]
	buffer_load_dwordx4 v[66:69], v82, s[12:15], 0 offen
	s_waitcnt vmcnt(0)
	v_pk_add_f32 v[74:75], v[66:67], v[62:63]
	v_pk_add_f32 v[72:73], v[68:69], v[64:65]
	buffer_load_dwordx4 v[62:65], v82, s[16:19], 16 offen
	v_cmp_nlt_f32_e32 vcc, s39, v75
	v_cmp_nlt_f32_e64 s[0:1], s39, v74
	v_cmp_ngt_f32_e64 s[2:3], s40, v75
	v_cmp_ngt_f32_e64 s[4:5], s40, v74
	s_waitcnt vmcnt(0)
	v_pk_add_f32 v[6:7], v[62:63], v[6:7]
	v_pk_add_f32 v[8:9], v[64:65], v[8:9]
	buffer_load_dwordx4 v[62:65], v82, s[12:15], 16 offen
	s_waitcnt vmcnt(0)
	v_pk_add_f32 v[70:71], v[62:63], v[10:11]
	v_pk_add_f32 v[68:69], v[64:65], v[56:57]
	buffer_load_dwordx4 v[62:65], v82, s[16:19], 32 offen
	;; [unrolled: 4-line block ×4, first 2 shown]
	s_waitcnt vmcnt(0)
	v_pk_add_f32 v[16:17], v[58:59], v[16:17]
	buffer_load_dwordx4 v[58:61], v82, s[12:15], 48 offen
	v_pk_add_f32 v[14:15], v[56:57], v[14:15]
	s_waitcnt vmcnt(0)
	v_pk_add_f32 v[58:59], v[58:59], v[18:19]
	v_pk_add_f32 v[62:63], v[60:61], v[46:47]
	;; [unrolled: 1-line block ×4, first 2 shown]
	buffer_load_dwordx4 v[46:49], v82, s[12:15], 64 offen
	s_waitcnt vmcnt(0)
	v_pk_add_f32 v[64:65], v[46:47], v[50:51]
	v_pk_add_f32 v[60:61], v[48:49], v[52:53]
	buffer_load_dwordx4 v[46:49], v82, s[16:19], s33 offen
	s_waitcnt vmcnt(0)
	v_pk_add_f32 v[22:23], v[46:47], v[22:23]
	v_pk_add_f32 v[24:25], v[48:49], v[24:25]
	;; [unrolled: 4-line block ×5, first 2 shown]
	buffer_load_dwordx4 v[38:41], v82, s[16:19], s37 offen
	buffer_load_dwordx4 v[44:47], v82, s[12:15], s37 offen
	s_waitcnt vmcnt(1)
	v_pk_add_f32 v[32:33], v[40:41], v[32:33]
	s_waitcnt vmcnt(0)
	v_pk_add_f32 v[40:41], v[44:45], v[36:37]
	v_mul_f32_e32 v36, 0xbfb8aa3b, v74
	v_pk_add_f32 v[30:31], v[38:39], v[30:31]
	v_fma_f32 v37, v74, s38, -v36
	v_rndne_f32_e32 v38, v36
	v_fmac_f32_e32 v37, 0xb2a5705f, v74
	v_sub_f32_e32 v36, v36, v38
	v_add_f32_e32 v36, v36, v37
	v_mul_f32_e32 v37, 0xbfb8aa3b, v75
	v_cvt_i32_f32_e32 v38, v38
	v_exp_f32_e32 v36, v36
	v_fma_f32 v39, v75, s38, -v37
	v_rndne_f32_e32 v44, v37
	v_fmac_f32_e32 v39, 0xb2a5705f, v75
	v_sub_f32_e32 v37, v37, v44
	v_add_f32_e32 v37, v37, v39
	v_ldexp_f32 v36, v36, v38
	v_cvt_i32_f32_e32 v38, v44
	v_exp_f32_e32 v37, v37
	v_pk_add_f32 v[34:35], v[46:47], v[34:35]
	v_cndmask_b32_e64 v36, 0, v36, s[0:1]
	v_cmp_nlt_f32_e64 s[0:1], s39, v72
	v_ldexp_f32 v37, v37, v38
	v_mul_f32_e32 v38, 0xbfb8aa3b, v72
	v_fma_f32 v39, v72, s38, -v38
	v_rndne_f32_e32 v44, v38
	v_fmac_f32_e32 v39, 0xb2a5705f, v72
	v_sub_f32_e32 v38, v38, v44
	v_add_f32_e32 v38, v38, v39
	v_mul_f32_e32 v39, 0xbfb8aa3b, v73
	v_cvt_i32_f32_e32 v44, v44
	v_exp_f32_e32 v38, v38
	v_fma_f32 v45, v73, s38, -v39
	v_rndne_f32_e32 v46, v39
	v_fmac_f32_e32 v45, 0xb2a5705f, v73
	v_sub_f32_e32 v39, v39, v46
	v_add_f32_e32 v39, v39, v45
	v_ldexp_f32 v38, v38, v44
	v_cvt_i32_f32_e32 v44, v46
	v_exp_f32_e32 v39, v39
	v_cndmask_b32_e32 v37, 0, v37, vcc
	v_cmp_nlt_f32_e32 vcc, s39, v73
	v_cndmask_b32_e64 v36, v76, v36, s[4:5]
	v_ldexp_f32 v39, v39, v44
	v_mul_f32_e32 v44, 0xbfb8aa3b, v70
	v_fma_f32 v45, v70, s38, -v44
	v_rndne_f32_e32 v46, v44
	v_fmac_f32_e32 v45, 0xb2a5705f, v70
	v_sub_f32_e32 v44, v44, v46
	v_add_f32_e32 v44, v44, v45
	v_mul_f32_e32 v45, 0xbfb8aa3b, v71
	v_cvt_i32_f32_e32 v46, v46
	v_exp_f32_e32 v44, v44
	v_fma_f32 v47, v71, s38, -v45
	v_rndne_f32_e32 v50, v45
	v_fmac_f32_e32 v47, 0xb2a5705f, v71
	v_sub_f32_e32 v45, v45, v50
	v_add_f32_e32 v45, v45, v47
	v_ldexp_f32 v44, v44, v46
	v_cvt_i32_f32_e32 v46, v50
	v_exp_f32_e32 v45, v45
	v_cndmask_b32_e64 v37, v76, v37, s[2:3]
	v_cmp_ngt_f32_e64 s[2:3], s40, v73
	v_cmp_ngt_f32_e64 s[4:5], s40, v72
	v_cndmask_b32_e64 v38, 0, v38, s[0:1]
	v_cndmask_b32_e32 v39, 0, v39, vcc
	v_ldexp_f32 v45, v45, v46
	v_cmp_nlt_f32_e32 vcc, s39, v71
	v_cmp_nlt_f32_e64 s[0:1], s39, v70
	v_cndmask_b32_e64 v38, v76, v38, s[4:5]
	v_cndmask_b32_e64 v39, v76, v39, s[2:3]
	v_cmp_ngt_f32_e64 s[2:3], s40, v71
	v_cmp_ngt_f32_e64 s[4:5], s40, v70
	v_cndmask_b32_e64 v44, 0, v44, s[0:1]
	v_cndmask_b32_e32 v45, 0, v45, vcc
	v_cndmask_b32_e64 v44, v76, v44, s[4:5]
	v_cndmask_b32_e64 v45, v76, v45, s[2:3]
	v_add_f32_e32 v44, 1.0, v44
	v_add_f32_e32 v45, 1.0, v45
	v_mul_f32_e32 v46, 0xbfb8aa3b, v68
	v_rcp_f32_e32 v44, v44
	v_rcp_f32_e32 v45, v45
	v_fma_f32 v47, v68, s38, -v46
	v_rndne_f32_e32 v50, v46
	v_fmac_f32_e32 v47, 0xb2a5705f, v68
	v_sub_f32_e32 v46, v46, v50
	v_add_f32_e32 v46, v46, v47
	v_mul_f32_e32 v47, 0xbfb8aa3b, v69
	v_cvt_i32_f32_e32 v50, v50
	v_exp_f32_e32 v46, v46
	v_pk_mul_f32 v[44:45], v[70:71], v[44:45]
	v_fma_f32 v51, v69, s38, -v47
	v_rndne_f32_e32 v70, v47
	v_fmac_f32_e32 v51, 0xb2a5705f, v69
	v_sub_f32_e32 v47, v47, v70
	v_add_f32_e32 v47, v47, v51
	v_ldexp_f32 v46, v46, v50
	v_cvt_i32_f32_e32 v50, v70
	v_exp_f32_e32 v47, v47
	v_cmp_nlt_f32_e32 vcc, s39, v69
	v_cmp_nlt_f32_e64 s[0:1], s39, v68
	v_cmp_ngt_f32_e64 s[2:3], s40, v69
	v_ldexp_f32 v47, v47, v50
	v_cmp_ngt_f32_e64 s[4:5], s40, v68
	v_cndmask_b32_e64 v46, 0, v46, s[0:1]
	v_cndmask_b32_e32 v47, 0, v47, vcc
	v_cndmask_b32_e64 v46, v76, v46, s[4:5]
	v_cndmask_b32_e64 v47, v76, v47, s[2:3]
	v_add_f32_e32 v46, 1.0, v46
	v_add_f32_e32 v47, 1.0, v47
	v_rcp_f32_e32 v46, v46
	v_rcp_f32_e32 v47, v47
	v_mul_f32_e32 v50, 0xbfb8aa3b, v66
	v_fma_f32 v51, v66, s38, -v50
	v_fmac_f32_e32 v51, 0xb2a5705f, v66
	v_pk_mul_f32 v[46:47], v[68:69], v[46:47]
	v_rndne_f32_e32 v68, v50
	v_sub_f32_e32 v50, v50, v68
	v_add_f32_e32 v50, v50, v51
	v_mul_f32_e32 v51, 0xbfb8aa3b, v67
	v_cvt_i32_f32_e32 v68, v68
	v_exp_f32_e32 v50, v50
	v_fma_f32 v69, v67, s38, -v51
	v_rndne_f32_e32 v70, v51
	v_fmac_f32_e32 v69, 0xb2a5705f, v67
	v_sub_f32_e32 v51, v51, v70
	v_add_f32_e32 v51, v51, v69
	v_ldexp_f32 v50, v50, v68
	v_cvt_i32_f32_e32 v68, v70
	v_exp_f32_e32 v51, v51
	v_cmp_nlt_f32_e32 vcc, s39, v67
	v_cmp_nlt_f32_e64 s[0:1], s39, v66
	v_cmp_ngt_f32_e64 s[2:3], s40, v67
	v_ldexp_f32 v51, v51, v68
	v_cmp_ngt_f32_e64 s[4:5], s40, v66
	v_cndmask_b32_e64 v50, 0, v50, s[0:1]
	v_cndmask_b32_e32 v51, 0, v51, vcc
	v_cndmask_b32_e64 v50, v76, v50, s[4:5]
	v_cndmask_b32_e64 v51, v76, v51, s[2:3]
	v_add_f32_e32 v50, 1.0, v50
	v_add_f32_e32 v51, 1.0, v51
	v_rcp_f32_e32 v50, v50
	v_rcp_f32_e32 v51, v51
	v_cmp_nlt_f32_e32 vcc, s39, v55
	v_cmp_nlt_f32_e64 s[0:1], s39, v54
	v_cmp_ngt_f32_e64 s[2:3], s40, v55
	v_pk_mul_f32 v[50:51], v[66:67], v[50:51]
	v_mul_f32_e32 v66, 0xbfb8aa3b, v54
	v_fma_f32 v67, v54, s38, -v66
	v_rndne_f32_e32 v68, v66
	v_fmac_f32_e32 v67, 0xb2a5705f, v54
	v_sub_f32_e32 v66, v66, v68
	v_add_f32_e32 v66, v66, v67
	v_mul_f32_e32 v67, 0xbfb8aa3b, v55
	v_cvt_i32_f32_e32 v68, v68
	v_exp_f32_e32 v66, v66
	v_fma_f32 v69, v55, s38, -v67
	v_rndne_f32_e32 v70, v67
	v_fmac_f32_e32 v69, 0xb2a5705f, v55
	v_sub_f32_e32 v67, v67, v70
	v_add_f32_e32 v67, v67, v69
	v_ldexp_f32 v66, v66, v68
	v_cvt_i32_f32_e32 v68, v70
	v_exp_f32_e32 v67, v67
	v_cmp_ngt_f32_e64 s[4:5], s40, v54
	v_cndmask_b32_e64 v66, 0, v66, s[0:1]
	v_cmp_nlt_f32_e64 s[0:1], s39, v58
	v_ldexp_f32 v67, v67, v68
	v_cndmask_b32_e32 v67, 0, v67, vcc
	v_cndmask_b32_e64 v66, v76, v66, s[4:5]
	v_cndmask_b32_e64 v67, v76, v67, s[2:3]
	v_add_f32_e32 v66, 1.0, v66
	v_add_f32_e32 v67, 1.0, v67
	v_rcp_f32_e32 v66, v66
	v_rcp_f32_e32 v67, v67
	v_cmp_nlt_f32_e32 vcc, s39, v59
	v_cmp_ngt_f32_e64 s[2:3], s40, v59
	v_cmp_ngt_f32_e64 s[4:5], s40, v58
	v_pk_mul_f32 v[54:55], v[54:55], v[66:67]
	v_mul_f32_e32 v66, 0xbfb8aa3b, v58
	v_fma_f32 v67, v58, s38, -v66
	v_rndne_f32_e32 v68, v66
	v_fmac_f32_e32 v67, 0xb2a5705f, v58
	v_sub_f32_e32 v66, v66, v68
	v_add_f32_e32 v66, v66, v67
	v_mul_f32_e32 v67, 0xbfb8aa3b, v59
	v_cvt_i32_f32_e32 v68, v68
	v_exp_f32_e32 v66, v66
	v_fma_f32 v69, v59, s38, -v67
	v_rndne_f32_e32 v70, v67
	v_fmac_f32_e32 v69, 0xb2a5705f, v59
	v_sub_f32_e32 v67, v67, v70
	v_add_f32_e32 v67, v67, v69
	v_ldexp_f32 v66, v66, v68
	v_cvt_i32_f32_e32 v68, v70
	v_exp_f32_e32 v67, v67
	v_cndmask_b32_e64 v66, 0, v66, s[0:1]
	v_cndmask_b32_e64 v66, v76, v66, s[4:5]
	v_add_f32_e32 v66, 1.0, v66
	v_ldexp_f32 v67, v67, v68
	v_cndmask_b32_e32 v67, 0, v67, vcc
	v_cndmask_b32_e64 v67, v76, v67, s[2:3]
	v_add_f32_e32 v67, 1.0, v67
	v_rcp_f32_e32 v66, v66
	v_rcp_f32_e32 v67, v67
	v_cmp_nlt_f32_e32 vcc, s39, v63
	v_cmp_nlt_f32_e64 s[0:1], s39, v62
	v_cmp_ngt_f32_e64 s[2:3], s40, v63
	v_pk_mul_f32 v[58:59], v[58:59], v[66:67]
	v_mul_f32_e32 v66, 0xbfb8aa3b, v62
	v_fma_f32 v67, v62, s38, -v66
	v_rndne_f32_e32 v68, v66
	v_fmac_f32_e32 v67, 0xb2a5705f, v62
	v_sub_f32_e32 v66, v66, v68
	v_add_f32_e32 v66, v66, v67
	v_mul_f32_e32 v67, 0xbfb8aa3b, v63
	v_cvt_i32_f32_e32 v68, v68
	v_exp_f32_e32 v66, v66
	v_fma_f32 v69, v63, s38, -v67
	v_rndne_f32_e32 v70, v67
	v_fmac_f32_e32 v69, 0xb2a5705f, v63
	v_sub_f32_e32 v67, v67, v70
	v_add_f32_e32 v67, v67, v69
	v_ldexp_f32 v66, v66, v68
	v_cvt_i32_f32_e32 v68, v70
	v_exp_f32_e32 v67, v67
	v_cmp_ngt_f32_e64 s[4:5], s40, v62
	v_cndmask_b32_e64 v66, 0, v66, s[0:1]
	v_cmp_nlt_f32_e64 s[0:1], s39, v64
	v_ldexp_f32 v67, v67, v68
	v_cndmask_b32_e32 v67, 0, v67, vcc
	v_cndmask_b32_e64 v66, v76, v66, s[4:5]
	v_cndmask_b32_e64 v67, v76, v67, s[2:3]
	v_add_f32_e32 v66, 1.0, v66
	v_add_f32_e32 v67, 1.0, v67
	v_rcp_f32_e32 v66, v66
	v_rcp_f32_e32 v67, v67
	v_cmp_nlt_f32_e32 vcc, s39, v65
	v_cmp_ngt_f32_e64 s[2:3], s40, v65
	v_cmp_ngt_f32_e64 s[4:5], s40, v64
	v_pk_mul_f32 v[62:63], v[62:63], v[66:67]
	v_mul_f32_e32 v66, 0xbfb8aa3b, v64
	v_fma_f32 v67, v64, s38, -v66
	v_rndne_f32_e32 v68, v66
	v_fmac_f32_e32 v67, 0xb2a5705f, v64
	v_sub_f32_e32 v66, v66, v68
	v_add_f32_e32 v66, v66, v67
	v_mul_f32_e32 v67, 0xbfb8aa3b, v65
	v_cvt_i32_f32_e32 v68, v68
	v_exp_f32_e32 v66, v66
	v_fma_f32 v69, v65, s38, -v67
	v_rndne_f32_e32 v70, v67
	v_fmac_f32_e32 v69, 0xb2a5705f, v65
	v_sub_f32_e32 v67, v67, v70
	v_add_f32_e32 v67, v67, v69
	v_ldexp_f32 v66, v66, v68
	v_cvt_i32_f32_e32 v68, v70
	v_exp_f32_e32 v67, v67
	v_cndmask_b32_e64 v66, 0, v66, s[0:1]
	v_cndmask_b32_e64 v66, v76, v66, s[4:5]
	v_add_f32_e32 v66, 1.0, v66
	v_ldexp_f32 v67, v67, v68
	v_cndmask_b32_e32 v67, 0, v67, vcc
	v_cndmask_b32_e64 v67, v76, v67, s[2:3]
	;; [unrolled: 62-line block ×5, first 2 shown]
	v_add_f32_e32 v67, 1.0, v67
	v_rcp_f32_e32 v66, v66
	v_rcp_f32_e32 v67, v67
	v_cmp_nlt_f32_e32 vcc, s39, v35
	v_cmp_nlt_f32_e64 s[0:1], s39, v34
	v_cmp_ngt_f32_e64 s[2:3], s40, v35
	v_pk_mul_f32 v[40:41], v[40:41], v[66:67]
	v_mul_f32_e32 v66, 0xbfb8aa3b, v34
	v_fma_f32 v67, v34, s38, -v66
	v_rndne_f32_e32 v68, v66
	v_fmac_f32_e32 v67, 0xb2a5705f, v34
	v_sub_f32_e32 v66, v66, v68
	v_add_f32_e32 v66, v66, v67
	v_mul_f32_e32 v67, 0xbfb8aa3b, v35
	v_cvt_i32_f32_e32 v68, v68
	v_exp_f32_e32 v66, v66
	v_fma_f32 v69, v35, s38, -v67
	v_rndne_f32_e32 v70, v67
	v_fmac_f32_e32 v69, 0xb2a5705f, v35
	v_sub_f32_e32 v67, v67, v70
	v_add_f32_e32 v67, v67, v69
	v_ldexp_f32 v66, v66, v68
	v_cvt_i32_f32_e32 v68, v70
	v_exp_f32_e32 v67, v67
	v_cmp_ngt_f32_e64 s[4:5], s40, v34
	v_cndmask_b32_e64 v66, 0, v66, s[0:1]
	v_add_f32_e32 v36, 1.0, v36
	v_ldexp_f32 v67, v67, v68
	v_cndmask_b32_e32 v67, 0, v67, vcc
	v_add_f32_e32 v37, 1.0, v37
	v_cndmask_b32_e64 v66, v76, v66, s[4:5]
	v_cndmask_b32_e64 v67, v76, v67, s[2:3]
	v_rcp_f32_e32 v36, v36
	v_rcp_f32_e32 v37, v37
	v_add_f32_e32 v38, 1.0, v38
	v_add_f32_e32 v39, 1.0, v39
	;; [unrolled: 1-line block ×4, first 2 shown]
	v_rcp_f32_e32 v38, v38
	v_rcp_f32_e32 v39, v39
	;; [unrolled: 1-line block ×4, first 2 shown]
	v_pk_mul_f32 v[36:37], v[74:75], v[36:37]
	v_pk_mul_f32 v[38:39], v[72:73], v[38:39]
	;;#ASMSTART
	v_pk_mul_f32 v[36:37], v[36:37], v[0:1]
	;;#ASMEND
	v_pk_mul_f32 v[34:35], v[34:35], v[66:67]
	;;#ASMSTART
	v_pk_mul_f32 v[0:1], v[38:39], v[2:3]
	;;#ASMEND
	;;#ASMSTART
	v_pk_mul_f32 v[6:7], v[44:45], v[6:7]
	;;#ASMEND
	;; [unrolled: 3-line block ×14, first 2 shown]
	s_nop 0
	;;#ASMSTART
	v_pk_mul_f32 v[30:31], v[34:35], v[32:33]
	;;#ASMEND
	s_load_dword s0, s[30:31], 0xc
	v_perm_b32 v1, v1, v0, s41
	v_perm_b32 v3, v3, v2, s41
	;; [unrolled: 1-line block ×4, first 2 shown]
	s_waitcnt lgkmcnt(0)
	s_and_b32 s0, s0, 0xffff
	s_lshl_b32 s28, s0, 5
	v_lshl_add_u64 v[4:5], s[28:29], 0, v[4:5]
	v_cmp_le_i64_e32 vcc, s[6:7], v[4:5]
	v_perm_b32 v7, v9, v8, s41
	v_perm_b32 v9, v15, v14, s41
	;; [unrolled: 1-line block ×8, first 2 shown]
	s_or_b64 s[34:35], vcc, s[34:35]
	v_perm_b32 v8, v13, v12, s41
	v_perm_b32 v11, v19, v18, s41
	;; [unrolled: 1-line block ×4, first 2 shown]
	buffer_store_dwordx4 v[0:3], v77, s[8:11], 0 offen
	buffer_store_dwordx4 v[6:9], v77, s[8:11], 16 offen
	;; [unrolled: 1-line block ×4, first 2 shown]
	s_andn2_b64 exec, exec, s[34:35]
	s_cbranch_execnz .LBB130_8
.LBB130_9:
	s_endpgm
	.section	.rodata,"a",@progbits
	.p2align	6, 0x0
	.amdhsa_kernel _ZN5aiter23act_and_mul_bias_kernelIttafTnPFfRKT2_EXadL_ZNS_11silu_kernelIfEEfRKT_EELi32EEEvPT0_PS8_PKT1_PS2_il
		.amdhsa_group_segment_fixed_size 0
		.amdhsa_private_segment_fixed_size 0
		.amdhsa_kernarg_size 304
		.amdhsa_user_sgpr_count 2
		.amdhsa_user_sgpr_dispatch_ptr 0
		.amdhsa_user_sgpr_queue_ptr 0
		.amdhsa_user_sgpr_kernarg_segment_ptr 1
		.amdhsa_user_sgpr_dispatch_id 0
		.amdhsa_user_sgpr_kernarg_preload_length 0
		.amdhsa_user_sgpr_kernarg_preload_offset 0
		.amdhsa_user_sgpr_private_segment_size 0
		.amdhsa_uses_dynamic_stack 0
		.amdhsa_enable_private_segment 0
		.amdhsa_system_sgpr_workgroup_id_x 1
		.amdhsa_system_sgpr_workgroup_id_y 0
		.amdhsa_system_sgpr_workgroup_id_z 0
		.amdhsa_system_sgpr_workgroup_info 0
		.amdhsa_system_vgpr_workitem_id 0
		.amdhsa_next_free_vgpr 83
		.amdhsa_next_free_sgpr 42
		.amdhsa_accum_offset 84
		.amdhsa_reserve_vcc 1
		.amdhsa_float_round_mode_32 0
		.amdhsa_float_round_mode_16_64 0
		.amdhsa_float_denorm_mode_32 3
		.amdhsa_float_denorm_mode_16_64 3
		.amdhsa_dx10_clamp 1
		.amdhsa_ieee_mode 1
		.amdhsa_fp16_overflow 0
		.amdhsa_tg_split 0
		.amdhsa_exception_fp_ieee_invalid_op 0
		.amdhsa_exception_fp_denorm_src 0
		.amdhsa_exception_fp_ieee_div_zero 0
		.amdhsa_exception_fp_ieee_overflow 0
		.amdhsa_exception_fp_ieee_underflow 0
		.amdhsa_exception_fp_ieee_inexact 0
		.amdhsa_exception_int_div_zero 0
	.end_amdhsa_kernel
	.section	.text._ZN5aiter23act_and_mul_bias_kernelIttafTnPFfRKT2_EXadL_ZNS_11silu_kernelIfEEfRKT_EELi32EEEvPT0_PS8_PKT1_PS2_il,"axG",@progbits,_ZN5aiter23act_and_mul_bias_kernelIttafTnPFfRKT2_EXadL_ZNS_11silu_kernelIfEEfRKT_EELi32EEEvPT0_PS8_PKT1_PS2_il,comdat
.Lfunc_end130:
	.size	_ZN5aiter23act_and_mul_bias_kernelIttafTnPFfRKT2_EXadL_ZNS_11silu_kernelIfEEfRKT_EELi32EEEvPT0_PS8_PKT1_PS2_il, .Lfunc_end130-_ZN5aiter23act_and_mul_bias_kernelIttafTnPFfRKT2_EXadL_ZNS_11silu_kernelIfEEfRKT_EELi32EEEvPT0_PS8_PKT1_PS2_il
                                        ; -- End function
	.section	.AMDGPU.csdata,"",@progbits
; Kernel info:
; codeLenInByte = 4816
; NumSgprs: 48
; NumVgprs: 83
; NumAgprs: 0
; TotalNumVgprs: 83
; ScratchSize: 0
; MemoryBound: 0
; FloatMode: 240
; IeeeMode: 1
; LDSByteSize: 0 bytes/workgroup (compile time only)
; SGPRBlocks: 5
; VGPRBlocks: 10
; NumSGPRsForWavesPerEU: 48
; NumVGPRsForWavesPerEU: 83
; AccumOffset: 84
; Occupancy: 5
; WaveLimiterHint : 0
; COMPUTE_PGM_RSRC2:SCRATCH_EN: 0
; COMPUTE_PGM_RSRC2:USER_SGPR: 2
; COMPUTE_PGM_RSRC2:TRAP_HANDLER: 0
; COMPUTE_PGM_RSRC2:TGID_X_EN: 1
; COMPUTE_PGM_RSRC2:TGID_Y_EN: 0
; COMPUTE_PGM_RSRC2:TGID_Z_EN: 0
; COMPUTE_PGM_RSRC2:TIDIG_COMP_CNT: 0
; COMPUTE_PGM_RSRC3_GFX90A:ACCUM_OFFSET: 20
; COMPUTE_PGM_RSRC3_GFX90A:TG_SPLIT: 0
	.section	.text._ZN5aiter23act_and_mul_bias_kernelIttafTnPFfRKT2_EXadL_ZNS_11silu_kernelIfEEfRKT_EELi16EEEvPT0_PS8_PKT1_PS2_il,"axG",@progbits,_ZN5aiter23act_and_mul_bias_kernelIttafTnPFfRKT2_EXadL_ZNS_11silu_kernelIfEEfRKT_EELi16EEEvPT0_PS8_PKT1_PS2_il,comdat
	.protected	_ZN5aiter23act_and_mul_bias_kernelIttafTnPFfRKT2_EXadL_ZNS_11silu_kernelIfEEfRKT_EELi16EEEvPT0_PS8_PKT1_PS2_il ; -- Begin function _ZN5aiter23act_and_mul_bias_kernelIttafTnPFfRKT2_EXadL_ZNS_11silu_kernelIfEEfRKT_EELi16EEEvPT0_PS8_PKT1_PS2_il
	.globl	_ZN5aiter23act_and_mul_bias_kernelIttafTnPFfRKT2_EXadL_ZNS_11silu_kernelIfEEfRKT_EELi16EEEvPT0_PS8_PKT1_PS2_il
	.p2align	8
	.type	_ZN5aiter23act_and_mul_bias_kernelIttafTnPFfRKT2_EXadL_ZNS_11silu_kernelIfEEfRKT_EELi16EEEvPT0_PS8_PKT1_PS2_il,@function
_ZN5aiter23act_and_mul_bias_kernelIttafTnPFfRKT2_EXadL_ZNS_11silu_kernelIfEEfRKT_EELi16EEEvPT0_PS8_PKT1_PS2_il: ; @_ZN5aiter23act_and_mul_bias_kernelIttafTnPFfRKT2_EXadL_ZNS_11silu_kernelIfEEfRKT_EELi16EEEvPT0_PS8_PKT1_PS2_il
; %bb.0:
	s_load_dwordx2 s[4:5], s[0:1], 0x10
	s_load_dword s24, s[0:1], 0x20
	s_load_dwordx2 s[6:7], s[0:1], 0x28
	v_mov_b32_e32 v1, s2
	s_mov_b32 s9, 0
	s_waitcnt lgkmcnt(0)
	global_load_ubyte v1, v1, s[4:5]
	s_add_i32 s3, s24, 1
	v_mov_b64_e32 v[2:3], s[6:7]
	s_lshr_b32 s6, s3, 31
	s_add_i32 s3, s3, s6
	s_load_dwordx2 s[4:5], s[0:1], 0x0
	s_lshl_b32 s3, s3, 1
	s_ashr_i32 s25, s24, 31
	s_and_b32 s6, s3, -4
	s_mul_hi_u32 s8, s24, s2
	s_mul_i32 s7, s25, s2
	s_mul_i32 s12, s24, s2
	s_add_i32 s13, s8, s7
	s_lshl_b64 s[12:13], s[12:13], 1
	s_mov_b64 s[10:11], -1
	v_lshlrev_b32_e32 v44, 4, v0
	s_waitcnt vmcnt(0)
	v_readfirstlane_b32 s3, v1
	s_nop 1
	v_mov_b32_e32 v4, s3
	s_sext_i32_i8 s3, s3
	v_readfirstlane_b32 s8, v4
	s_bfe_i64 s[8:9], s[8:9], 0x80000
	s_waitcnt lgkmcnt(0)
	s_add_u32 s4, s4, s12
	s_addc_u32 s5, s5, s13
	s_and_b32 s5, s5, 0xffff
	s_cmp_gt_i32 s3, -1
	v_cmp_lt_i64_e32 vcc, s[8:9], v[2:3]
	s_cselect_b64 s[12:13], -1, 0
	s_and_b64 s[12:13], s[12:13], vcc
	s_and_b64 vcc, exec, s[12:13]
	s_cbranch_vccnz .LBB131_5
; %bb.1:
	v_cmp_gt_i32_e32 vcc, s24, v44
	s_and_saveexec_b64 s[10:11], vcc
	s_cbranch_execz .LBB131_4
; %bb.2:
	s_load_dword s3, s[0:1], 0x3c
	s_mov_b32 s13, 0
	s_mov_b32 s16, s13
	;; [unrolled: 1-line block ×3, first 2 shown]
	v_mov_b32_e32 v45, 0
	v_lshlrev_b32_e32 v6, 5, v0
	s_waitcnt lgkmcnt(0)
	s_and_b32 s3, s3, 0xffff
	s_mov_b32 s18, s13
	s_mov_b32 s19, s13
	v_mov_b64_e32 v[0:1], s[16:17]
	s_lshl_b32 s12, s3, 4
	s_lshl_b32 s3, s3, 5
	s_mov_b64 s[14:15], 0
	s_mov_b32 s7, 0x20000
	v_mov_b64_e32 v[2:3], s[18:19]
	v_mov_b64_e32 v[4:5], v[44:45]
.LBB131_3:                              ; =>This Inner Loop Header: Depth=1
	v_lshl_add_u64 v[4:5], s[12:13], 0, v[4:5]
	v_cmp_le_i64_e32 vcc, s[24:25], v[4:5]
	buffer_store_dwordx4 v[0:3], v6, s[4:7], 0 offen
	buffer_store_dwordx4 v[0:3], v6, s[4:7], 16 offen
	s_or_b64 s[14:15], vcc, s[14:15]
	v_add_u32_e32 v6, s3, v6
	s_andn2_b64 exec, exec, s[14:15]
	s_cbranch_execnz .LBB131_3
.LBB131_4:
	s_or_b64 exec, exec, s[10:11]
	s_mov_b64 s[10:11], 0
.LBB131_5:
	s_andn2_b64 vcc, exec, s[10:11]
	s_cbranch_vccnz .LBB131_9
; %bb.6:
	v_cmp_gt_i32_e32 vcc, s24, v44
	s_and_saveexec_b64 s[10:11], vcc
	s_cbranch_execz .LBB131_9
; %bb.7:
	s_load_dwordx2 s[14:15], s[0:1], 0x8
	s_load_dwordx2 s[10:11], s[0:1], 0x18
	s_mul_hi_i32 s9, s24, s8
	s_mul_i32 s8, s24, s8
	s_lshl_b64 s[8:9], s[8:9], 3
	s_mul_i32 s16, s2, s25
	s_waitcnt lgkmcnt(0)
	s_add_u32 s8, s10, s8
	s_addc_u32 s7, s11, s9
	s_lshl_b64 s[10:11], s[24:25], 2
	s_add_u32 s12, s8, s10
	s_mul_hi_u32 s17, s2, s24
	s_addc_u32 s13, s7, s11
	s_add_i32 s17, s17, s16
	s_mul_i32 s16, s2, s24
	s_lshl_b32 s10, s24, 2
	s_and_b32 s9, s7, 0xffff
	s_and_b32 s13, s13, 0xffff
	s_lshl_b64 s[16:17], s[16:17], 2
	s_add_u32 s16, s14, s16
	s_addc_u32 s2, s15, s17
	s_lshl_b64 s[14:15], s[24:25], 1
	s_add_u32 s20, s16, s14
	s_addc_u32 s14, s2, s15
	s_and_b32 s17, s2, 0xffff
	s_and_b32 s21, s14, 0xffff
	s_mov_b32 s7, 0x20000
	s_add_u32 s0, s0, 48
	s_mov_b32 s3, 0
	s_mov_b32 s11, s7
	v_mov_b32_e32 v45, 0
	s_addc_u32 s1, s1, 0
	s_mov_b64 s[26:27], 0
	s_mov_b32 s18, s6
	s_mov_b32 s19, s7
	;; [unrolled: 1-line block ×5, first 2 shown]
	v_mov_b32_e32 v46, 0x7f800000
	s_mov_b32 s31, 0x7060302
	s_mov_b32 s22, s6
	;; [unrolled: 1-line block ×3, first 2 shown]
.LBB131_8:                              ; =>This Inner Loop Header: Depth=1
	v_lshlrev_b32_e32 v47, 1, v44
	buffer_load_dwordx4 v[24:27], v47, s[16:19], 0 offen
	buffer_load_dwordx4 v[4:7], v47, s[16:19], 16 offen
	;; [unrolled: 1-line block ×4, first 2 shown]
	v_lshlrev_b32_e32 v52, 2, v44
	s_mov_b32 s14, s10
	s_mov_b32 s15, s11
	buffer_load_dwordx4 v[40:43], v52, s[8:11], 0 offen
	buffer_load_dwordx4 v[28:31], v52, s[8:11], 16 offen
	;; [unrolled: 1-line block ×8, first 2 shown]
	s_waitcnt vmcnt(9)
	v_and_b32_e32 v53, 0xffff0000, v32
	v_lshlrev_b32_e32 v52, 16, v32
	s_waitcnt vmcnt(3)
	v_pk_add_f32 v[48:49], v[48:49], v[52:53]
	v_and_b32_e32 v53, 0xffff0000, v24
	v_lshlrev_b32_e32 v52, 16, v24
	v_pk_add_f32 v[40:41], v[40:41], v[52:53]
	s_nop 0
	v_mul_f32_e32 v24, 0xbfb8aa3b, v40
	v_fma_f32 v32, v40, s28, -v24
	v_rndne_f32_e32 v52, v24
	v_fmac_f32_e32 v32, 0xb2a5705f, v40
	v_sub_f32_e32 v24, v24, v52
	v_add_f32_e32 v24, v24, v32
	v_exp_f32_e32 v24, v24
	v_cvt_i32_f32_e32 v32, v52
	v_cmp_nlt_f32_e32 vcc, s29, v40
	v_ldexp_f32 v24, v24, v32
	s_nop 0
	v_cndmask_b32_e32 v24, 0, v24, vcc
	v_cmp_ngt_f32_e32 vcc, s30, v40
	s_nop 1
	v_cndmask_b32_e32 v24, v46, v24, vcc
	v_add_f32_e32 v24, 1.0, v24
	v_rcp_f32_e32 v52, v24
	v_mul_f32_e32 v24, 0xbfb8aa3b, v41
	v_fma_f32 v32, v41, s28, -v24
	v_rndne_f32_e32 v53, v24
	v_fmac_f32_e32 v32, 0xb2a5705f, v41
	v_sub_f32_e32 v24, v24, v53
	v_add_f32_e32 v24, v24, v32
	v_exp_f32_e32 v24, v24
	v_cvt_i32_f32_e32 v32, v53
	v_cmp_nlt_f32_e32 vcc, s29, v41
	v_ldexp_f32 v24, v24, v32
	s_nop 0
	v_cndmask_b32_e32 v24, 0, v24, vcc
	v_cmp_ngt_f32_e32 vcc, s30, v41
	s_nop 1
	v_cndmask_b32_e32 v24, v46, v24, vcc
	v_add_f32_e32 v24, 1.0, v24
	v_rcp_f32_e32 v53, v24
	s_nop 0
	v_pk_mul_f32 v[40:41], v[40:41], v[52:53]
	s_nop 0
	;;#ASMSTART
	v_pk_mul_f32 v[40:41], v[40:41], v[48:49]
	;;#ASMEND
	v_and_b32_e32 v49, 0xffff0000, v33
	v_lshlrev_b32_e32 v48, 16, v33
	v_pk_add_f32 v[32:33], v[50:51], v[48:49]
	v_and_b32_e32 v49, 0xffff0000, v25
	v_lshlrev_b32_e32 v48, 16, v25
	v_pk_add_f32 v[24:25], v[42:43], v[48:49]
	s_nop 0
	v_mul_f32_e32 v42, 0xbfb8aa3b, v24
	v_fma_f32 v43, v24, s28, -v42
	v_rndne_f32_e32 v48, v42
	v_fmac_f32_e32 v43, 0xb2a5705f, v24
	v_sub_f32_e32 v42, v42, v48
	v_add_f32_e32 v42, v42, v43
	v_exp_f32_e32 v42, v42
	v_cvt_i32_f32_e32 v43, v48
	v_cmp_nlt_f32_e32 vcc, s29, v24
	v_ldexp_f32 v42, v42, v43
	v_mul_f32_e32 v43, 0xbfb8aa3b, v25
	v_fma_f32 v48, v25, s28, -v43
	v_rndne_f32_e32 v49, v43
	v_fmac_f32_e32 v48, 0xb2a5705f, v25
	v_sub_f32_e32 v43, v43, v49
	v_add_f32_e32 v43, v43, v48
	v_exp_f32_e32 v43, v43
	v_cvt_i32_f32_e32 v48, v49
	v_cndmask_b32_e32 v42, 0, v42, vcc
	v_cmp_ngt_f32_e32 vcc, s30, v24
	v_ldexp_f32 v43, v43, v48
	s_nop 0
	v_cndmask_b32_e32 v42, v46, v42, vcc
	v_cmp_nlt_f32_e32 vcc, s29, v25
	v_add_f32_e32 v42, 1.0, v42
	v_rcp_f32_e32 v42, v42
	v_cndmask_b32_e32 v43, 0, v43, vcc
	v_cmp_ngt_f32_e32 vcc, s30, v25
	s_nop 1
	v_cndmask_b32_e32 v43, v46, v43, vcc
	v_add_f32_e32 v43, 1.0, v43
	v_rcp_f32_e32 v43, v43
	s_nop 0
	v_pk_mul_f32 v[24:25], v[24:25], v[42:43]
	s_nop 0
	;;#ASMSTART
	v_pk_mul_f32 v[24:25], v[24:25], v[32:33]
	;;#ASMEND
	v_and_b32_e32 v33, 0xffff0000, v34
	v_lshlrev_b32_e32 v32, 16, v34
	s_waitcnt vmcnt(2)
	v_pk_add_f32 v[32:33], v[36:37], v[32:33]
	v_and_b32_e32 v37, 0xffff0000, v26
	v_lshlrev_b32_e32 v36, 16, v26
	v_pk_add_f32 v[28:29], v[28:29], v[36:37]
	s_nop 0
	v_mul_f32_e32 v26, 0xbfb8aa3b, v28
	v_fma_f32 v34, v28, s28, -v26
	v_rndne_f32_e32 v36, v26
	v_fmac_f32_e32 v34, 0xb2a5705f, v28
	v_sub_f32_e32 v26, v26, v36
	v_add_f32_e32 v26, v26, v34
	v_exp_f32_e32 v26, v26
	v_cvt_i32_f32_e32 v34, v36
	v_cmp_nlt_f32_e32 vcc, s29, v28
	v_ldexp_f32 v26, v26, v34
	s_nop 0
	v_cndmask_b32_e32 v26, 0, v26, vcc
	v_cmp_ngt_f32_e32 vcc, s30, v28
	s_nop 1
	v_cndmask_b32_e32 v26, v46, v26, vcc
	v_add_f32_e32 v26, 1.0, v26
	v_rcp_f32_e32 v36, v26
	v_mul_f32_e32 v26, 0xbfb8aa3b, v29
	v_fma_f32 v34, v29, s28, -v26
	v_rndne_f32_e32 v37, v26
	v_fmac_f32_e32 v34, 0xb2a5705f, v29
	v_sub_f32_e32 v26, v26, v37
	v_add_f32_e32 v26, v26, v34
	v_exp_f32_e32 v26, v26
	v_cvt_i32_f32_e32 v34, v37
	v_cmp_nlt_f32_e32 vcc, s29, v29
	v_ldexp_f32 v26, v26, v34
	s_nop 0
	v_cndmask_b32_e32 v26, 0, v26, vcc
	v_cmp_ngt_f32_e32 vcc, s30, v29
	v_lshlrev_b32_e32 v34, 16, v27
	s_nop 0
	v_cndmask_b32_e32 v26, v46, v26, vcc
	v_add_f32_e32 v26, 1.0, v26
	v_rcp_f32_e32 v37, v26
	s_nop 0
	v_pk_mul_f32 v[28:29], v[28:29], v[36:37]
	s_nop 0
	;;#ASMSTART
	v_pk_mul_f32 v[28:29], v[28:29], v[32:33]
	;;#ASMEND
	v_and_b32_e32 v33, 0xffff0000, v35
	v_lshlrev_b32_e32 v32, 16, v35
	v_and_b32_e32 v35, 0xffff0000, v27
	v_pk_add_f32 v[26:27], v[30:31], v[34:35]
	v_pk_add_f32 v[32:33], v[38:39], v[32:33]
	v_mul_f32_e32 v30, 0xbfb8aa3b, v26
	v_fma_f32 v31, v26, s28, -v30
	v_rndne_f32_e32 v34, v30
	v_fmac_f32_e32 v31, 0xb2a5705f, v26
	v_sub_f32_e32 v30, v30, v34
	v_add_f32_e32 v30, v30, v31
	v_exp_f32_e32 v30, v30
	v_cvt_i32_f32_e32 v31, v34
	v_cmp_nlt_f32_e32 vcc, s29, v26
	v_ldexp_f32 v30, v30, v31
	v_mul_f32_e32 v31, 0xbfb8aa3b, v27
	v_fma_f32 v34, v27, s28, -v31
	v_rndne_f32_e32 v35, v31
	v_fmac_f32_e32 v34, 0xb2a5705f, v27
	v_sub_f32_e32 v31, v31, v35
	v_add_f32_e32 v31, v31, v34
	v_exp_f32_e32 v31, v31
	v_cvt_i32_f32_e32 v34, v35
	v_cndmask_b32_e32 v30, 0, v30, vcc
	v_cmp_ngt_f32_e32 vcc, s30, v26
	v_ldexp_f32 v31, v31, v34
	s_nop 0
	v_cndmask_b32_e32 v30, v46, v30, vcc
	v_cmp_nlt_f32_e32 vcc, s29, v27
	v_add_f32_e32 v30, 1.0, v30
	v_rcp_f32_e32 v30, v30
	v_cndmask_b32_e32 v31, 0, v31, vcc
	v_cmp_ngt_f32_e32 vcc, s30, v27
	s_nop 1
	v_cndmask_b32_e32 v31, v46, v31, vcc
	v_add_f32_e32 v31, 1.0, v31
	v_rcp_f32_e32 v31, v31
	s_nop 0
	v_pk_mul_f32 v[26:27], v[26:27], v[30:31]
	v_and_b32_e32 v31, 0xffff0000, v8
	v_lshlrev_b32_e32 v30, 16, v8
	s_waitcnt vmcnt(1)
	v_pk_add_f32 v[20:21], v[20:21], v[30:31]
	v_and_b32_e32 v31, 0xffff0000, v4
	v_lshlrev_b32_e32 v30, 16, v4
	v_pk_add_f32 v[16:17], v[16:17], v[30:31]
	;;#ASMSTART
	v_pk_mul_f32 v[26:27], v[26:27], v[32:33]
	;;#ASMEND
	s_nop 0
	v_mul_f32_e32 v4, 0xbfb8aa3b, v16
	v_fma_f32 v8, v16, s28, -v4
	v_rndne_f32_e32 v30, v4
	v_fmac_f32_e32 v8, 0xb2a5705f, v16
	v_sub_f32_e32 v4, v4, v30
	v_add_f32_e32 v4, v4, v8
	v_exp_f32_e32 v4, v4
	v_cvt_i32_f32_e32 v8, v30
	v_cmp_nlt_f32_e32 vcc, s29, v16
	v_ldexp_f32 v4, v4, v8
	s_nop 0
	v_cndmask_b32_e32 v4, 0, v4, vcc
	v_cmp_ngt_f32_e32 vcc, s30, v16
	s_nop 1
	v_cndmask_b32_e32 v4, v46, v4, vcc
	v_add_f32_e32 v4, 1.0, v4
	v_rcp_f32_e32 v30, v4
	v_mul_f32_e32 v4, 0xbfb8aa3b, v17
	v_fma_f32 v8, v17, s28, -v4
	v_rndne_f32_e32 v31, v4
	v_fmac_f32_e32 v8, 0xb2a5705f, v17
	v_sub_f32_e32 v4, v4, v31
	v_add_f32_e32 v4, v4, v8
	v_exp_f32_e32 v4, v4
	v_cvt_i32_f32_e32 v8, v31
	v_cmp_nlt_f32_e32 vcc, s29, v17
	v_ldexp_f32 v4, v4, v8
	s_nop 0
	v_cndmask_b32_e32 v4, 0, v4, vcc
	v_cmp_ngt_f32_e32 vcc, s30, v17
	s_nop 1
	v_cndmask_b32_e32 v4, v46, v4, vcc
	v_add_f32_e32 v4, 1.0, v4
	v_rcp_f32_e32 v31, v4
	s_nop 0
	v_pk_mul_f32 v[16:17], v[16:17], v[30:31]
	s_nop 0
	;;#ASMSTART
	v_pk_mul_f32 v[16:17], v[16:17], v[20:21]
	;;#ASMEND
	v_and_b32_e32 v21, 0xffff0000, v9
	v_lshlrev_b32_e32 v20, 16, v9
	v_pk_add_f32 v[8:9], v[22:23], v[20:21]
	v_and_b32_e32 v21, 0xffff0000, v5
	v_lshlrev_b32_e32 v20, 16, v5
	v_pk_add_f32 v[4:5], v[18:19], v[20:21]
	s_nop 0
	v_mul_f32_e32 v18, 0xbfb8aa3b, v4
	v_fma_f32 v19, v4, s28, -v18
	v_rndne_f32_e32 v20, v18
	v_fmac_f32_e32 v19, 0xb2a5705f, v4
	v_sub_f32_e32 v18, v18, v20
	v_add_f32_e32 v18, v18, v19
	v_exp_f32_e32 v18, v18
	v_cvt_i32_f32_e32 v19, v20
	v_cmp_nlt_f32_e32 vcc, s29, v4
	v_ldexp_f32 v18, v18, v19
	v_mul_f32_e32 v19, 0xbfb8aa3b, v5
	v_fma_f32 v20, v5, s28, -v19
	v_rndne_f32_e32 v21, v19
	v_fmac_f32_e32 v20, 0xb2a5705f, v5
	v_sub_f32_e32 v19, v19, v21
	v_add_f32_e32 v19, v19, v20
	v_exp_f32_e32 v19, v19
	v_cvt_i32_f32_e32 v20, v21
	v_cndmask_b32_e32 v18, 0, v18, vcc
	v_cmp_ngt_f32_e32 vcc, s30, v4
	v_ldexp_f32 v19, v19, v20
	s_nop 0
	v_cndmask_b32_e32 v18, v46, v18, vcc
	v_cmp_nlt_f32_e32 vcc, s29, v5
	v_add_f32_e32 v18, 1.0, v18
	v_rcp_f32_e32 v18, v18
	v_cndmask_b32_e32 v19, 0, v19, vcc
	v_cmp_ngt_f32_e32 vcc, s30, v5
	s_nop 1
	v_cndmask_b32_e32 v19, v46, v19, vcc
	v_add_f32_e32 v19, 1.0, v19
	v_rcp_f32_e32 v19, v19
	s_nop 0
	v_pk_mul_f32 v[4:5], v[4:5], v[18:19]
	s_nop 0
	;;#ASMSTART
	v_pk_mul_f32 v[4:5], v[4:5], v[8:9]
	;;#ASMEND
	v_and_b32_e32 v9, 0xffff0000, v10
	v_lshlrev_b32_e32 v8, 16, v10
	s_waitcnt vmcnt(0)
	v_pk_add_f32 v[8:9], v[12:13], v[8:9]
	v_and_b32_e32 v13, 0xffff0000, v6
	v_lshlrev_b32_e32 v12, 16, v6
	v_pk_add_f32 v[0:1], v[0:1], v[12:13]
	s_nop 0
	v_mul_f32_e32 v6, 0xbfb8aa3b, v0
	v_fma_f32 v10, v0, s28, -v6
	v_rndne_f32_e32 v12, v6
	v_fmac_f32_e32 v10, 0xb2a5705f, v0
	v_sub_f32_e32 v6, v6, v12
	v_add_f32_e32 v6, v6, v10
	v_exp_f32_e32 v6, v6
	v_cvt_i32_f32_e32 v10, v12
	v_cmp_nlt_f32_e32 vcc, s29, v0
	v_ldexp_f32 v6, v6, v10
	s_nop 0
	v_cndmask_b32_e32 v6, 0, v6, vcc
	v_cmp_ngt_f32_e32 vcc, s30, v0
	s_nop 1
	v_cndmask_b32_e32 v6, v46, v6, vcc
	v_add_f32_e32 v6, 1.0, v6
	v_rcp_f32_e32 v12, v6
	v_mul_f32_e32 v6, 0xbfb8aa3b, v1
	v_fma_f32 v10, v1, s28, -v6
	v_rndne_f32_e32 v13, v6
	v_fmac_f32_e32 v10, 0xb2a5705f, v1
	v_sub_f32_e32 v6, v6, v13
	v_add_f32_e32 v6, v6, v10
	v_exp_f32_e32 v6, v6
	v_cvt_i32_f32_e32 v10, v13
	v_cmp_nlt_f32_e32 vcc, s29, v1
	v_ldexp_f32 v6, v6, v10
	s_nop 0
	v_cndmask_b32_e32 v6, 0, v6, vcc
	v_cmp_ngt_f32_e32 vcc, s30, v1
	v_lshlrev_b32_e32 v10, 16, v7
	s_nop 0
	v_cndmask_b32_e32 v6, v46, v6, vcc
	v_add_f32_e32 v6, 1.0, v6
	v_rcp_f32_e32 v13, v6
	s_nop 0
	v_pk_mul_f32 v[0:1], v[0:1], v[12:13]
	s_nop 0
	;;#ASMSTART
	v_pk_mul_f32 v[0:1], v[0:1], v[8:9]
	;;#ASMEND
	v_and_b32_e32 v9, 0xffff0000, v11
	v_lshlrev_b32_e32 v8, 16, v11
	v_and_b32_e32 v11, 0xffff0000, v7
	v_pk_add_f32 v[2:3], v[2:3], v[10:11]
	v_pk_add_f32 v[8:9], v[14:15], v[8:9]
	v_mul_f32_e32 v6, 0xbfb8aa3b, v2
	v_fma_f32 v7, v2, s28, -v6
	v_rndne_f32_e32 v10, v6
	v_fmac_f32_e32 v7, 0xb2a5705f, v2
	v_sub_f32_e32 v6, v6, v10
	v_add_f32_e32 v6, v6, v7
	v_exp_f32_e32 v6, v6
	v_cvt_i32_f32_e32 v7, v10
	v_cmp_nlt_f32_e32 vcc, s29, v2
	v_ldexp_f32 v6, v6, v7
	v_mul_f32_e32 v7, 0xbfb8aa3b, v3
	v_fma_f32 v10, v3, s28, -v7
	v_rndne_f32_e32 v11, v7
	v_fmac_f32_e32 v10, 0xb2a5705f, v3
	v_sub_f32_e32 v7, v7, v11
	v_add_f32_e32 v7, v7, v10
	v_exp_f32_e32 v7, v7
	v_cvt_i32_f32_e32 v10, v11
	v_cndmask_b32_e32 v6, 0, v6, vcc
	v_cmp_ngt_f32_e32 vcc, s30, v2
	v_ldexp_f32 v7, v7, v10
	s_nop 0
	v_cndmask_b32_e32 v6, v46, v6, vcc
	v_cmp_nlt_f32_e32 vcc, s29, v3
	v_add_f32_e32 v6, 1.0, v6
	v_rcp_f32_e32 v6, v6
	v_cndmask_b32_e32 v7, 0, v7, vcc
	v_cmp_ngt_f32_e32 vcc, s30, v3
	s_nop 1
	v_cndmask_b32_e32 v7, v46, v7, vcc
	v_add_f32_e32 v7, 1.0, v7
	v_rcp_f32_e32 v7, v7
	s_nop 0
	v_pk_mul_f32 v[2:3], v[2:3], v[6:7]
	s_nop 0
	;;#ASMSTART
	v_pk_mul_f32 v[10:11], v[2:3], v[8:9]
	;;#ASMEND
	s_load_dword s2, s[0:1], 0xc
	v_perm_b32 v7, v25, v24, s31
	v_perm_b32 v9, v27, v26, s31
	;; [unrolled: 1-line block ×4, first 2 shown]
	s_waitcnt lgkmcnt(0)
	s_and_b32 s2, s2, 0xffff
	s_lshl_b32 s2, s2, 4
	v_lshl_add_u64 v[44:45], s[2:3], 0, v[44:45]
	v_cmp_le_i64_e32 vcc, s[24:25], v[44:45]
	v_perm_b32 v3, v5, v4, s31
	v_perm_b32 v5, v11, v10, s31
	;; [unrolled: 1-line block ×4, first 2 shown]
	s_or_b64 s[26:27], vcc, s[26:27]
	buffer_store_dwordx4 v[6:9], v47, s[4:7], 0 offen
	buffer_store_dwordx4 v[2:5], v47, s[4:7], 16 offen
	s_andn2_b64 exec, exec, s[26:27]
	s_cbranch_execnz .LBB131_8
.LBB131_9:
	s_endpgm
	.section	.rodata,"a",@progbits
	.p2align	6, 0x0
	.amdhsa_kernel _ZN5aiter23act_and_mul_bias_kernelIttafTnPFfRKT2_EXadL_ZNS_11silu_kernelIfEEfRKT_EELi16EEEvPT0_PS8_PKT1_PS2_il
		.amdhsa_group_segment_fixed_size 0
		.amdhsa_private_segment_fixed_size 0
		.amdhsa_kernarg_size 304
		.amdhsa_user_sgpr_count 2
		.amdhsa_user_sgpr_dispatch_ptr 0
		.amdhsa_user_sgpr_queue_ptr 0
		.amdhsa_user_sgpr_kernarg_segment_ptr 1
		.amdhsa_user_sgpr_dispatch_id 0
		.amdhsa_user_sgpr_kernarg_preload_length 0
		.amdhsa_user_sgpr_kernarg_preload_offset 0
		.amdhsa_user_sgpr_private_segment_size 0
		.amdhsa_uses_dynamic_stack 0
		.amdhsa_enable_private_segment 0
		.amdhsa_system_sgpr_workgroup_id_x 1
		.amdhsa_system_sgpr_workgroup_id_y 0
		.amdhsa_system_sgpr_workgroup_id_z 0
		.amdhsa_system_sgpr_workgroup_info 0
		.amdhsa_system_vgpr_workitem_id 0
		.amdhsa_next_free_vgpr 54
		.amdhsa_next_free_sgpr 32
		.amdhsa_accum_offset 56
		.amdhsa_reserve_vcc 1
		.amdhsa_float_round_mode_32 0
		.amdhsa_float_round_mode_16_64 0
		.amdhsa_float_denorm_mode_32 3
		.amdhsa_float_denorm_mode_16_64 3
		.amdhsa_dx10_clamp 1
		.amdhsa_ieee_mode 1
		.amdhsa_fp16_overflow 0
		.amdhsa_tg_split 0
		.amdhsa_exception_fp_ieee_invalid_op 0
		.amdhsa_exception_fp_denorm_src 0
		.amdhsa_exception_fp_ieee_div_zero 0
		.amdhsa_exception_fp_ieee_overflow 0
		.amdhsa_exception_fp_ieee_underflow 0
		.amdhsa_exception_fp_ieee_inexact 0
		.amdhsa_exception_int_div_zero 0
	.end_amdhsa_kernel
	.section	.text._ZN5aiter23act_and_mul_bias_kernelIttafTnPFfRKT2_EXadL_ZNS_11silu_kernelIfEEfRKT_EELi16EEEvPT0_PS8_PKT1_PS2_il,"axG",@progbits,_ZN5aiter23act_and_mul_bias_kernelIttafTnPFfRKT2_EXadL_ZNS_11silu_kernelIfEEfRKT_EELi16EEEvPT0_PS8_PKT1_PS2_il,comdat
.Lfunc_end131:
	.size	_ZN5aiter23act_and_mul_bias_kernelIttafTnPFfRKT2_EXadL_ZNS_11silu_kernelIfEEfRKT_EELi16EEEvPT0_PS8_PKT1_PS2_il, .Lfunc_end131-_ZN5aiter23act_and_mul_bias_kernelIttafTnPFfRKT2_EXadL_ZNS_11silu_kernelIfEEfRKT_EELi16EEEvPT0_PS8_PKT1_PS2_il
                                        ; -- End function
	.section	.AMDGPU.csdata,"",@progbits
; Kernel info:
; codeLenInByte = 2672
; NumSgprs: 38
; NumVgprs: 54
; NumAgprs: 0
; TotalNumVgprs: 54
; ScratchSize: 0
; MemoryBound: 0
; FloatMode: 240
; IeeeMode: 1
; LDSByteSize: 0 bytes/workgroup (compile time only)
; SGPRBlocks: 4
; VGPRBlocks: 6
; NumSGPRsForWavesPerEU: 38
; NumVGPRsForWavesPerEU: 54
; AccumOffset: 56
; Occupancy: 8
; WaveLimiterHint : 0
; COMPUTE_PGM_RSRC2:SCRATCH_EN: 0
; COMPUTE_PGM_RSRC2:USER_SGPR: 2
; COMPUTE_PGM_RSRC2:TRAP_HANDLER: 0
; COMPUTE_PGM_RSRC2:TGID_X_EN: 1
; COMPUTE_PGM_RSRC2:TGID_Y_EN: 0
; COMPUTE_PGM_RSRC2:TGID_Z_EN: 0
; COMPUTE_PGM_RSRC2:TIDIG_COMP_CNT: 0
; COMPUTE_PGM_RSRC3_GFX90A:ACCUM_OFFSET: 13
; COMPUTE_PGM_RSRC3_GFX90A:TG_SPLIT: 0
	.section	.text._ZN5aiter23act_and_mul_bias_kernelIttafTnPFfRKT2_EXadL_ZNS_11silu_kernelIfEEfRKT_EELi8EEEvPT0_PS8_PKT1_PS2_il,"axG",@progbits,_ZN5aiter23act_and_mul_bias_kernelIttafTnPFfRKT2_EXadL_ZNS_11silu_kernelIfEEfRKT_EELi8EEEvPT0_PS8_PKT1_PS2_il,comdat
	.protected	_ZN5aiter23act_and_mul_bias_kernelIttafTnPFfRKT2_EXadL_ZNS_11silu_kernelIfEEfRKT_EELi8EEEvPT0_PS8_PKT1_PS2_il ; -- Begin function _ZN5aiter23act_and_mul_bias_kernelIttafTnPFfRKT2_EXadL_ZNS_11silu_kernelIfEEfRKT_EELi8EEEvPT0_PS8_PKT1_PS2_il
	.globl	_ZN5aiter23act_and_mul_bias_kernelIttafTnPFfRKT2_EXadL_ZNS_11silu_kernelIfEEfRKT_EELi8EEEvPT0_PS8_PKT1_PS2_il
	.p2align	8
	.type	_ZN5aiter23act_and_mul_bias_kernelIttafTnPFfRKT2_EXadL_ZNS_11silu_kernelIfEEfRKT_EELi8EEEvPT0_PS8_PKT1_PS2_il,@function
_ZN5aiter23act_and_mul_bias_kernelIttafTnPFfRKT2_EXadL_ZNS_11silu_kernelIfEEfRKT_EELi8EEEvPT0_PS8_PKT1_PS2_il: ; @_ZN5aiter23act_and_mul_bias_kernelIttafTnPFfRKT2_EXadL_ZNS_11silu_kernelIfEEfRKT_EELi8EEEvPT0_PS8_PKT1_PS2_il
; %bb.0:
	s_load_dwordx2 s[4:5], s[0:1], 0x10
	s_load_dword s14, s[0:1], 0x20
	s_load_dwordx2 s[8:9], s[0:1], 0x28
	v_mov_b32_e32 v1, s2
	s_load_dwordx2 s[10:11], s[0:1], 0x0
	s_waitcnt lgkmcnt(0)
	global_load_ubyte v1, v1, s[4:5]
	s_add_i32 s3, s14, 1
	v_mov_b64_e32 v[2:3], s[8:9]
	s_lshr_b32 s8, s3, 31
	s_add_i32 s3, s3, s8
	s_lshl_b32 s3, s3, 1
	s_ashr_i32 s15, s14, 31
	s_and_b32 s18, s3, -4
	s_mul_hi_u32 s4, s14, s2
	s_mul_i32 s9, s15, s2
	s_mov_b32 s5, 0
	s_mul_i32 s12, s14, s2
	s_add_i32 s13, s4, s9
	s_lshl_b64 s[8:9], s[12:13], 1
	s_mov_b64 s[6:7], -1
	v_lshlrev_b32_e32 v24, 3, v0
	s_waitcnt vmcnt(0)
	v_readfirstlane_b32 s3, v1
	s_nop 1
	v_mov_b32_e32 v4, s3
	s_sext_i32_i8 s3, s3
	v_readfirstlane_b32 s4, v4
	s_bfe_i64 s[4:5], s[4:5], 0x80000
	s_add_u32 s16, s10, s8
	v_cmp_lt_i64_e32 vcc, s[4:5], v[2:3]
	s_addc_u32 s5, s11, s9
	s_and_b32 s17, s5, 0xffff
	s_cmp_gt_i32 s3, -1
	s_cselect_b64 s[8:9], -1, 0
	s_and_b64 s[8:9], s[8:9], vcc
	s_and_b64 vcc, exec, s[8:9]
	s_cbranch_vccnz .LBB132_5
; %bb.1:
	v_cmp_gt_i32_e32 vcc, s14, v24
	s_and_saveexec_b64 s[6:7], vcc
	s_cbranch_execz .LBB132_4
; %bb.2:
	s_load_dword s3, s[0:1], 0x3c
	v_mov_b32_e32 v25, 0
	s_mov_b32 s9, 0
	v_lshlrev_b32_e32 v6, 4, v0
	s_mov_b64 s[10:11], 0
	s_waitcnt lgkmcnt(0)
	s_and_b32 s3, s3, 0xffff
	s_lshl_b32 s8, s3, 3
	s_lshl_b32 s3, s3, 4
	s_mov_b32 s19, 0x20000
	v_mov_b32_e32 v0, v25
	v_mov_b32_e32 v1, v25
	;; [unrolled: 1-line block ×4, first 2 shown]
	v_mov_b64_e32 v[4:5], v[24:25]
.LBB132_3:                              ; =>This Inner Loop Header: Depth=1
	v_lshl_add_u64 v[4:5], s[8:9], 0, v[4:5]
	v_cmp_le_i64_e32 vcc, s[14:15], v[4:5]
	buffer_store_dwordx4 v[0:3], v6, s[16:19], 0 offen
	s_or_b64 s[10:11], vcc, s[10:11]
	v_add_u32_e32 v6, s3, v6
	s_andn2_b64 exec, exec, s[10:11]
	s_cbranch_execnz .LBB132_3
.LBB132_4:
	s_or_b64 exec, exec, s[6:7]
	s_mov_b64 s[6:7], 0
.LBB132_5:
	s_andn2_b64 vcc, exec, s[6:7]
	s_cbranch_vccnz .LBB132_9
; %bb.6:
	v_cmp_gt_i32_e32 vcc, s14, v24
	s_and_saveexec_b64 s[6:7], vcc
	s_cbranch_execz .LBB132_9
; %bb.7:
	s_load_dwordx2 s[6:7], s[0:1], 0x8
	s_load_dwordx2 s[8:9], s[0:1], 0x18
	s_mul_hi_i32 s5, s14, s4
	s_mul_i32 s4, s14, s4
	s_lshl_b64 s[4:5], s[4:5], 3
	s_mov_b32 s19, 0x20000
	s_waitcnt lgkmcnt(0)
	s_add_u32 s20, s8, s4
	s_addc_u32 s3, s9, s5
	s_lshl_b64 s[4:5], s[14:15], 2
	s_add_u32 s24, s20, s4
	s_addc_u32 s4, s3, s5
	s_and_b32 s21, s3, 0xffff
	s_and_b32 s25, s4, 0xffff
	s_mul_i32 s3, s2, s15
	s_mul_hi_u32 s4, s2, s14
	s_add_i32 s3, s4, s3
	s_mul_i32 s2, s2, s14
	s_lshl_b32 s22, s14, 2
	s_lshl_b64 s[2:3], s[2:3], 2
	s_add_u32 s28, s6, s2
	s_addc_u32 s4, s7, s3
	s_lshl_b64 s[2:3], s[14:15], 1
	s_add_u32 s36, s28, s2
	s_addc_u32 s2, s4, s3
	s_and_b32 s29, s4, 0xffff
	s_and_b32 s37, s2, 0xffff
	s_add_u32 s40, s0, 48
	s_mov_b32 s35, 0
	s_mov_b32 s23, s19
	v_mov_b32_e32 v25, 0
	s_addc_u32 s41, s1, 0
	s_mov_b64 s[42:43], 0
	s_mov_b32 s30, s18
	s_mov_b32 s31, s19
	;; [unrolled: 1-line block ×5, first 2 shown]
	v_mov_b32_e32 v30, 0x7f800000
	s_mov_b32 s46, 0x7060302
	s_mov_b32 s38, s18
	s_mov_b32 s39, s19
.LBB132_8:                              ; =>This Inner Loop Header: Depth=1
	v_lshlrev_b32_e32 v31, 1, v24
	v_lshlrev_b32_e32 v26, 2, v24
	s_mov_b32 s26, s22
	s_mov_b32 s27, s23
	buffer_load_dwordx4 v[20:23], v31, s[36:39], 0 offen
	buffer_load_dwordx4 v[16:19], v31, s[28:31], 0 offen
	;; [unrolled: 1-line block ×6, first 2 shown]
	s_waitcnt vmcnt(5)
	v_and_b32_e32 v35, 0xffff0000, v22
	v_lshlrev_b32_e32 v34, 16, v22
	v_and_b32_e32 v39, 0xffff0000, v23
	v_lshlrev_b32_e32 v38, 16, v23
	s_waitcnt vmcnt(4)
	v_and_b32_e32 v23, 0xffff0000, v19
	v_lshlrev_b32_e32 v22, 16, v19
	v_and_b32_e32 v27, 0xffff0000, v20
	v_lshlrev_b32_e32 v26, 16, v20
	;; [unrolled: 2-line block ×6, first 2 shown]
	s_waitcnt vmcnt(0)
	v_pk_add_f32 v[2:3], v[2:3], v[22:23]
	v_pk_add_f32 v[16:17], v[4:5], v[28:29]
	;; [unrolled: 1-line block ×6, first 2 shown]
	v_mul_f32_e32 v22, 0xbfb8aa3b, v2
	v_mul_f32_e32 v23, 0xbfb8aa3b, v3
	v_pk_add_f32 v[0:1], v[14:15], v[38:39]
	v_mul_f32_e32 v14, 0xbfb8aa3b, v16
	v_mul_f32_e32 v15, 0xbfb8aa3b, v17
	;; [unrolled: 1-line block ×6, first 2 shown]
	v_fma_f32 v40, v2, s33, -v22
	v_rndne_f32_e32 v41, v22
	v_fma_f32 v42, v3, s33, -v23
	v_rndne_f32_e32 v43, v23
	v_pk_add_f32 v[8:9], v[8:9], v[26:27]
	v_fma_f32 v26, v16, s33, -v14
	v_rndne_f32_e32 v27, v14
	v_fma_f32 v28, v17, s33, -v15
	v_rndne_f32_e32 v29, v15
	;; [unrolled: 2-line block ×6, first 2 shown]
	v_fmac_f32_e32 v40, 0xb2a5705f, v2
	v_sub_f32_e32 v22, v22, v41
	v_fmac_f32_e32 v42, 0xb2a5705f, v3
	v_sub_f32_e32 v23, v23, v43
	;; [unrolled: 2-line block ×8, first 2 shown]
	v_add_f32_e32 v22, v22, v40
	v_add_f32_e32 v23, v23, v42
	v_cvt_i32_f32_e32 v41, v41
	v_cvt_i32_f32_e32 v43, v43
	v_add_f32_e32 v14, v14, v26
	v_add_f32_e32 v15, v15, v28
	;; [unrolled: 1-line block ×6, first 2 shown]
	v_exp_f32_e32 v22, v22
	v_exp_f32_e32 v23, v23
	v_cvt_i32_f32_e32 v27, v27
	v_cvt_i32_f32_e32 v29, v29
	;; [unrolled: 1-line block ×6, first 2 shown]
	v_exp_f32_e32 v14, v14
	v_exp_f32_e32 v15, v15
	;; [unrolled: 1-line block ×6, first 2 shown]
	v_ldexp_f32 v22, v22, v41
	v_cmp_nlt_f32_e64 s[8:9], s44, v2
	v_ldexp_f32 v23, v23, v43
	v_cmp_nlt_f32_e64 s[10:11], s44, v3
	v_ldexp_f32 v14, v14, v27
	v_ldexp_f32 v15, v15, v29
	v_cmp_nlt_f32_e32 vcc, s44, v17
	v_ldexp_f32 v18, v18, v33
	v_cmp_nlt_f32_e64 s[0:1], s44, v10
	v_ldexp_f32 v19, v19, v35
	v_cmp_nlt_f32_e64 s[2:3], s44, v11
	;; [unrolled: 2-line block ×4, first 2 shown]
	v_cmp_nlt_f32_e64 s[12:13], s44, v16
	v_cndmask_b32_e64 v22, 0, v22, s[8:9]
	v_cmp_ngt_f32_e64 s[8:9], s45, v2
	v_cndmask_b32_e64 v23, 0, v23, s[10:11]
	v_cmp_ngt_f32_e64 s[10:11], s45, v3
	v_cndmask_b32_e64 v14, 0, v14, s[12:13]
	v_cndmask_b32_e32 v15, 0, v15, vcc
	v_cmp_ngt_f32_e32 vcc, s45, v17
	v_cndmask_b32_e64 v18, 0, v18, s[0:1]
	v_cmp_ngt_f32_e64 s[0:1], s45, v10
	v_cndmask_b32_e64 v19, 0, v19, s[2:3]
	v_cmp_ngt_f32_e64 s[2:3], s45, v11
	v_cndmask_b32_e64 v20, 0, v20, s[4:5]
	v_cmp_ngt_f32_e64 s[4:5], s45, v12
	v_cndmask_b32_e64 v21, 0, v21, s[6:7]
	v_cmp_ngt_f32_e64 s[6:7], s45, v13
	v_cmp_ngt_f32_e64 s[12:13], s45, v16
	v_cndmask_b32_e64 v22, v30, v22, s[8:9]
	v_cndmask_b32_e64 v23, v30, v23, s[10:11]
	;; [unrolled: 1-line block ×3, first 2 shown]
	v_cndmask_b32_e32 v15, v30, v15, vcc
	v_cndmask_b32_e64 v18, v30, v18, s[0:1]
	v_cndmask_b32_e64 v19, v30, v19, s[2:3]
	;; [unrolled: 1-line block ×4, first 2 shown]
	v_add_f32_e32 v22, 1.0, v22
	v_add_f32_e32 v23, 1.0, v23
	;; [unrolled: 1-line block ×8, first 2 shown]
	v_rcp_f32_e32 v22, v22
	v_rcp_f32_e32 v23, v23
	;; [unrolled: 1-line block ×8, first 2 shown]
	v_pk_mul_f32 v[2:3], v[2:3], v[22:23]
	v_pk_mul_f32 v[14:15], v[16:17], v[14:15]
	;; [unrolled: 1-line block ×4, first 2 shown]
	;;#ASMSTART
	v_pk_mul_f32 v[8:9], v[14:15], v[8:9]
	;;#ASMEND
	;;#ASMSTART
	v_pk_mul_f32 v[4:5], v[10:11], v[4:5]
	;;#ASMEND
	s_nop 0
	;;#ASMSTART
	v_pk_mul_f32 v[6:7], v[12:13], v[6:7]
	;;#ASMEND
	;;#ASMSTART
	v_pk_mul_f32 v[2:3], v[2:3], v[0:1]
	;;#ASMEND
	s_load_dword s0, s[40:41], 0xc
	v_perm_b32 v1, v5, v4, s46
	v_perm_b32 v3, v3, v2, s46
	;; [unrolled: 1-line block ×4, first 2 shown]
	s_waitcnt lgkmcnt(0)
	s_and_b32 s0, s0, 0xffff
	s_lshl_b32 s34, s0, 3
	v_lshl_add_u64 v[24:25], s[34:35], 0, v[24:25]
	v_cmp_le_i64_e32 vcc, s[14:15], v[24:25]
	s_or_b64 s[42:43], vcc, s[42:43]
	buffer_store_dwordx4 v[0:3], v31, s[16:19], 0 offen
	s_andn2_b64 exec, exec, s[42:43]
	s_cbranch_execnz .LBB132_8
.LBB132_9:
	s_endpgm
	.section	.rodata,"a",@progbits
	.p2align	6, 0x0
	.amdhsa_kernel _ZN5aiter23act_and_mul_bias_kernelIttafTnPFfRKT2_EXadL_ZNS_11silu_kernelIfEEfRKT_EELi8EEEvPT0_PS8_PKT1_PS2_il
		.amdhsa_group_segment_fixed_size 0
		.amdhsa_private_segment_fixed_size 0
		.amdhsa_kernarg_size 304
		.amdhsa_user_sgpr_count 2
		.amdhsa_user_sgpr_dispatch_ptr 0
		.amdhsa_user_sgpr_queue_ptr 0
		.amdhsa_user_sgpr_kernarg_segment_ptr 1
		.amdhsa_user_sgpr_dispatch_id 0
		.amdhsa_user_sgpr_kernarg_preload_length 0
		.amdhsa_user_sgpr_kernarg_preload_offset 0
		.amdhsa_user_sgpr_private_segment_size 0
		.amdhsa_uses_dynamic_stack 0
		.amdhsa_enable_private_segment 0
		.amdhsa_system_sgpr_workgroup_id_x 1
		.amdhsa_system_sgpr_workgroup_id_y 0
		.amdhsa_system_sgpr_workgroup_id_z 0
		.amdhsa_system_sgpr_workgroup_info 0
		.amdhsa_system_vgpr_workitem_id 0
		.amdhsa_next_free_vgpr 44
		.amdhsa_next_free_sgpr 47
		.amdhsa_accum_offset 44
		.amdhsa_reserve_vcc 1
		.amdhsa_float_round_mode_32 0
		.amdhsa_float_round_mode_16_64 0
		.amdhsa_float_denorm_mode_32 3
		.amdhsa_float_denorm_mode_16_64 3
		.amdhsa_dx10_clamp 1
		.amdhsa_ieee_mode 1
		.amdhsa_fp16_overflow 0
		.amdhsa_tg_split 0
		.amdhsa_exception_fp_ieee_invalid_op 0
		.amdhsa_exception_fp_denorm_src 0
		.amdhsa_exception_fp_ieee_div_zero 0
		.amdhsa_exception_fp_ieee_overflow 0
		.amdhsa_exception_fp_ieee_underflow 0
		.amdhsa_exception_fp_ieee_inexact 0
		.amdhsa_exception_int_div_zero 0
	.end_amdhsa_kernel
	.section	.text._ZN5aiter23act_and_mul_bias_kernelIttafTnPFfRKT2_EXadL_ZNS_11silu_kernelIfEEfRKT_EELi8EEEvPT0_PS8_PKT1_PS2_il,"axG",@progbits,_ZN5aiter23act_and_mul_bias_kernelIttafTnPFfRKT2_EXadL_ZNS_11silu_kernelIfEEfRKT_EELi8EEEvPT0_PS8_PKT1_PS2_il,comdat
.Lfunc_end132:
	.size	_ZN5aiter23act_and_mul_bias_kernelIttafTnPFfRKT2_EXadL_ZNS_11silu_kernelIfEEfRKT_EELi8EEEvPT0_PS8_PKT1_PS2_il, .Lfunc_end132-_ZN5aiter23act_and_mul_bias_kernelIttafTnPFfRKT2_EXadL_ZNS_11silu_kernelIfEEfRKT_EELi8EEEvPT0_PS8_PKT1_PS2_il
                                        ; -- End function
	.section	.AMDGPU.csdata,"",@progbits
; Kernel info:
; codeLenInByte = 1660
; NumSgprs: 53
; NumVgprs: 44
; NumAgprs: 0
; TotalNumVgprs: 44
; ScratchSize: 0
; MemoryBound: 0
; FloatMode: 240
; IeeeMode: 1
; LDSByteSize: 0 bytes/workgroup (compile time only)
; SGPRBlocks: 6
; VGPRBlocks: 5
; NumSGPRsForWavesPerEU: 53
; NumVGPRsForWavesPerEU: 44
; AccumOffset: 44
; Occupancy: 8
; WaveLimiterHint : 0
; COMPUTE_PGM_RSRC2:SCRATCH_EN: 0
; COMPUTE_PGM_RSRC2:USER_SGPR: 2
; COMPUTE_PGM_RSRC2:TRAP_HANDLER: 0
; COMPUTE_PGM_RSRC2:TGID_X_EN: 1
; COMPUTE_PGM_RSRC2:TGID_Y_EN: 0
; COMPUTE_PGM_RSRC2:TGID_Z_EN: 0
; COMPUTE_PGM_RSRC2:TIDIG_COMP_CNT: 0
; COMPUTE_PGM_RSRC3_GFX90A:ACCUM_OFFSET: 10
; COMPUTE_PGM_RSRC3_GFX90A:TG_SPLIT: 0
	.section	.text._ZN5aiter23act_and_mul_bias_kernelIttafTnPFfRKT2_EXadL_ZNS_11silu_kernelIfEEfRKT_EELi4EEEvPT0_PS8_PKT1_PS2_il,"axG",@progbits,_ZN5aiter23act_and_mul_bias_kernelIttafTnPFfRKT2_EXadL_ZNS_11silu_kernelIfEEfRKT_EELi4EEEvPT0_PS8_PKT1_PS2_il,comdat
	.protected	_ZN5aiter23act_and_mul_bias_kernelIttafTnPFfRKT2_EXadL_ZNS_11silu_kernelIfEEfRKT_EELi4EEEvPT0_PS8_PKT1_PS2_il ; -- Begin function _ZN5aiter23act_and_mul_bias_kernelIttafTnPFfRKT2_EXadL_ZNS_11silu_kernelIfEEfRKT_EELi4EEEvPT0_PS8_PKT1_PS2_il
	.globl	_ZN5aiter23act_and_mul_bias_kernelIttafTnPFfRKT2_EXadL_ZNS_11silu_kernelIfEEfRKT_EELi4EEEvPT0_PS8_PKT1_PS2_il
	.p2align	8
	.type	_ZN5aiter23act_and_mul_bias_kernelIttafTnPFfRKT2_EXadL_ZNS_11silu_kernelIfEEfRKT_EELi4EEEvPT0_PS8_PKT1_PS2_il,@function
_ZN5aiter23act_and_mul_bias_kernelIttafTnPFfRKT2_EXadL_ZNS_11silu_kernelIfEEfRKT_EELi4EEEvPT0_PS8_PKT1_PS2_il: ; @_ZN5aiter23act_and_mul_bias_kernelIttafTnPFfRKT2_EXadL_ZNS_11silu_kernelIfEEfRKT_EELi4EEEvPT0_PS8_PKT1_PS2_il
; %bb.0:
	s_load_dwordx2 s[4:5], s[0:1], 0x10
	s_load_dword s6, s[0:1], 0x20
	s_load_dwordx2 s[8:9], s[0:1], 0x28
	v_mov_b32_e32 v1, s2
	s_load_dwordx2 s[14:15], s[0:1], 0x0
	s_waitcnt lgkmcnt(0)
	global_load_ubyte v1, v1, s[4:5]
	s_add_i32 s3, s6, 1
	s_ashr_i32 s7, s6, 31
	v_mov_b64_e32 v[2:3], s[8:9]
	s_lshr_b32 s8, s3, 31
	s_mul_hi_u32 s4, s6, s2
	s_mul_i32 s9, s7, s2
	s_add_i32 s3, s3, s8
	s_mul_i32 s10, s6, s2
	s_add_i32 s11, s4, s9
	s_lshl_b32 s3, s3, 1
	s_lshl_b64 s[8:9], s[10:11], 1
	s_and_b32 s10, s3, -4
	s_mov_b32 s5, 0
	s_mov_b64 s[12:13], -1
	s_waitcnt vmcnt(0)
	v_readfirstlane_b32 s3, v1
	s_nop 1
	v_mov_b32_e32 v4, s3
	s_sext_i32_i8 s3, s3
	v_readfirstlane_b32 s4, v4
	s_bfe_i64 s[4:5], s[4:5], 0x80000
	s_add_u32 s8, s14, s8
	v_cmp_lt_i64_e32 vcc, s[4:5], v[2:3]
	s_addc_u32 s5, s15, s9
	s_and_b32 s9, s5, 0xffff
	s_cmp_gt_i32 s3, -1
	s_cselect_b64 s[14:15], -1, 0
	s_and_b64 s[14:15], s[14:15], vcc
	s_and_b64 vcc, exec, s[14:15]
	v_lshlrev_b32_e32 v2, 2, v0
	s_cbranch_vccnz .LBB133_5
; %bb.1:
	v_cmp_gt_i32_e32 vcc, s6, v2
	s_and_saveexec_b64 s[12:13], vcc
	s_cbranch_execz .LBB133_4
; %bb.2:
	s_load_dword s3, s[0:1], 0x3c
	v_mov_b32_e32 v3, 0
	s_mov_b32 s15, 0
	v_lshlrev_b32_e32 v6, 3, v0
	s_mov_b64 s[16:17], 0
	s_waitcnt lgkmcnt(0)
	s_and_b32 s3, s3, 0xffff
	s_lshl_b32 s14, s3, 2
	s_lshl_b32 s3, s3, 3
	s_mov_b32 s11, 0x20000
	v_mov_b32_e32 v0, v3
	v_mov_b32_e32 v1, v3
	v_mov_b64_e32 v[4:5], v[2:3]
.LBB133_3:                              ; =>This Inner Loop Header: Depth=1
	v_lshl_add_u64 v[4:5], s[14:15], 0, v[4:5]
	v_cmp_le_i64_e32 vcc, s[6:7], v[4:5]
	buffer_store_dwordx2 v[0:1], v6, s[8:11], 0 offen
	s_or_b64 s[16:17], vcc, s[16:17]
	v_add_u32_e32 v6, s3, v6
	s_andn2_b64 exec, exec, s[16:17]
	s_cbranch_execnz .LBB133_3
.LBB133_4:
	s_or_b64 exec, exec, s[12:13]
	s_mov_b64 s[12:13], 0
.LBB133_5:
	s_andn2_b64 vcc, exec, s[12:13]
	s_cbranch_vccnz .LBB133_9
; %bb.6:
	v_cmp_gt_i32_e32 vcc, s6, v2
	s_and_saveexec_b64 s[12:13], vcc
	s_cbranch_execz .LBB133_9
; %bb.7:
	s_load_dwordx2 s[18:19], s[0:1], 0x8
	s_load_dwordx2 s[12:13], s[0:1], 0x18
	s_mul_hi_i32 s5, s6, s4
	s_mul_i32 s4, s6, s4
	s_lshl_b64 s[4:5], s[4:5], 3
	s_mov_b32 s11, 0x20000
	s_waitcnt lgkmcnt(0)
	s_add_u32 s12, s12, s4
	s_addc_u32 s3, s13, s5
	s_lshl_b64 s[4:5], s[6:7], 2
	s_add_u32 s16, s12, s4
	s_addc_u32 s4, s3, s5
	s_and_b32 s13, s3, 0xffff
	s_and_b32 s17, s4, 0xffff
	s_mul_i32 s3, s2, s7
	s_mul_hi_u32 s4, s2, s6
	s_add_i32 s3, s4, s3
	s_mul_i32 s2, s2, s6
	s_lshl_b32 s14, s6, 2
	s_lshl_b64 s[2:3], s[2:3], 2
	s_add_u32 s20, s18, s2
	s_addc_u32 s4, s19, s3
	s_lshl_b64 s[2:3], s[6:7], 1
	s_add_u32 s24, s20, s2
	s_addc_u32 s2, s4, s3
	s_and_b32 s21, s4, 0xffff
	s_and_b32 s25, s2, 0xffff
	s_add_u32 s30, s0, 48
	s_mov_b32 s29, 0
	s_mov_b32 s15, s11
	v_mov_b32_e32 v3, 0
	s_addc_u32 s31, s1, 0
	s_mov_b64 s[34:35], 0
	s_mov_b32 s22, s10
	s_mov_b32 s23, s11
	;; [unrolled: 1-line block ×5, first 2 shown]
	v_mov_b32_e32 v0, 0x7f800000
	s_mov_b32 s38, 0x7060302
	s_mov_b32 s26, s10
	;; [unrolled: 1-line block ×3, first 2 shown]
.LBB133_8:                              ; =>This Inner Loop Header: Depth=1
	v_lshlrev_b32_e32 v1, 1, v2
	v_lshlrev_b32_e32 v16, 2, v2
	s_mov_b32 s18, s14
	s_mov_b32 s19, s15
	buffer_load_dwordx2 v[12:13], v1, s[24:27], 0 offen
	buffer_load_dwordx2 v[14:15], v1, s[20:23], 0 offen
	buffer_load_dwordx4 v[4:7], v16, s[12:15], 0 offen
	buffer_load_dwordx4 v[8:11], v16, s[16:19], 0 offen
	s_waitcnt vmcnt(3)
	v_and_b32_e32 v17, 0xffff0000, v12
	v_lshlrev_b32_e32 v16, 16, v12
	s_waitcnt vmcnt(2)
	v_and_b32_e32 v19, 0xffff0000, v14
	v_lshlrev_b32_e32 v18, 16, v14
	v_and_b32_e32 v21, 0xffff0000, v13
	v_lshlrev_b32_e32 v20, 16, v13
	;; [unrolled: 2-line block ×3, first 2 shown]
	s_waitcnt vmcnt(1)
	v_pk_add_f32 v[4:5], v[4:5], v[18:19]
	v_pk_add_f32 v[6:7], v[6:7], v[12:13]
	v_mul_f32_e32 v12, 0xbfb8aa3b, v4
	v_mul_f32_e32 v13, 0xbfb8aa3b, v5
	;; [unrolled: 1-line block ×4, first 2 shown]
	s_waitcnt vmcnt(0)
	v_pk_add_f32 v[8:9], v[8:9], v[16:17]
	v_pk_add_f32 v[10:11], v[10:11], v[20:21]
	v_fma_f32 v16, v4, s33, -v12
	v_rndne_f32_e32 v17, v12
	v_fma_f32 v18, v5, s33, -v13
	v_rndne_f32_e32 v19, v13
	;; [unrolled: 2-line block ×4, first 2 shown]
	v_fmac_f32_e32 v16, 0xb2a5705f, v4
	v_sub_f32_e32 v12, v12, v17
	v_fmac_f32_e32 v18, 0xb2a5705f, v5
	v_sub_f32_e32 v13, v13, v19
	;; [unrolled: 2-line block ×4, first 2 shown]
	v_add_f32_e32 v12, v12, v16
	v_add_f32_e32 v13, v13, v18
	;; [unrolled: 1-line block ×4, first 2 shown]
	v_cvt_i32_f32_e32 v17, v17
	v_cvt_i32_f32_e32 v19, v19
	;; [unrolled: 1-line block ×4, first 2 shown]
	v_exp_f32_e32 v12, v12
	v_exp_f32_e32 v13, v13
	;; [unrolled: 1-line block ×4, first 2 shown]
	v_ldexp_f32 v12, v12, v17
	v_ldexp_f32 v13, v13, v19
	v_cmp_nlt_f32_e32 vcc, s36, v5
	v_ldexp_f32 v14, v14, v21
	v_cmp_nlt_f32_e64 s[0:1], s36, v6
	v_ldexp_f32 v15, v15, v23
	v_cmp_nlt_f32_e64 s[2:3], s36, v7
	v_cmp_nlt_f32_e64 s[4:5], s36, v4
	v_cndmask_b32_e32 v13, 0, v13, vcc
	v_cmp_ngt_f32_e32 vcc, s37, v5
	v_cndmask_b32_e64 v12, 0, v12, s[4:5]
	v_cndmask_b32_e64 v14, 0, v14, s[0:1]
	v_cmp_ngt_f32_e64 s[0:1], s37, v6
	v_cndmask_b32_e64 v15, 0, v15, s[2:3]
	v_cmp_ngt_f32_e64 s[2:3], s37, v7
	v_cmp_ngt_f32_e64 s[4:5], s37, v4
	v_cndmask_b32_e32 v13, v0, v13, vcc
	v_cndmask_b32_e64 v14, v0, v14, s[0:1]
	v_cndmask_b32_e64 v12, v0, v12, s[4:5]
	;; [unrolled: 1-line block ×3, first 2 shown]
	v_add_f32_e32 v12, 1.0, v12
	v_add_f32_e32 v13, 1.0, v13
	v_add_f32_e32 v14, 1.0, v14
	v_add_f32_e32 v15, 1.0, v15
	v_rcp_f32_e32 v12, v12
	v_rcp_f32_e32 v13, v13
	;; [unrolled: 1-line block ×4, first 2 shown]
	v_pk_mul_f32 v[4:5], v[4:5], v[12:13]
	s_nop 0
	;;#ASMSTART
	v_pk_mul_f32 v[4:5], v[4:5], v[8:9]
	;;#ASMEND
	v_pk_mul_f32 v[6:7], v[6:7], v[14:15]
	s_nop 0
	;;#ASMSTART
	v_pk_mul_f32 v[6:7], v[6:7], v[10:11]
	;;#ASMEND
	s_load_dword s0, s[30:31], 0xc
	v_perm_b32 v7, v7, v6, s38
	v_perm_b32 v6, v5, v4, s38
	buffer_store_dwordx2 v[6:7], v1, s[8:11], 0 offen
	s_waitcnt lgkmcnt(0)
	s_and_b32 s0, s0, 0xffff
	s_lshl_b32 s28, s0, 2
	v_lshl_add_u64 v[2:3], s[28:29], 0, v[2:3]
	v_cmp_le_i64_e32 vcc, s[6:7], v[2:3]
	s_or_b64 s[34:35], vcc, s[34:35]
	s_andn2_b64 exec, exec, s[34:35]
	s_cbranch_execnz .LBB133_8
.LBB133_9:
	s_endpgm
	.section	.rodata,"a",@progbits
	.p2align	6, 0x0
	.amdhsa_kernel _ZN5aiter23act_and_mul_bias_kernelIttafTnPFfRKT2_EXadL_ZNS_11silu_kernelIfEEfRKT_EELi4EEEvPT0_PS8_PKT1_PS2_il
		.amdhsa_group_segment_fixed_size 0
		.amdhsa_private_segment_fixed_size 0
		.amdhsa_kernarg_size 304
		.amdhsa_user_sgpr_count 2
		.amdhsa_user_sgpr_dispatch_ptr 0
		.amdhsa_user_sgpr_queue_ptr 0
		.amdhsa_user_sgpr_kernarg_segment_ptr 1
		.amdhsa_user_sgpr_dispatch_id 0
		.amdhsa_user_sgpr_kernarg_preload_length 0
		.amdhsa_user_sgpr_kernarg_preload_offset 0
		.amdhsa_user_sgpr_private_segment_size 0
		.amdhsa_uses_dynamic_stack 0
		.amdhsa_enable_private_segment 0
		.amdhsa_system_sgpr_workgroup_id_x 1
		.amdhsa_system_sgpr_workgroup_id_y 0
		.amdhsa_system_sgpr_workgroup_id_z 0
		.amdhsa_system_sgpr_workgroup_info 0
		.amdhsa_system_vgpr_workitem_id 0
		.amdhsa_next_free_vgpr 24
		.amdhsa_next_free_sgpr 39
		.amdhsa_accum_offset 24
		.amdhsa_reserve_vcc 1
		.amdhsa_float_round_mode_32 0
		.amdhsa_float_round_mode_16_64 0
		.amdhsa_float_denorm_mode_32 3
		.amdhsa_float_denorm_mode_16_64 3
		.amdhsa_dx10_clamp 1
		.amdhsa_ieee_mode 1
		.amdhsa_fp16_overflow 0
		.amdhsa_tg_split 0
		.amdhsa_exception_fp_ieee_invalid_op 0
		.amdhsa_exception_fp_denorm_src 0
		.amdhsa_exception_fp_ieee_div_zero 0
		.amdhsa_exception_fp_ieee_overflow 0
		.amdhsa_exception_fp_ieee_underflow 0
		.amdhsa_exception_fp_ieee_inexact 0
		.amdhsa_exception_int_div_zero 0
	.end_amdhsa_kernel
	.section	.text._ZN5aiter23act_and_mul_bias_kernelIttafTnPFfRKT2_EXadL_ZNS_11silu_kernelIfEEfRKT_EELi4EEEvPT0_PS8_PKT1_PS2_il,"axG",@progbits,_ZN5aiter23act_and_mul_bias_kernelIttafTnPFfRKT2_EXadL_ZNS_11silu_kernelIfEEfRKT_EELi4EEEvPT0_PS8_PKT1_PS2_il,comdat
.Lfunc_end133:
	.size	_ZN5aiter23act_and_mul_bias_kernelIttafTnPFfRKT2_EXadL_ZNS_11silu_kernelIfEEfRKT_EELi4EEEvPT0_PS8_PKT1_PS2_il, .Lfunc_end133-_ZN5aiter23act_and_mul_bias_kernelIttafTnPFfRKT2_EXadL_ZNS_11silu_kernelIfEEfRKT_EELi4EEEvPT0_PS8_PKT1_PS2_il
                                        ; -- End function
	.section	.AMDGPU.csdata,"",@progbits
; Kernel info:
; codeLenInByte = 1148
; NumSgprs: 45
; NumVgprs: 24
; NumAgprs: 0
; TotalNumVgprs: 24
; ScratchSize: 0
; MemoryBound: 0
; FloatMode: 240
; IeeeMode: 1
; LDSByteSize: 0 bytes/workgroup (compile time only)
; SGPRBlocks: 5
; VGPRBlocks: 2
; NumSGPRsForWavesPerEU: 45
; NumVGPRsForWavesPerEU: 24
; AccumOffset: 24
; Occupancy: 8
; WaveLimiterHint : 0
; COMPUTE_PGM_RSRC2:SCRATCH_EN: 0
; COMPUTE_PGM_RSRC2:USER_SGPR: 2
; COMPUTE_PGM_RSRC2:TRAP_HANDLER: 0
; COMPUTE_PGM_RSRC2:TGID_X_EN: 1
; COMPUTE_PGM_RSRC2:TGID_Y_EN: 0
; COMPUTE_PGM_RSRC2:TGID_Z_EN: 0
; COMPUTE_PGM_RSRC2:TIDIG_COMP_CNT: 0
; COMPUTE_PGM_RSRC3_GFX90A:ACCUM_OFFSET: 5
; COMPUTE_PGM_RSRC3_GFX90A:TG_SPLIT: 0
	.section	.text._ZN5aiter23act_and_mul_bias_kernelIttafTnPFfRKT2_EXadL_ZNS_11silu_kernelIfEEfRKT_EELi2EEEvPT0_PS8_PKT1_PS2_il,"axG",@progbits,_ZN5aiter23act_and_mul_bias_kernelIttafTnPFfRKT2_EXadL_ZNS_11silu_kernelIfEEfRKT_EELi2EEEvPT0_PS8_PKT1_PS2_il,comdat
	.protected	_ZN5aiter23act_and_mul_bias_kernelIttafTnPFfRKT2_EXadL_ZNS_11silu_kernelIfEEfRKT_EELi2EEEvPT0_PS8_PKT1_PS2_il ; -- Begin function _ZN5aiter23act_and_mul_bias_kernelIttafTnPFfRKT2_EXadL_ZNS_11silu_kernelIfEEfRKT_EELi2EEEvPT0_PS8_PKT1_PS2_il
	.globl	_ZN5aiter23act_and_mul_bias_kernelIttafTnPFfRKT2_EXadL_ZNS_11silu_kernelIfEEfRKT_EELi2EEEvPT0_PS8_PKT1_PS2_il
	.p2align	8
	.type	_ZN5aiter23act_and_mul_bias_kernelIttafTnPFfRKT2_EXadL_ZNS_11silu_kernelIfEEfRKT_EELi2EEEvPT0_PS8_PKT1_PS2_il,@function
_ZN5aiter23act_and_mul_bias_kernelIttafTnPFfRKT2_EXadL_ZNS_11silu_kernelIfEEfRKT_EELi2EEEvPT0_PS8_PKT1_PS2_il: ; @_ZN5aiter23act_and_mul_bias_kernelIttafTnPFfRKT2_EXadL_ZNS_11silu_kernelIfEEfRKT_EELi2EEEvPT0_PS8_PKT1_PS2_il
; %bb.0:
	s_load_dwordx2 s[4:5], s[0:1], 0x10
	s_load_dword s24, s[0:1], 0x20
	s_load_dwordx2 s[6:7], s[0:1], 0x28
	v_mov_b32_e32 v1, s2
	s_mov_b32 s9, 0
	s_waitcnt lgkmcnt(0)
	global_load_ubyte v1, v1, s[4:5]
	s_add_i32 s3, s24, 1
	v_mov_b64_e32 v[2:3], s[6:7]
	s_lshr_b32 s6, s3, 31
	s_add_i32 s3, s3, s6
	s_load_dwordx2 s[4:5], s[0:1], 0x0
	s_lshl_b32 s3, s3, 1
	s_ashr_i32 s25, s24, 31
	s_and_b32 s6, s3, -4
	s_mul_hi_u32 s8, s24, s2
	s_mul_i32 s7, s25, s2
	s_mul_i32 s12, s24, s2
	s_add_i32 s13, s8, s7
	s_lshl_b64 s[12:13], s[12:13], 1
	s_mov_b64 s[10:11], -1
	s_waitcnt vmcnt(0)
	v_readfirstlane_b32 s3, v1
	s_nop 1
	v_mov_b32_e32 v4, s3
	s_sext_i32_i8 s3, s3
	v_readfirstlane_b32 s8, v4
	s_bfe_i64 s[8:9], s[8:9], 0x80000
	s_waitcnt lgkmcnt(0)
	s_add_u32 s4, s4, s12
	s_addc_u32 s5, s5, s13
	s_and_b32 s5, s5, 0xffff
	s_cmp_gt_i32 s3, -1
	v_cmp_lt_i64_e32 vcc, s[8:9], v[2:3]
	s_cselect_b64 s[12:13], -1, 0
	s_and_b64 s[12:13], s[12:13], vcc
	s_and_b64 vcc, exec, s[12:13]
	v_lshlrev_b32_e32 v2, 1, v0
	s_cbranch_vccnz .LBB134_5
; %bb.1:
	v_cmp_gt_i32_e32 vcc, s24, v2
	s_and_saveexec_b64 s[10:11], vcc
	s_cbranch_execz .LBB134_4
; %bb.2:
	s_load_dword s3, s[0:1], 0x3c
	v_mov_b32_e32 v3, 0
	s_mov_b32 s13, 0
	v_lshlrev_b32_e32 v4, 2, v0
	s_mov_b64 s[14:15], 0
	s_waitcnt lgkmcnt(0)
	s_and_b32 s3, s3, 0xffff
	s_lshl_b32 s12, s3, 1
	s_lshl_b32 s3, s3, 2
	s_mov_b32 s7, 0x20000
	v_mov_b64_e32 v[0:1], v[2:3]
.LBB134_3:                              ; =>This Inner Loop Header: Depth=1
	v_lshl_add_u64 v[0:1], s[12:13], 0, v[0:1]
	v_cmp_le_i64_e32 vcc, s[24:25], v[0:1]
	buffer_store_dword v3, v4, s[4:7], 0 offen
	s_or_b64 s[14:15], vcc, s[14:15]
	v_add_u32_e32 v4, s3, v4
	s_andn2_b64 exec, exec, s[14:15]
	s_cbranch_execnz .LBB134_3
.LBB134_4:
	s_or_b64 exec, exec, s[10:11]
	s_mov_b64 s[10:11], 0
.LBB134_5:
	s_andn2_b64 vcc, exec, s[10:11]
	s_cbranch_vccnz .LBB134_9
; %bb.6:
	v_cmp_gt_i32_e32 vcc, s24, v2
	s_and_saveexec_b64 s[10:11], vcc
	s_cbranch_execz .LBB134_9
; %bb.7:
	s_load_dwordx2 s[14:15], s[0:1], 0x8
	s_load_dwordx2 s[10:11], s[0:1], 0x18
	s_mul_hi_i32 s9, s24, s8
	s_mul_i32 s8, s24, s8
	s_lshl_b64 s[8:9], s[8:9], 3
	s_mul_i32 s16, s2, s25
	s_waitcnt lgkmcnt(0)
	s_add_u32 s8, s10, s8
	s_addc_u32 s7, s11, s9
	s_lshl_b64 s[10:11], s[24:25], 2
	s_add_u32 s12, s8, s10
	s_mul_hi_u32 s17, s2, s24
	s_addc_u32 s13, s7, s11
	s_add_i32 s17, s17, s16
	s_mul_i32 s16, s2, s24
	s_lshl_b32 s10, s24, 2
	s_and_b32 s9, s7, 0xffff
	s_and_b32 s13, s13, 0xffff
	s_lshl_b64 s[16:17], s[16:17], 2
	s_add_u32 s16, s14, s16
	s_addc_u32 s2, s15, s17
	s_lshl_b64 s[14:15], s[24:25], 1
	s_add_u32 s20, s16, s14
	s_addc_u32 s14, s2, s15
	s_and_b32 s17, s2, 0xffff
	s_and_b32 s21, s14, 0xffff
	s_mov_b32 s7, 0x20000
	s_add_u32 s26, s0, 48
	s_mov_b32 s3, 0
	s_mov_b32 s11, s7
	v_mov_b32_e32 v3, 0
	s_addc_u32 s27, s1, 0
	s_mov_b64 s[28:29], 0
	s_mov_b32 s18, s6
	s_mov_b32 s19, s7
	;; [unrolled: 1-line block ×5, first 2 shown]
	v_mov_b32_e32 v0, 0x7f800000
	s_mov_b32 s34, 0x7060302
	s_mov_b32 s22, s6
	;; [unrolled: 1-line block ×3, first 2 shown]
.LBB134_8:                              ; =>This Inner Loop Header: Depth=1
	v_lshlrev_b32_e32 v8, 2, v2
	v_lshlrev_b32_e32 v1, 1, v2
	s_mov_b32 s14, s10
	s_mov_b32 s15, s11
	buffer_load_dwordx2 v[4:5], v8, s[8:11], 0 offen
	buffer_load_dword v10, v1, s[16:19], 0 offen
	buffer_load_dword v12, v1, s[20:23], 0 offen
	buffer_load_dwordx2 v[6:7], v8, s[12:15], 0 offen
	s_waitcnt vmcnt(2)
	v_and_b32_e32 v9, 0xffff0000, v10
	v_lshlrev_b32_e32 v8, 16, v10
	v_pk_add_f32 v[4:5], v[4:5], v[8:9]
	s_waitcnt vmcnt(1)
	v_and_b32_e32 v11, 0xffff0000, v12
	v_mul_f32_e32 v8, 0xbfb8aa3b, v5
	v_mul_f32_e32 v9, 0xbfb8aa3b, v4
	v_fma_f32 v10, v5, s30, -v8
	v_rndne_f32_e32 v13, v8
	v_fma_f32 v14, v4, s30, -v9
	v_rndne_f32_e32 v15, v9
	v_fmac_f32_e32 v10, 0xb2a5705f, v5
	v_sub_f32_e32 v8, v8, v13
	v_fmac_f32_e32 v14, 0xb2a5705f, v4
	v_sub_f32_e32 v9, v9, v15
	v_add_f32_e32 v8, v8, v10
	v_add_f32_e32 v9, v9, v14
	v_cvt_i32_f32_e32 v13, v13
	v_cvt_i32_f32_e32 v15, v15
	v_exp_f32_e32 v8, v8
	v_exp_f32_e32 v9, v9
	v_cmp_nlt_f32_e32 vcc, s31, v4
	v_cmp_nlt_f32_e64 s[0:1], s31, v5
	v_ldexp_f32 v8, v8, v13
	v_ldexp_f32 v9, v9, v15
	v_cndmask_b32_e64 v8, 0, v8, s[0:1]
	v_cndmask_b32_e32 v9, 0, v9, vcc
	v_cmp_ngt_f32_e32 vcc, s33, v4
	v_cmp_ngt_f32_e64 s[0:1], s33, v5
	s_nop 0
	v_cndmask_b32_e32 v9, v0, v9, vcc
	v_cndmask_b32_e64 v8, v0, v8, s[0:1]
	v_add_f32_e32 v8, 1.0, v8
	v_add_f32_e32 v10, 1.0, v9
	v_rcp_f32_e32 v9, v8
	v_rcp_f32_e32 v8, v10
	v_lshlrev_b32_e32 v10, 16, v12
	s_waitcnt vmcnt(0)
	v_pk_add_f32 v[6:7], v[6:7], v[10:11]
	v_pk_mul_f32 v[4:5], v[4:5], v[8:9]
	s_nop 0
	;;#ASMSTART
	v_pk_mul_f32 v[4:5], v[4:5], v[6:7]
	;;#ASMEND
	s_load_dword s0, s[26:27], 0xc
	v_perm_b32 v4, v5, v4, s34
	buffer_store_dword v4, v1, s[4:7], 0 offen
	s_waitcnt lgkmcnt(0)
	s_and_b32 s0, s0, 0xffff
	s_lshl_b32 s2, s0, 1
	v_lshl_add_u64 v[2:3], s[2:3], 0, v[2:3]
	v_cmp_le_i64_e32 vcc, s[24:25], v[2:3]
	s_or_b64 s[28:29], vcc, s[28:29]
	s_andn2_b64 exec, exec, s[28:29]
	s_cbranch_execnz .LBB134_8
.LBB134_9:
	s_endpgm
	.section	.rodata,"a",@progbits
	.p2align	6, 0x0
	.amdhsa_kernel _ZN5aiter23act_and_mul_bias_kernelIttafTnPFfRKT2_EXadL_ZNS_11silu_kernelIfEEfRKT_EELi2EEEvPT0_PS8_PKT1_PS2_il
		.amdhsa_group_segment_fixed_size 0
		.amdhsa_private_segment_fixed_size 0
		.amdhsa_kernarg_size 304
		.amdhsa_user_sgpr_count 2
		.amdhsa_user_sgpr_dispatch_ptr 0
		.amdhsa_user_sgpr_queue_ptr 0
		.amdhsa_user_sgpr_kernarg_segment_ptr 1
		.amdhsa_user_sgpr_dispatch_id 0
		.amdhsa_user_sgpr_kernarg_preload_length 0
		.amdhsa_user_sgpr_kernarg_preload_offset 0
		.amdhsa_user_sgpr_private_segment_size 0
		.amdhsa_uses_dynamic_stack 0
		.amdhsa_enable_private_segment 0
		.amdhsa_system_sgpr_workgroup_id_x 1
		.amdhsa_system_sgpr_workgroup_id_y 0
		.amdhsa_system_sgpr_workgroup_id_z 0
		.amdhsa_system_sgpr_workgroup_info 0
		.amdhsa_system_vgpr_workitem_id 0
		.amdhsa_next_free_vgpr 16
		.amdhsa_next_free_sgpr 35
		.amdhsa_accum_offset 16
		.amdhsa_reserve_vcc 1
		.amdhsa_float_round_mode_32 0
		.amdhsa_float_round_mode_16_64 0
		.amdhsa_float_denorm_mode_32 3
		.amdhsa_float_denorm_mode_16_64 3
		.amdhsa_dx10_clamp 1
		.amdhsa_ieee_mode 1
		.amdhsa_fp16_overflow 0
		.amdhsa_tg_split 0
		.amdhsa_exception_fp_ieee_invalid_op 0
		.amdhsa_exception_fp_denorm_src 0
		.amdhsa_exception_fp_ieee_div_zero 0
		.amdhsa_exception_fp_ieee_overflow 0
		.amdhsa_exception_fp_ieee_underflow 0
		.amdhsa_exception_fp_ieee_inexact 0
		.amdhsa_exception_int_div_zero 0
	.end_amdhsa_kernel
	.section	.text._ZN5aiter23act_and_mul_bias_kernelIttafTnPFfRKT2_EXadL_ZNS_11silu_kernelIfEEfRKT_EELi2EEEvPT0_PS8_PKT1_PS2_il,"axG",@progbits,_ZN5aiter23act_and_mul_bias_kernelIttafTnPFfRKT2_EXadL_ZNS_11silu_kernelIfEEfRKT_EELi2EEEvPT0_PS8_PKT1_PS2_il,comdat
.Lfunc_end134:
	.size	_ZN5aiter23act_and_mul_bias_kernelIttafTnPFfRKT2_EXadL_ZNS_11silu_kernelIfEEfRKT_EELi2EEEvPT0_PS8_PKT1_PS2_il, .Lfunc_end134-_ZN5aiter23act_and_mul_bias_kernelIttafTnPFfRKT2_EXadL_ZNS_11silu_kernelIfEEfRKT_EELi2EEEvPT0_PS8_PKT1_PS2_il
                                        ; -- End function
	.section	.AMDGPU.csdata,"",@progbits
; Kernel info:
; codeLenInByte = 892
; NumSgprs: 41
; NumVgprs: 16
; NumAgprs: 0
; TotalNumVgprs: 16
; ScratchSize: 0
; MemoryBound: 0
; FloatMode: 240
; IeeeMode: 1
; LDSByteSize: 0 bytes/workgroup (compile time only)
; SGPRBlocks: 5
; VGPRBlocks: 1
; NumSGPRsForWavesPerEU: 41
; NumVGPRsForWavesPerEU: 16
; AccumOffset: 16
; Occupancy: 8
; WaveLimiterHint : 0
; COMPUTE_PGM_RSRC2:SCRATCH_EN: 0
; COMPUTE_PGM_RSRC2:USER_SGPR: 2
; COMPUTE_PGM_RSRC2:TRAP_HANDLER: 0
; COMPUTE_PGM_RSRC2:TGID_X_EN: 1
; COMPUTE_PGM_RSRC2:TGID_Y_EN: 0
; COMPUTE_PGM_RSRC2:TGID_Z_EN: 0
; COMPUTE_PGM_RSRC2:TIDIG_COMP_CNT: 0
; COMPUTE_PGM_RSRC3_GFX90A:ACCUM_OFFSET: 3
; COMPUTE_PGM_RSRC3_GFX90A:TG_SPLIT: 0
	.section	.text._ZN5aiter23act_and_mul_bias_kernelIttafTnPFfRKT2_EXadL_ZNS_11silu_kernelIfEEfRKT_EELi1EEEvPT0_PS8_PKT1_PS2_il,"axG",@progbits,_ZN5aiter23act_and_mul_bias_kernelIttafTnPFfRKT2_EXadL_ZNS_11silu_kernelIfEEfRKT_EELi1EEEvPT0_PS8_PKT1_PS2_il,comdat
	.protected	_ZN5aiter23act_and_mul_bias_kernelIttafTnPFfRKT2_EXadL_ZNS_11silu_kernelIfEEfRKT_EELi1EEEvPT0_PS8_PKT1_PS2_il ; -- Begin function _ZN5aiter23act_and_mul_bias_kernelIttafTnPFfRKT2_EXadL_ZNS_11silu_kernelIfEEfRKT_EELi1EEEvPT0_PS8_PKT1_PS2_il
	.globl	_ZN5aiter23act_and_mul_bias_kernelIttafTnPFfRKT2_EXadL_ZNS_11silu_kernelIfEEfRKT_EELi1EEEvPT0_PS8_PKT1_PS2_il
	.p2align	8
	.type	_ZN5aiter23act_and_mul_bias_kernelIttafTnPFfRKT2_EXadL_ZNS_11silu_kernelIfEEfRKT_EELi1EEEvPT0_PS8_PKT1_PS2_il,@function
_ZN5aiter23act_and_mul_bias_kernelIttafTnPFfRKT2_EXadL_ZNS_11silu_kernelIfEEfRKT_EELi1EEEvPT0_PS8_PKT1_PS2_il: ; @_ZN5aiter23act_and_mul_bias_kernelIttafTnPFfRKT2_EXadL_ZNS_11silu_kernelIfEEfRKT_EELi1EEEvPT0_PS8_PKT1_PS2_il
; %bb.0:
	s_load_dwordx2 s[4:5], s[0:1], 0x10
	s_load_dword s20, s[0:1], 0x20
	s_load_dwordx2 s[6:7], s[0:1], 0x28
	v_mov_b32_e32 v1, s2
	s_mov_b32 s9, 0
	s_waitcnt lgkmcnt(0)
	global_load_ubyte v1, v1, s[4:5]
	s_add_i32 s3, s20, 1
	s_ashr_i32 s21, s20, 31
	v_mov_b64_e32 v[2:3], s[6:7]
	s_lshr_b32 s6, s3, 31
	s_mul_hi_u32 s8, s20, s2
	s_mul_i32 s7, s21, s2
	s_add_i32 s3, s3, s6
	s_load_dwordx2 s[4:5], s[0:1], 0x0
	s_mul_i32 s10, s20, s2
	s_add_i32 s11, s8, s7
	s_lshl_b32 s3, s3, 1
	s_lshl_b64 s[14:15], s[10:11], 1
	s_and_b32 s10, s3, -4
	s_mov_b64 s[12:13], -1
	s_waitcnt vmcnt(0)
	v_readfirstlane_b32 s3, v1
	s_nop 1
	v_mov_b32_e32 v4, s3
	s_sext_i32_i8 s3, s3
	v_readfirstlane_b32 s8, v4
	s_bfe_i64 s[6:7], s[8:9], 0x80000
	s_waitcnt lgkmcnt(0)
	s_add_u32 s8, s4, s14
	s_addc_u32 s4, s5, s15
	s_and_b32 s9, s4, 0xffff
	s_cmp_gt_i32 s3, -1
	v_cmp_lt_i64_e32 vcc, s[6:7], v[2:3]
	s_cselect_b64 s[4:5], -1, 0
	s_and_b64 s[4:5], s[4:5], vcc
	s_and_b64 vcc, exec, s[4:5]
	v_cmp_gt_i32_e64 s[4:5], s20, v0
	s_cbranch_vccnz .LBB135_5
; %bb.1:
	s_and_saveexec_b64 s[12:13], s[4:5]
	s_cbranch_execz .LBB135_4
; %bb.2:
	s_load_dword s3, s[0:1], 0x3c
	v_mov_b32_e32 v1, 0
	s_mov_b32 s5, 0
	v_lshlrev_b32_e32 v4, 1, v0
	s_mov_b64 s[14:15], 0
	s_waitcnt lgkmcnt(0)
	s_and_b32 s4, s3, 0xffff
	s_lshl_b32 s3, s4, 1
	s_mov_b32 s11, 0x20000
	v_mov_b64_e32 v[2:3], v[0:1]
.LBB135_3:                              ; =>This Inner Loop Header: Depth=1
	v_lshl_add_u64 v[2:3], v[2:3], 0, s[4:5]
	v_cmp_le_i64_e32 vcc, s[20:21], v[2:3]
	buffer_store_short v1, v4, s[8:11], 0 offen
	s_or_b64 s[14:15], vcc, s[14:15]
	v_add_u32_e32 v4, s3, v4
	s_andn2_b64 exec, exec, s[14:15]
	s_cbranch_execnz .LBB135_3
.LBB135_4:
	s_or_b64 exec, exec, s[12:13]
	s_mov_b64 s[12:13], 0
.LBB135_5:
	s_andn2_b64 vcc, exec, s[12:13]
	s_cbranch_vccnz .LBB135_9
; %bb.6:
	v_cmp_gt_i32_e32 vcc, s20, v0
	s_and_saveexec_b64 s[4:5], vcc
	s_cbranch_execz .LBB135_9
; %bb.7:
	s_load_dwordx2 s[12:13], s[0:1], 0x8
	s_load_dwordx2 s[4:5], s[0:1], 0x18
	s_mul_hi_i32 s7, s20, s6
	s_mul_i32 s6, s20, s6
	s_lshl_b64 s[6:7], s[6:7], 3
	s_load_dword s14, s[0:1], 0x3c
	s_waitcnt lgkmcnt(0)
	s_add_u32 s4, s4, s6
	s_addc_u32 s3, s5, s7
	s_lshl_b64 s[0:1], s[20:21], 2
	s_add_u32 s0, s4, s0
	s_addc_u32 s1, s3, s1
	s_and_b32 s5, s3, 0xffff
	s_mul_i32 s3, s2, s21
	s_mul_hi_u32 s15, s2, s20
	s_add_i32 s3, s15, s3
	s_mul_i32 s2, s2, s20
	s_lshl_b32 s6, s20, 2
	s_and_b32 s1, s1, 0xffff
	s_lshl_b64 s[2:3], s[2:3], 2
	s_add_u32 s12, s12, s2
	s_addc_u32 s13, s13, s3
	s_lshl_b64 s[2:3], s[20:21], 1
	s_add_u32 s16, s12, s2
	s_mov_b32 s11, 0x20000
	s_addc_u32 s2, s13, s3
	s_and_b32 s22, s14, 0xffff
	s_mov_b32 s23, 0
	s_mov_b32 s7, s11
	s_and_b32 s13, s13, 0xffff
	s_and_b32 s17, s2, 0xffff
	v_mov_b32_e32 v1, 0
	v_lshlrev_b32_e32 v2, 2, v0
	s_lshl_b32 s26, s22, 2
	v_lshlrev_b32_e32 v3, 1, v0
	s_lshl_b32 s27, s22, 1
	s_mov_b64 s[24:25], 0
	s_mov_b32 s28, 0xbfb8aa3b
	s_mov_b32 s29, 0x42ce8ed0
	;; [unrolled: 1-line block ×3, first 2 shown]
	v_mov_b32_e32 v4, 0x7f800000
	s_mov_b32 s14, s10
	s_mov_b32 s15, s11
	;; [unrolled: 1-line block ×4, first 2 shown]
.LBB135_8:                              ; =>This Inner Loop Header: Depth=1
	buffer_load_ushort v5, v3, s[12:15], 0 offen
	buffer_load_ushort v8, v3, s[16:19], 0 offen
	s_mov_b32 s2, s6
	s_mov_b32 s3, s7
	buffer_load_dword v7, v2, s[4:7], 0 offen
	buffer_load_dword v6, v2, s[0:3], 0 offen
	v_lshl_add_u64 v[0:1], v[0:1], 0, s[22:23]
	v_add_u32_e32 v2, s26, v2
	s_waitcnt vmcnt(3)
	v_lshlrev_b32_e32 v9, 16, v5
	s_waitcnt vmcnt(2)
	v_lshlrev_b32_e32 v8, 16, v8
	s_waitcnt vmcnt(0)
	v_pk_add_f32 v[6:7], v[8:9], v[6:7]
	s_nop 0
	v_mul_f32_e32 v5, 0xbfb8aa3b, v7
	v_fma_f32 v8, v7, s28, -v5
	v_rndne_f32_e32 v9, v5
	v_fmac_f32_e32 v8, 0xb2a5705f, v7
	v_sub_f32_e32 v5, v5, v9
	v_add_f32_e32 v5, v5, v8
	v_cvt_i32_f32_e32 v9, v9
	v_exp_f32_e32 v5, v5
	v_cmp_nlt_f32_e32 vcc, s29, v7
	v_ldexp_f32 v5, v5, v9
	s_nop 0
	v_cndmask_b32_e32 v5, 0, v5, vcc
	v_cmp_ngt_f32_e32 vcc, s30, v7
	s_nop 1
	v_cndmask_b32_e32 v5, v4, v5, vcc
	v_add_f32_e32 v5, 1.0, v5
	v_rcp_f32_e32 v5, v5
	v_cmp_le_i64_e32 vcc, s[20:21], v[0:1]
	s_or_b64 s[24:25], vcc, s[24:25]
	v_mul_f32_e32 v5, v7, v5
	v_mul_f32_e32 v5, v6, v5
	v_lshrrev_b32_e32 v5, 16, v5
	buffer_store_short v5, v3, s[8:11], 0 offen
	v_add_u32_e32 v3, s27, v3
	s_andn2_b64 exec, exec, s[24:25]
	s_cbranch_execnz .LBB135_8
.LBB135_9:
	s_endpgm
	.section	.rodata,"a",@progbits
	.p2align	6, 0x0
	.amdhsa_kernel _ZN5aiter23act_and_mul_bias_kernelIttafTnPFfRKT2_EXadL_ZNS_11silu_kernelIfEEfRKT_EELi1EEEvPT0_PS8_PKT1_PS2_il
		.amdhsa_group_segment_fixed_size 0
		.amdhsa_private_segment_fixed_size 0
		.amdhsa_kernarg_size 304
		.amdhsa_user_sgpr_count 2
		.amdhsa_user_sgpr_dispatch_ptr 0
		.amdhsa_user_sgpr_queue_ptr 0
		.amdhsa_user_sgpr_kernarg_segment_ptr 1
		.amdhsa_user_sgpr_dispatch_id 0
		.amdhsa_user_sgpr_kernarg_preload_length 0
		.amdhsa_user_sgpr_kernarg_preload_offset 0
		.amdhsa_user_sgpr_private_segment_size 0
		.amdhsa_uses_dynamic_stack 0
		.amdhsa_enable_private_segment 0
		.amdhsa_system_sgpr_workgroup_id_x 1
		.amdhsa_system_sgpr_workgroup_id_y 0
		.amdhsa_system_sgpr_workgroup_id_z 0
		.amdhsa_system_sgpr_workgroup_info 0
		.amdhsa_system_vgpr_workitem_id 0
		.amdhsa_next_free_vgpr 10
		.amdhsa_next_free_sgpr 31
		.amdhsa_accum_offset 12
		.amdhsa_reserve_vcc 1
		.amdhsa_float_round_mode_32 0
		.amdhsa_float_round_mode_16_64 0
		.amdhsa_float_denorm_mode_32 3
		.amdhsa_float_denorm_mode_16_64 3
		.amdhsa_dx10_clamp 1
		.amdhsa_ieee_mode 1
		.amdhsa_fp16_overflow 0
		.amdhsa_tg_split 0
		.amdhsa_exception_fp_ieee_invalid_op 0
		.amdhsa_exception_fp_denorm_src 0
		.amdhsa_exception_fp_ieee_div_zero 0
		.amdhsa_exception_fp_ieee_overflow 0
		.amdhsa_exception_fp_ieee_underflow 0
		.amdhsa_exception_fp_ieee_inexact 0
		.amdhsa_exception_int_div_zero 0
	.end_amdhsa_kernel
	.section	.text._ZN5aiter23act_and_mul_bias_kernelIttafTnPFfRKT2_EXadL_ZNS_11silu_kernelIfEEfRKT_EELi1EEEvPT0_PS8_PKT1_PS2_il,"axG",@progbits,_ZN5aiter23act_and_mul_bias_kernelIttafTnPFfRKT2_EXadL_ZNS_11silu_kernelIfEEfRKT_EELi1EEEvPT0_PS8_PKT1_PS2_il,comdat
.Lfunc_end135:
	.size	_ZN5aiter23act_and_mul_bias_kernelIttafTnPFfRKT2_EXadL_ZNS_11silu_kernelIfEEfRKT_EELi1EEEvPT0_PS8_PKT1_PS2_il, .Lfunc_end135-_ZN5aiter23act_and_mul_bias_kernelIttafTnPFfRKT2_EXadL_ZNS_11silu_kernelIfEEfRKT_EELi1EEEvPT0_PS8_PKT1_PS2_il
                                        ; -- End function
	.section	.AMDGPU.csdata,"",@progbits
; Kernel info:
; codeLenInByte = 756
; NumSgprs: 37
; NumVgprs: 10
; NumAgprs: 0
; TotalNumVgprs: 10
; ScratchSize: 0
; MemoryBound: 0
; FloatMode: 240
; IeeeMode: 1
; LDSByteSize: 0 bytes/workgroup (compile time only)
; SGPRBlocks: 4
; VGPRBlocks: 1
; NumSGPRsForWavesPerEU: 37
; NumVGPRsForWavesPerEU: 10
; AccumOffset: 12
; Occupancy: 8
; WaveLimiterHint : 0
; COMPUTE_PGM_RSRC2:SCRATCH_EN: 0
; COMPUTE_PGM_RSRC2:USER_SGPR: 2
; COMPUTE_PGM_RSRC2:TRAP_HANDLER: 0
; COMPUTE_PGM_RSRC2:TGID_X_EN: 1
; COMPUTE_PGM_RSRC2:TGID_Y_EN: 0
; COMPUTE_PGM_RSRC2:TGID_Z_EN: 0
; COMPUTE_PGM_RSRC2:TIDIG_COMP_CNT: 0
; COMPUTE_PGM_RSRC3_GFX90A:ACCUM_OFFSET: 2
; COMPUTE_PGM_RSRC3_GFX90A:TG_SPLIT: 0
	.section	.text._ZN5aiter23act_and_mul_bias_kernelIftsfTnPFfRKT2_EXadL_ZNS_11silu_kernelIfEEfRKT_EELi16EEEvPT0_PS8_PKT1_PS2_il,"axG",@progbits,_ZN5aiter23act_and_mul_bias_kernelIftsfTnPFfRKT2_EXadL_ZNS_11silu_kernelIfEEfRKT_EELi16EEEvPT0_PS8_PKT1_PS2_il,comdat
	.protected	_ZN5aiter23act_and_mul_bias_kernelIftsfTnPFfRKT2_EXadL_ZNS_11silu_kernelIfEEfRKT_EELi16EEEvPT0_PS8_PKT1_PS2_il ; -- Begin function _ZN5aiter23act_and_mul_bias_kernelIftsfTnPFfRKT2_EXadL_ZNS_11silu_kernelIfEEfRKT_EELi16EEEvPT0_PS8_PKT1_PS2_il
	.globl	_ZN5aiter23act_and_mul_bias_kernelIftsfTnPFfRKT2_EXadL_ZNS_11silu_kernelIfEEfRKT_EELi16EEEvPT0_PS8_PKT1_PS2_il
	.p2align	8
	.type	_ZN5aiter23act_and_mul_bias_kernelIftsfTnPFfRKT2_EXadL_ZNS_11silu_kernelIfEEfRKT_EELi16EEEvPT0_PS8_PKT1_PS2_il,@function
_ZN5aiter23act_and_mul_bias_kernelIftsfTnPFfRKT2_EXadL_ZNS_11silu_kernelIfEEfRKT_EELi16EEEvPT0_PS8_PKT1_PS2_il: ; @_ZN5aiter23act_and_mul_bias_kernelIftsfTnPFfRKT2_EXadL_ZNS_11silu_kernelIfEEfRKT_EELi16EEEvPT0_PS8_PKT1_PS2_il
; %bb.0:
	s_load_dwordx2 s[4:5], s[0:1], 0x10
	s_load_dword s30, s[0:1], 0x20
	s_load_dwordx2 s[8:9], s[0:1], 0x28
	s_mov_b32 s3, 0
	s_lshl_b64 s[6:7], s[2:3], 1
	s_waitcnt lgkmcnt(0)
	s_add_u32 s4, s4, s6
	s_addc_u32 s5, s5, s7
	v_mov_b32_e32 v1, 0
	global_load_ushort v1, v1, s[4:5]
	s_load_dwordx2 s[10:11], s[0:1], 0x0
	s_ashr_i32 s31, s30, 31
	s_mul_hi_u32 s3, s30, s2
	s_mul_i32 s5, s31, s2
	s_mul_i32 s4, s30, s2
	s_add_i32 s5, s3, s5
	v_mov_b64_e32 v[2:3], s[8:9]
	s_lshl_b64 s[8:9], s[4:5], 1
	s_mov_b64 s[6:7], -1
	v_lshlrev_b32_e32 v52, 4, v0
	s_waitcnt vmcnt(0)
	v_readfirstlane_b32 s3, v1
	s_sext_i32_i16 s4, s3
	s_ashr_i32 s5, s4, 31
	s_waitcnt lgkmcnt(0)
	s_add_u32 s36, s10, s8
	v_cmp_lt_i64_e32 vcc, s[4:5], v[2:3]
	s_addc_u32 s3, s11, s9
	s_add_i32 s5, s30, 1
	s_lshr_b32 s8, s5, 31
	s_add_i32 s5, s5, s8
	s_and_b32 s37, s3, 0xffff
	s_lshl_b32 s3, s5, 1
	s_and_b32 s38, s3, -4
	s_cmp_gt_i32 s4, -1
	s_cselect_b64 s[8:9], -1, 0
	s_and_b64 s[8:9], s[8:9], vcc
	s_and_b64 vcc, exec, s[8:9]
	s_cbranch_vccnz .LBB136_5
; %bb.1:
	v_cmp_gt_i32_e32 vcc, s30, v52
	s_and_saveexec_b64 s[6:7], vcc
	s_cbranch_execz .LBB136_4
; %bb.2:
	s_load_dword s3, s[0:1], 0x3c
	s_mov_b32 s9, 0
	s_mov_b32 s12, s9
	;; [unrolled: 1-line block ×3, first 2 shown]
	v_mov_b32_e32 v53, 0
	v_lshlrev_b32_e32 v6, 5, v0
	s_waitcnt lgkmcnt(0)
	s_and_b32 s3, s3, 0xffff
	s_mov_b32 s14, s9
	s_mov_b32 s15, s9
	v_mov_b64_e32 v[0:1], s[12:13]
	s_lshl_b32 s8, s3, 4
	s_lshl_b32 s3, s3, 5
	s_mov_b64 s[10:11], 0
	s_mov_b32 s39, 0x20000
	v_mov_b64_e32 v[2:3], s[14:15]
	v_mov_b64_e32 v[4:5], v[52:53]
.LBB136_3:                              ; =>This Inner Loop Header: Depth=1
	v_lshl_add_u64 v[4:5], s[8:9], 0, v[4:5]
	v_cmp_le_i64_e32 vcc, s[30:31], v[4:5]
	buffer_store_dwordx4 v[0:3], v6, s[36:39], 0 offen
	buffer_store_dwordx4 v[0:3], v6, s[36:39], 16 offen
	s_or_b64 s[10:11], vcc, s[10:11]
	v_add_u32_e32 v6, s3, v6
	s_andn2_b64 exec, exec, s[10:11]
	s_cbranch_execnz .LBB136_3
.LBB136_4:
	s_or_b64 exec, exec, s[6:7]
	s_mov_b64 s[6:7], 0
.LBB136_5:
	s_andn2_b64 vcc, exec, s[6:7]
	s_cbranch_vccnz .LBB136_9
; %bb.6:
	v_cmp_gt_i32_e32 vcc, s30, v52
	s_and_saveexec_b64 s[6:7], vcc
	s_cbranch_execz .LBB136_9
; %bb.7:
	s_load_dwordx2 s[6:7], s[0:1], 0x8
	s_load_dwordx2 s[8:9], s[0:1], 0x18
	s_mul_hi_i32 s5, s30, s4
	s_mul_i32 s4, s30, s4
	s_lshl_b32 s42, s30, 2
	s_lshl_b64 s[4:5], s[4:5], 3
	s_waitcnt lgkmcnt(0)
	s_add_u32 s44, s8, s4
	s_addc_u32 s3, s9, s5
	s_lshl_b64 s[4:5], s[30:31], 2
	s_add_u32 s40, s44, s4
	s_addc_u32 s8, s3, s5
	s_and_b32 s45, s3, 0xffff
	s_and_b32 s41, s8, 0xffff
	s_mul_i32 s3, s2, s31
	s_mul_hi_u32 s8, s2, s30
	s_add_i32 s3, s8, s3
	s_mul_i32 s2, s2, s30
	s_lshl_b64 s[2:3], s[2:3], 3
	s_add_u32 s48, s6, s2
	s_addc_u32 s2, s7, s3
	s_add_u32 s52, s48, s4
	s_addc_u32 s3, s2, s5
	s_and_b32 s49, s2, 0xffff
	s_and_b32 s53, s3, 0xffff
	s_mov_b32 s39, 0x20000
	s_add_u32 s34, s0, 48
	s_mov_b32 s43, s39
	v_mov_b32_e32 v53, 0
	s_addc_u32 s35, s1, 0
	s_mov_b64 s[56:57], 0
	s_mov_b32 s50, s42
	s_mov_b32 s51, s39
	;; [unrolled: 1-line block ×6, first 2 shown]
	v_mov_b32_e32 v54, 0x7f800000
	s_mov_b32 s62, 0x7060302
	s_mov_b32 s54, s42
	;; [unrolled: 1-line block ×5, first 2 shown]
.LBB136_8:                              ; =>This Inner Loop Header: Depth=1
	v_lshlrev_b32_e32 v55, 2, v52
	buffer_load_dwordx4 v[24:27], v55, s[40:43], 0 offen
	buffer_load_dwordx4 v[36:39], v55, s[52:55], 0 offen
	;; [unrolled: 1-line block ×15, first 2 shown]
	s_waitcnt vmcnt(13)
	v_pk_add_f32 v[38:39], v[38:39], v[26:27]
	v_pk_add_f32 v[36:37], v[36:37], v[24:25]
	buffer_load_dwordx4 v[24:27], v55, s[44:47], 48 offen
	s_waitcnt vmcnt(11)
	v_pk_add_f32 v[28:29], v[28:29], v[44:45]
	s_waitcnt vmcnt(10)
	v_pk_add_f32 v[32:33], v[48:49], v[32:33]
	v_pk_add_f32 v[34:35], v[50:51], v[34:35]
	s_waitcnt vmcnt(8)
	v_pk_add_f32 v[42:43], v[42:43], v[58:59]
	v_pk_add_f32 v[40:41], v[40:41], v[56:57]
	;; [unrolled: 1-line block ×3, first 2 shown]
	v_cmp_nlt_f32_e32 vcc, s60, v34
	s_waitcnt vmcnt(4)
	v_pk_add_f32 v[6:7], v[6:7], v[22:23]
	s_waitcnt vmcnt(3)
	v_pk_add_f32 v[2:3], v[2:3], v[14:15]
	;; [unrolled: 2-line block ×3, first 2 shown]
	v_pk_add_f32 v[4:5], v[4:5], v[20:21]
	v_pk_add_f32 v[0:1], v[0:1], v[12:13]
	v_mul_f32_e32 v20, 0xbfb8aa3b, v40
	v_mul_f32_e32 v21, 0xbfb8aa3b, v41
	;; [unrolled: 1-line block ×4, first 2 shown]
	v_pk_add_f32 v[10:11], v[62:63], v[10:11]
	v_fma_f32 v59, v40, s33, -v20
	v_rndne_f32_e32 v60, v20
	v_fma_f32 v61, v41, s33, -v21
	v_rndne_f32_e32 v62, v21
	;; [unrolled: 2-line block ×4, first 2 shown]
	v_fmac_f32_e32 v59, 0xb2a5705f, v40
	v_sub_f32_e32 v20, v20, v60
	v_fmac_f32_e32 v61, 0xb2a5705f, v41
	v_sub_f32_e32 v21, v21, v62
	;; [unrolled: 2-line block ×4, first 2 shown]
	v_add_f32_e32 v20, v20, v59
	v_add_f32_e32 v21, v21, v61
	;; [unrolled: 1-line block ×4, first 2 shown]
	v_cvt_i32_f32_e32 v60, v60
	v_cvt_i32_f32_e32 v62, v62
	;; [unrolled: 1-line block ×4, first 2 shown]
	v_exp_f32_e32 v20, v20
	v_exp_f32_e32 v21, v21
	;; [unrolled: 1-line block ×4, first 2 shown]
	v_ldexp_f32 v20, v20, v60
	v_ldexp_f32 v21, v21, v62
	;; [unrolled: 1-line block ×4, first 2 shown]
	v_cmp_nlt_f32_e64 s[0:1], s60, v35
	v_cmp_nlt_f32_e64 s[2:3], s60, v40
	;; [unrolled: 1-line block ×11, first 2 shown]
	v_cndmask_b32_e64 v20, 0, v20, s[2:3]
	v_cmp_ngt_f32_e64 s[2:3], s61, v40
	v_cndmask_b32_e64 v21, 0, v21, s[4:5]
	v_cmp_ngt_f32_e64 s[4:5], s61, v41
	;; [unrolled: 2-line block ×4, first 2 shown]
	v_cndmask_b32_e64 v20, v54, v20, s[2:3]
	v_cndmask_b32_e64 v21, v54, v21, s[4:5]
	;; [unrolled: 1-line block ×4, first 2 shown]
	v_add_f32_e32 v20, 1.0, v20
	v_add_f32_e32 v21, 1.0, v21
	;; [unrolled: 1-line block ×4, first 2 shown]
	v_rcp_f32_e32 v20, v20
	v_rcp_f32_e32 v21, v21
	;; [unrolled: 1-line block ×3, first 2 shown]
	s_waitcnt vmcnt(0)
	v_pk_add_f32 v[14:15], v[16:17], v[24:25]
	v_mul_f32_e32 v16, 0xbfb8aa3b, v32
	v_fma_f32 v48, v32, s33, -v16
	v_rndne_f32_e32 v49, v16
	v_pk_add_f32 v[12:13], v[18:19], v[26:27]
	v_mul_f32_e32 v17, 0xbfb8aa3b, v33
	v_mul_f32_e32 v18, 0xbfb8aa3b, v34
	;; [unrolled: 1-line block ×4, first 2 shown]
	v_fmac_f32_e32 v48, 0xb2a5705f, v32
	v_sub_f32_e32 v16, v16, v49
	v_fma_f32 v50, v33, s33, -v17
	v_rndne_f32_e32 v51, v17
	v_fma_f32 v55, v34, s33, -v18
	v_rndne_f32_e32 v56, v18
	;; [unrolled: 2-line block ×3, first 2 shown]
	v_fma_f32 v67, v8, s33, -v24
	v_add_f32_e32 v16, v16, v48
	v_rndne_f32_e32 v48, v24
	v_mul_f32_e32 v25, 0xbfb8aa3b, v9
	v_mul_f32_e32 v26, 0xbfb8aa3b, v10
	;; [unrolled: 1-line block ×4, first 2 shown]
	v_fmac_f32_e32 v50, 0xb2a5705f, v33
	v_sub_f32_e32 v17, v17, v51
	v_fmac_f32_e32 v55, 0xb2a5705f, v34
	v_sub_f32_e32 v18, v18, v56
	;; [unrolled: 2-line block ×4, first 2 shown]
	v_add_f32_e32 v17, v17, v50
	v_fma_f32 v50, v9, s33, -v25
	v_add_f32_e32 v18, v18, v55
	v_rndne_f32_e32 v55, v25
	v_add_f32_e32 v19, v19, v57
	v_fma_f32 v57, v10, s33, -v26
	v_rndne_f32_e32 v59, v26
	v_fma_f32 v61, v11, s33, -v27
	v_rndne_f32_e32 v63, v27
	v_fma_f32 v65, v14, s33, -v44
	v_add_f32_e32 v24, v24, v67
	v_rndne_f32_e32 v67, v44
	v_mul_f32_e32 v45, 0xbfb8aa3b, v15
	v_mul_f32_e32 v46, 0xbfb8aa3b, v12
	v_fmac_f32_e32 v50, 0xb2a5705f, v9
	v_sub_f32_e32 v25, v25, v55
	v_fmac_f32_e32 v57, 0xb2a5705f, v10
	v_sub_f32_e32 v26, v26, v59
	;; [unrolled: 2-line block ×4, first 2 shown]
	v_add_f32_e32 v25, v25, v50
	v_fma_f32 v50, v15, s33, -v45
	v_add_f32_e32 v26, v26, v57
	v_rndne_f32_e32 v57, v45
	v_add_f32_e32 v27, v27, v61
	v_fma_f32 v61, v12, s33, -v46
	v_add_f32_e32 v44, v44, v65
	v_rndne_f32_e32 v65, v46
	v_mul_f32_e32 v47, 0xbfb8aa3b, v13
	v_fmac_f32_e32 v50, 0xb2a5705f, v15
	v_sub_f32_e32 v45, v45, v57
	v_fmac_f32_e32 v61, 0xb2a5705f, v12
	v_sub_f32_e32 v46, v46, v65
	v_add_f32_e32 v45, v45, v50
	v_fma_f32 v50, v13, s33, -v47
	v_add_f32_e32 v46, v46, v61
	v_rndne_f32_e32 v61, v47
	v_fmac_f32_e32 v50, 0xb2a5705f, v13
	v_sub_f32_e32 v47, v47, v61
	v_add_f32_e32 v47, v47, v50
	v_cvt_i32_f32_e32 v49, v49
	v_cvt_i32_f32_e32 v51, v51
	;; [unrolled: 1-line block ×8, first 2 shown]
	v_exp_f32_e32 v16, v16
	v_exp_f32_e32 v17, v17
	;; [unrolled: 1-line block ×8, first 2 shown]
	v_cvt_i32_f32_e32 v67, v67
	v_cvt_i32_f32_e32 v57, v57
	;; [unrolled: 1-line block ×4, first 2 shown]
	v_exp_f32_e32 v44, v44
	v_exp_f32_e32 v45, v45
	;; [unrolled: 1-line block ×4, first 2 shown]
	v_ldexp_f32 v16, v16, v49
	v_ldexp_f32 v17, v17, v51
	;; [unrolled: 1-line block ×11, first 2 shown]
	v_cmp_nlt_f32_e64 s[18:19], s60, v14
	v_cmp_nlt_f32_e64 s[20:21], s60, v15
	;; [unrolled: 1-line block ×3, first 2 shown]
	v_ldexp_f32 v47, v47, v61
	v_cmp_nlt_f32_e64 s[24:25], s60, v13
	v_cndmask_b32_e64 v17, 0, v17, s[28:29]
	v_cmp_ngt_f32_e64 s[28:29], s61, v33
	v_cndmask_b32_e32 v18, 0, v18, vcc
	v_cmp_ngt_f32_e32 vcc, s61, v34
	v_cndmask_b32_e64 v16, 0, v16, s[26:27]
	v_cndmask_b32_e64 v19, 0, v19, s[0:1]
	v_cmp_ngt_f32_e64 s[0:1], s61, v35
	v_cndmask_b32_e64 v24, 0, v24, s[10:11]
	v_cmp_ngt_f32_e64 s[10:11], s61, v8
	;; [unrolled: 2-line block ×5, first 2 shown]
	v_cmp_ngt_f32_e64 s[26:27], s61, v32
	v_cndmask_b32_e64 v44, 0, v44, s[18:19]
	v_cmp_ngt_f32_e64 s[18:19], s61, v14
	v_cndmask_b32_e64 v45, 0, v45, s[20:21]
	;; [unrolled: 2-line block ×5, first 2 shown]
	v_cndmask_b32_e64 v17, v54, v17, s[28:29]
	v_cndmask_b32_e32 v18, v54, v18, vcc
	v_cndmask_b32_e64 v19, v54, v19, s[0:1]
	v_cndmask_b32_e64 v24, v54, v24, s[10:11]
	;; [unrolled: 1-line block ×9, first 2 shown]
	v_add_f32_e32 v16, 1.0, v16
	v_add_f32_e32 v17, 1.0, v17
	;; [unrolled: 1-line block ×12, first 2 shown]
	v_rcp_f32_e32 v16, v16
	v_rcp_f32_e32 v17, v17
	;; [unrolled: 1-line block ×13, first 2 shown]
	v_pk_mul_f32 v[16:17], v[32:33], v[16:17]
	v_pk_mul_f32 v[18:19], v[34:35], v[18:19]
	;; [unrolled: 1-line block ×8, first 2 shown]
	;;#ASMSTART
	v_pk_mul_f32 v[16:17], v[16:17], v[36:37]
	;;#ASMEND
	;;#ASMSTART
	v_pk_mul_f32 v[18:19], v[18:19], v[38:39]
	;;#ASMEND
	;; [unrolled: 3-line block ×7, first 2 shown]
	s_nop 0
	;;#ASMSTART
	v_pk_mul_f32 v[6:7], v[12:13], v[2:3]
	;;#ASMEND
	s_load_dword s0, s[34:35], 0xc
	v_lshlrev_b32_e32 v50, 1, v52
	v_perm_b32 v1, v19, v18, s62
	v_perm_b32 v3, v23, v22, s62
	;; [unrolled: 1-line block ×3, first 2 shown]
	s_waitcnt lgkmcnt(0)
	s_and_b32 s0, s0, 0xffff
	s_lshl_b32 s58, s0, 4
	v_lshl_add_u64 v[52:53], s[58:59], 0, v[52:53]
	v_cmp_le_i64_e32 vcc, s[30:31], v[52:53]
	v_perm_b32 v2, v21, v20, s62
	v_perm_b32 v5, v5, v4, s62
	;; [unrolled: 1-line block ×5, first 2 shown]
	s_or_b64 s[56:57], vcc, s[56:57]
	buffer_store_dwordx4 v[0:3], v50, s[36:39], 0 offen
	buffer_store_dwordx4 v[4:7], v50, s[36:39], 16 offen
	s_andn2_b64 exec, exec, s[56:57]
	s_cbranch_execnz .LBB136_8
.LBB136_9:
	s_endpgm
	.section	.rodata,"a",@progbits
	.p2align	6, 0x0
	.amdhsa_kernel _ZN5aiter23act_and_mul_bias_kernelIftsfTnPFfRKT2_EXadL_ZNS_11silu_kernelIfEEfRKT_EELi16EEEvPT0_PS8_PKT1_PS2_il
		.amdhsa_group_segment_fixed_size 0
		.amdhsa_private_segment_fixed_size 0
		.amdhsa_kernarg_size 304
		.amdhsa_user_sgpr_count 2
		.amdhsa_user_sgpr_dispatch_ptr 0
		.amdhsa_user_sgpr_queue_ptr 0
		.amdhsa_user_sgpr_kernarg_segment_ptr 1
		.amdhsa_user_sgpr_dispatch_id 0
		.amdhsa_user_sgpr_kernarg_preload_length 0
		.amdhsa_user_sgpr_kernarg_preload_offset 0
		.amdhsa_user_sgpr_private_segment_size 0
		.amdhsa_uses_dynamic_stack 0
		.amdhsa_enable_private_segment 0
		.amdhsa_system_sgpr_workgroup_id_x 1
		.amdhsa_system_sgpr_workgroup_id_y 0
		.amdhsa_system_sgpr_workgroup_id_z 0
		.amdhsa_system_sgpr_workgroup_info 0
		.amdhsa_system_vgpr_workitem_id 0
		.amdhsa_next_free_vgpr 68
		.amdhsa_next_free_sgpr 63
		.amdhsa_accum_offset 68
		.amdhsa_reserve_vcc 1
		.amdhsa_float_round_mode_32 0
		.amdhsa_float_round_mode_16_64 0
		.amdhsa_float_denorm_mode_32 3
		.amdhsa_float_denorm_mode_16_64 3
		.amdhsa_dx10_clamp 1
		.amdhsa_ieee_mode 1
		.amdhsa_fp16_overflow 0
		.amdhsa_tg_split 0
		.amdhsa_exception_fp_ieee_invalid_op 0
		.amdhsa_exception_fp_denorm_src 0
		.amdhsa_exception_fp_ieee_div_zero 0
		.amdhsa_exception_fp_ieee_overflow 0
		.amdhsa_exception_fp_ieee_underflow 0
		.amdhsa_exception_fp_ieee_inexact 0
		.amdhsa_exception_int_div_zero 0
	.end_amdhsa_kernel
	.section	.text._ZN5aiter23act_and_mul_bias_kernelIftsfTnPFfRKT2_EXadL_ZNS_11silu_kernelIfEEfRKT_EELi16EEEvPT0_PS8_PKT1_PS2_il,"axG",@progbits,_ZN5aiter23act_and_mul_bias_kernelIftsfTnPFfRKT2_EXadL_ZNS_11silu_kernelIfEEfRKT_EELi16EEEvPT0_PS8_PKT1_PS2_il,comdat
.Lfunc_end136:
	.size	_ZN5aiter23act_and_mul_bias_kernelIftsfTnPFfRKT2_EXadL_ZNS_11silu_kernelIfEEfRKT_EELi16EEEvPT0_PS8_PKT1_PS2_il, .Lfunc_end136-_ZN5aiter23act_and_mul_bias_kernelIftsfTnPFfRKT2_EXadL_ZNS_11silu_kernelIfEEfRKT_EELi16EEEvPT0_PS8_PKT1_PS2_il
                                        ; -- End function
	.section	.AMDGPU.csdata,"",@progbits
; Kernel info:
; codeLenInByte = 2580
; NumSgprs: 69
; NumVgprs: 68
; NumAgprs: 0
; TotalNumVgprs: 68
; ScratchSize: 0
; MemoryBound: 0
; FloatMode: 240
; IeeeMode: 1
; LDSByteSize: 0 bytes/workgroup (compile time only)
; SGPRBlocks: 8
; VGPRBlocks: 8
; NumSGPRsForWavesPerEU: 69
; NumVGPRsForWavesPerEU: 68
; AccumOffset: 68
; Occupancy: 7
; WaveLimiterHint : 0
; COMPUTE_PGM_RSRC2:SCRATCH_EN: 0
; COMPUTE_PGM_RSRC2:USER_SGPR: 2
; COMPUTE_PGM_RSRC2:TRAP_HANDLER: 0
; COMPUTE_PGM_RSRC2:TGID_X_EN: 1
; COMPUTE_PGM_RSRC2:TGID_Y_EN: 0
; COMPUTE_PGM_RSRC2:TGID_Z_EN: 0
; COMPUTE_PGM_RSRC2:TIDIG_COMP_CNT: 0
; COMPUTE_PGM_RSRC3_GFX90A:ACCUM_OFFSET: 16
; COMPUTE_PGM_RSRC3_GFX90A:TG_SPLIT: 0
	.section	.text._ZN5aiter23act_and_mul_bias_kernelIftsfTnPFfRKT2_EXadL_ZNS_11silu_kernelIfEEfRKT_EELi8EEEvPT0_PS8_PKT1_PS2_il,"axG",@progbits,_ZN5aiter23act_and_mul_bias_kernelIftsfTnPFfRKT2_EXadL_ZNS_11silu_kernelIfEEfRKT_EELi8EEEvPT0_PS8_PKT1_PS2_il,comdat
	.protected	_ZN5aiter23act_and_mul_bias_kernelIftsfTnPFfRKT2_EXadL_ZNS_11silu_kernelIfEEfRKT_EELi8EEEvPT0_PS8_PKT1_PS2_il ; -- Begin function _ZN5aiter23act_and_mul_bias_kernelIftsfTnPFfRKT2_EXadL_ZNS_11silu_kernelIfEEfRKT_EELi8EEEvPT0_PS8_PKT1_PS2_il
	.globl	_ZN5aiter23act_and_mul_bias_kernelIftsfTnPFfRKT2_EXadL_ZNS_11silu_kernelIfEEfRKT_EELi8EEEvPT0_PS8_PKT1_PS2_il
	.p2align	8
	.type	_ZN5aiter23act_and_mul_bias_kernelIftsfTnPFfRKT2_EXadL_ZNS_11silu_kernelIfEEfRKT_EELi8EEEvPT0_PS8_PKT1_PS2_il,@function
_ZN5aiter23act_and_mul_bias_kernelIftsfTnPFfRKT2_EXadL_ZNS_11silu_kernelIfEEfRKT_EELi8EEEvPT0_PS8_PKT1_PS2_il: ; @_ZN5aiter23act_and_mul_bias_kernelIftsfTnPFfRKT2_EXadL_ZNS_11silu_kernelIfEEfRKT_EELi8EEEvPT0_PS8_PKT1_PS2_il
; %bb.0:
	s_load_dwordx2 s[4:5], s[0:1], 0x10
	s_load_dword s14, s[0:1], 0x20
	s_load_dwordx2 s[8:9], s[0:1], 0x28
	s_mov_b32 s3, 0
	s_lshl_b64 s[6:7], s[2:3], 1
	s_waitcnt lgkmcnt(0)
	s_add_u32 s4, s4, s6
	s_addc_u32 s5, s5, s7
	v_mov_b32_e32 v1, 0
	global_load_ushort v1, v1, s[4:5]
	s_load_dwordx2 s[10:11], s[0:1], 0x0
	s_ashr_i32 s15, s14, 31
	s_mul_hi_u32 s3, s14, s2
	s_mul_i32 s5, s15, s2
	s_mul_i32 s4, s14, s2
	s_add_i32 s5, s3, s5
	v_mov_b64_e32 v[2:3], s[8:9]
	s_lshl_b64 s[8:9], s[4:5], 1
	s_mov_b64 s[6:7], -1
	v_lshlrev_b32_e32 v4, 3, v0
	s_waitcnt vmcnt(0)
	v_readfirstlane_b32 s3, v1
	s_sext_i32_i16 s4, s3
	s_ashr_i32 s5, s4, 31
	s_waitcnt lgkmcnt(0)
	s_add_u32 s16, s10, s8
	v_cmp_lt_i64_e32 vcc, s[4:5], v[2:3]
	s_addc_u32 s3, s11, s9
	s_add_i32 s5, s14, 1
	s_lshr_b32 s8, s5, 31
	s_add_i32 s5, s5, s8
	s_and_b32 s17, s3, 0xffff
	s_lshl_b32 s3, s5, 1
	s_and_b32 s18, s3, -4
	s_cmp_gt_i32 s4, -1
	s_cselect_b64 s[8:9], -1, 0
	s_and_b64 s[8:9], s[8:9], vcc
	s_and_b64 vcc, exec, s[8:9]
	s_cbranch_vccnz .LBB137_5
; %bb.1:
	v_cmp_gt_i32_e32 vcc, s14, v4
	s_and_saveexec_b64 s[6:7], vcc
	s_cbranch_execz .LBB137_4
; %bb.2:
	s_load_dword s3, s[0:1], 0x3c
	v_mov_b32_e32 v5, 0
	s_mov_b32 s9, 0
	v_lshlrev_b32_e32 v8, 4, v0
	s_mov_b64 s[10:11], 0
	s_waitcnt lgkmcnt(0)
	s_and_b32 s3, s3, 0xffff
	s_lshl_b32 s8, s3, 3
	s_lshl_b32 s3, s3, 4
	s_mov_b32 s19, 0x20000
	v_mov_b32_e32 v0, v5
	v_mov_b32_e32 v1, v5
	;; [unrolled: 1-line block ×4, first 2 shown]
	v_mov_b64_e32 v[6:7], v[4:5]
.LBB137_3:                              ; =>This Inner Loop Header: Depth=1
	v_lshl_add_u64 v[6:7], s[8:9], 0, v[6:7]
	v_cmp_le_i64_e32 vcc, s[14:15], v[6:7]
	buffer_store_dwordx4 v[0:3], v8, s[16:19], 0 offen
	s_or_b64 s[10:11], vcc, s[10:11]
	v_add_u32_e32 v8, s3, v8
	s_andn2_b64 exec, exec, s[10:11]
	s_cbranch_execnz .LBB137_3
.LBB137_4:
	s_or_b64 exec, exec, s[6:7]
	s_mov_b64 s[6:7], 0
.LBB137_5:
	s_andn2_b64 vcc, exec, s[6:7]
	s_cbranch_vccnz .LBB137_9
; %bb.6:
	v_cmp_gt_i32_e32 vcc, s14, v4
	s_and_saveexec_b64 s[6:7], vcc
	s_cbranch_execz .LBB137_9
; %bb.7:
	s_load_dwordx2 s[6:7], s[0:1], 0x8
	s_load_dwordx2 s[8:9], s[0:1], 0x18
	s_mul_hi_i32 s5, s14, s4
	s_mul_i32 s4, s14, s4
	s_lshl_b32 s22, s14, 2
	s_lshl_b64 s[4:5], s[4:5], 3
	s_waitcnt lgkmcnt(0)
	s_add_u32 s24, s8, s4
	s_addc_u32 s3, s9, s5
	s_lshl_b64 s[4:5], s[14:15], 2
	s_add_u32 s20, s24, s4
	s_addc_u32 s8, s3, s5
	s_and_b32 s25, s3, 0xffff
	s_and_b32 s21, s8, 0xffff
	s_mul_i32 s3, s2, s15
	s_mul_hi_u32 s8, s2, s14
	s_add_i32 s3, s8, s3
	s_mul_i32 s2, s2, s14
	s_lshl_b64 s[2:3], s[2:3], 3
	s_add_u32 s28, s6, s2
	s_addc_u32 s2, s7, s3
	s_add_u32 s36, s28, s4
	s_addc_u32 s3, s2, s5
	s_and_b32 s29, s2, 0xffff
	s_and_b32 s37, s3, 0xffff
	s_mov_b32 s19, 0x20000
	s_add_u32 s34, s0, 48
	s_mov_b32 s23, s19
	v_mov_b32_e32 v5, 0
	s_addc_u32 s35, s1, 0
	s_mov_b64 s[40:41], 0
	s_mov_b32 s30, s22
	s_mov_b32 s31, s19
	s_mov_b32 s43, 0
	s_mov_b32 s33, 0xbfb8aa3b
	s_mov_b32 s44, 0x42ce8ed0
	s_mov_b32 s45, 0xc2b17218
	v_mov_b32_e32 v10, 0x7f800000
	s_mov_b32 s46, 0x7060302
	s_mov_b32 s38, s22
	;; [unrolled: 1-line block ×5, first 2 shown]
.LBB137_8:                              ; =>This Inner Loop Header: Depth=1
	v_lshlrev_b32_e32 v0, 2, v4
	buffer_load_dwordx4 v[6:9], v0, s[20:23], 0 offen
	buffer_load_dwordx4 v[12:15], v0, s[36:39], 0 offen
	;; [unrolled: 1-line block ×8, first 2 shown]
	v_lshlrev_b32_e32 v11, 1, v4
	s_waitcnt vmcnt(6)
	v_pk_add_f32 v[0:1], v[14:15], v[8:9]
	v_pk_add_f32 v[2:3], v[12:13], v[6:7]
	s_waitcnt vmcnt(4)
	v_pk_add_f32 v[14:15], v[16:17], v[20:21]
	v_pk_add_f32 v[12:13], v[18:19], v[22:23]
	v_mul_f32_e32 v20, 0xbfb8aa3b, v14
	v_mul_f32_e32 v21, 0xbfb8aa3b, v15
	s_waitcnt vmcnt(0)
	v_pk_add_f32 v[16:17], v[34:35], v[38:39]
	v_pk_add_f32 v[18:19], v[32:33], v[36:37]
	;; [unrolled: 1-line block ×4, first 2 shown]
	v_mul_f32_e32 v22, 0xbfb8aa3b, v12
	v_mul_f32_e32 v23, 0xbfb8aa3b, v13
	;; [unrolled: 1-line block ×6, first 2 shown]
	v_fma_f32 v28, v14, s33, -v20
	v_rndne_f32_e32 v29, v20
	v_fma_f32 v30, v15, s33, -v21
	v_rndne_f32_e32 v31, v21
	;; [unrolled: 2-line block ×8, first 2 shown]
	v_fmac_f32_e32 v28, 0xb2a5705f, v14
	v_sub_f32_e32 v20, v20, v29
	v_fmac_f32_e32 v30, 0xb2a5705f, v15
	v_sub_f32_e32 v21, v21, v31
	;; [unrolled: 2-line block ×8, first 2 shown]
	v_add_f32_e32 v20, v20, v28
	v_add_f32_e32 v21, v21, v30
	v_cvt_i32_f32_e32 v29, v29
	v_cvt_i32_f32_e32 v31, v31
	v_add_f32_e32 v22, v22, v32
	v_add_f32_e32 v23, v23, v34
	;; [unrolled: 1-line block ×6, first 2 shown]
	v_exp_f32_e32 v20, v20
	v_exp_f32_e32 v21, v21
	v_cvt_i32_f32_e32 v33, v33
	v_cvt_i32_f32_e32 v35, v35
	;; [unrolled: 1-line block ×6, first 2 shown]
	v_exp_f32_e32 v22, v22
	v_exp_f32_e32 v23, v23
	;; [unrolled: 1-line block ×6, first 2 shown]
	v_ldexp_f32 v20, v20, v29
	v_ldexp_f32 v21, v21, v31
	v_cmp_nlt_f32_e32 vcc, s44, v15
	v_cmp_nlt_f32_e64 s[12:13], s44, v14
	v_ldexp_f32 v22, v22, v33
	v_cmp_nlt_f32_e64 s[0:1], s44, v12
	v_ldexp_f32 v23, v23, v35
	v_cmp_nlt_f32_e64 s[2:3], s44, v13
	v_ldexp_f32 v24, v24, v37
	v_cmp_nlt_f32_e64 s[4:5], s44, v18
	v_ldexp_f32 v25, v25, v39
	v_cmp_nlt_f32_e64 s[6:7], s44, v19
	v_ldexp_f32 v26, v26, v41
	v_cmp_nlt_f32_e64 s[8:9], s44, v16
	v_ldexp_f32 v27, v27, v43
	v_cmp_nlt_f32_e64 s[10:11], s44, v17
	v_cndmask_b32_e64 v20, 0, v20, s[12:13]
	v_cndmask_b32_e32 v21, 0, v21, vcc
	v_cmp_ngt_f32_e32 vcc, s45, v15
	v_cmp_ngt_f32_e64 s[12:13], s45, v14
	v_cndmask_b32_e64 v22, 0, v22, s[0:1]
	v_cmp_ngt_f32_e64 s[0:1], s45, v12
	v_cndmask_b32_e64 v23, 0, v23, s[2:3]
	;; [unrolled: 2-line block ×7, first 2 shown]
	v_cndmask_b32_e32 v21, v10, v21, vcc
	v_cndmask_b32_e64 v22, v10, v22, s[0:1]
	v_cndmask_b32_e64 v23, v10, v23, s[2:3]
	;; [unrolled: 1-line block ×6, first 2 shown]
	v_add_f32_e32 v20, 1.0, v20
	v_add_f32_e32 v21, 1.0, v21
	;; [unrolled: 1-line block ×8, first 2 shown]
	v_rcp_f32_e32 v20, v20
	v_rcp_f32_e32 v21, v21
	;; [unrolled: 1-line block ×8, first 2 shown]
	v_pk_mul_f32 v[14:15], v[14:15], v[20:21]
	v_pk_mul_f32 v[12:13], v[12:13], v[22:23]
	;; [unrolled: 1-line block ×4, first 2 shown]
	;;#ASMSTART
	v_pk_mul_f32 v[14:15], v[14:15], v[2:3]
	;;#ASMEND
	;;#ASMSTART
	v_pk_mul_f32 v[0:1], v[12:13], v[0:1]
	;;#ASMEND
	;; [unrolled: 3-line block ×3, first 2 shown]
	s_nop 0
	;;#ASMSTART
	v_pk_mul_f32 v[2:3], v[16:17], v[6:7]
	;;#ASMEND
	s_load_dword s0, s[34:35], 0xc
	v_perm_b32 v1, v1, v0, s46
	v_perm_b32 v3, v3, v2, s46
	;; [unrolled: 1-line block ×4, first 2 shown]
	s_waitcnt lgkmcnt(0)
	s_and_b32 s0, s0, 0xffff
	s_lshl_b32 s42, s0, 3
	v_lshl_add_u64 v[4:5], s[42:43], 0, v[4:5]
	v_cmp_le_i64_e32 vcc, s[14:15], v[4:5]
	s_or_b64 s[40:41], vcc, s[40:41]
	buffer_store_dwordx4 v[0:3], v11, s[16:19], 0 offen
	s_andn2_b64 exec, exec, s[40:41]
	s_cbranch_execnz .LBB137_8
.LBB137_9:
	s_endpgm
	.section	.rodata,"a",@progbits
	.p2align	6, 0x0
	.amdhsa_kernel _ZN5aiter23act_and_mul_bias_kernelIftsfTnPFfRKT2_EXadL_ZNS_11silu_kernelIfEEfRKT_EELi8EEEvPT0_PS8_PKT1_PS2_il
		.amdhsa_group_segment_fixed_size 0
		.amdhsa_private_segment_fixed_size 0
		.amdhsa_kernarg_size 304
		.amdhsa_user_sgpr_count 2
		.amdhsa_user_sgpr_dispatch_ptr 0
		.amdhsa_user_sgpr_queue_ptr 0
		.amdhsa_user_sgpr_kernarg_segment_ptr 1
		.amdhsa_user_sgpr_dispatch_id 0
		.amdhsa_user_sgpr_kernarg_preload_length 0
		.amdhsa_user_sgpr_kernarg_preload_offset 0
		.amdhsa_user_sgpr_private_segment_size 0
		.amdhsa_uses_dynamic_stack 0
		.amdhsa_enable_private_segment 0
		.amdhsa_system_sgpr_workgroup_id_x 1
		.amdhsa_system_sgpr_workgroup_id_y 0
		.amdhsa_system_sgpr_workgroup_id_z 0
		.amdhsa_system_sgpr_workgroup_info 0
		.amdhsa_system_vgpr_workitem_id 0
		.amdhsa_next_free_vgpr 44
		.amdhsa_next_free_sgpr 47
		.amdhsa_accum_offset 44
		.amdhsa_reserve_vcc 1
		.amdhsa_float_round_mode_32 0
		.amdhsa_float_round_mode_16_64 0
		.amdhsa_float_denorm_mode_32 3
		.amdhsa_float_denorm_mode_16_64 3
		.amdhsa_dx10_clamp 1
		.amdhsa_ieee_mode 1
		.amdhsa_fp16_overflow 0
		.amdhsa_tg_split 0
		.amdhsa_exception_fp_ieee_invalid_op 0
		.amdhsa_exception_fp_denorm_src 0
		.amdhsa_exception_fp_ieee_div_zero 0
		.amdhsa_exception_fp_ieee_overflow 0
		.amdhsa_exception_fp_ieee_underflow 0
		.amdhsa_exception_fp_ieee_inexact 0
		.amdhsa_exception_int_div_zero 0
	.end_amdhsa_kernel
	.section	.text._ZN5aiter23act_and_mul_bias_kernelIftsfTnPFfRKT2_EXadL_ZNS_11silu_kernelIfEEfRKT_EELi8EEEvPT0_PS8_PKT1_PS2_il,"axG",@progbits,_ZN5aiter23act_and_mul_bias_kernelIftsfTnPFfRKT2_EXadL_ZNS_11silu_kernelIfEEfRKT_EELi8EEEvPT0_PS8_PKT1_PS2_il,comdat
.Lfunc_end137:
	.size	_ZN5aiter23act_and_mul_bias_kernelIftsfTnPFfRKT2_EXadL_ZNS_11silu_kernelIfEEfRKT_EELi8EEEvPT0_PS8_PKT1_PS2_il, .Lfunc_end137-_ZN5aiter23act_and_mul_bias_kernelIftsfTnPFfRKT2_EXadL_ZNS_11silu_kernelIfEEfRKT_EELi8EEEvPT0_PS8_PKT1_PS2_il
                                        ; -- End function
	.section	.AMDGPU.csdata,"",@progbits
; Kernel info:
; codeLenInByte = 1576
; NumSgprs: 53
; NumVgprs: 44
; NumAgprs: 0
; TotalNumVgprs: 44
; ScratchSize: 0
; MemoryBound: 0
; FloatMode: 240
; IeeeMode: 1
; LDSByteSize: 0 bytes/workgroup (compile time only)
; SGPRBlocks: 6
; VGPRBlocks: 5
; NumSGPRsForWavesPerEU: 53
; NumVGPRsForWavesPerEU: 44
; AccumOffset: 44
; Occupancy: 8
; WaveLimiterHint : 0
; COMPUTE_PGM_RSRC2:SCRATCH_EN: 0
; COMPUTE_PGM_RSRC2:USER_SGPR: 2
; COMPUTE_PGM_RSRC2:TRAP_HANDLER: 0
; COMPUTE_PGM_RSRC2:TGID_X_EN: 1
; COMPUTE_PGM_RSRC2:TGID_Y_EN: 0
; COMPUTE_PGM_RSRC2:TGID_Z_EN: 0
; COMPUTE_PGM_RSRC2:TIDIG_COMP_CNT: 0
; COMPUTE_PGM_RSRC3_GFX90A:ACCUM_OFFSET: 10
; COMPUTE_PGM_RSRC3_GFX90A:TG_SPLIT: 0
	.section	.text._ZN5aiter23act_and_mul_bias_kernelIftsfTnPFfRKT2_EXadL_ZNS_11silu_kernelIfEEfRKT_EELi4EEEvPT0_PS8_PKT1_PS2_il,"axG",@progbits,_ZN5aiter23act_and_mul_bias_kernelIftsfTnPFfRKT2_EXadL_ZNS_11silu_kernelIfEEfRKT_EELi4EEEvPT0_PS8_PKT1_PS2_il,comdat
	.protected	_ZN5aiter23act_and_mul_bias_kernelIftsfTnPFfRKT2_EXadL_ZNS_11silu_kernelIfEEfRKT_EELi4EEEvPT0_PS8_PKT1_PS2_il ; -- Begin function _ZN5aiter23act_and_mul_bias_kernelIftsfTnPFfRKT2_EXadL_ZNS_11silu_kernelIfEEfRKT_EELi4EEEvPT0_PS8_PKT1_PS2_il
	.globl	_ZN5aiter23act_and_mul_bias_kernelIftsfTnPFfRKT2_EXadL_ZNS_11silu_kernelIfEEfRKT_EELi4EEEvPT0_PS8_PKT1_PS2_il
	.p2align	8
	.type	_ZN5aiter23act_and_mul_bias_kernelIftsfTnPFfRKT2_EXadL_ZNS_11silu_kernelIfEEfRKT_EELi4EEEvPT0_PS8_PKT1_PS2_il,@function
_ZN5aiter23act_and_mul_bias_kernelIftsfTnPFfRKT2_EXadL_ZNS_11silu_kernelIfEEfRKT_EELi4EEEvPT0_PS8_PKT1_PS2_il: ; @_ZN5aiter23act_and_mul_bias_kernelIftsfTnPFfRKT2_EXadL_ZNS_11silu_kernelIfEEfRKT_EELi4EEEvPT0_PS8_PKT1_PS2_il
; %bb.0:
	s_load_dwordx2 s[4:5], s[0:1], 0x10
	s_load_dword s6, s[0:1], 0x20
	s_load_dwordx2 s[8:9], s[0:1], 0x28
	s_mov_b32 s3, 0
	s_lshl_b64 s[10:11], s[2:3], 1
	s_waitcnt lgkmcnt(0)
	s_add_u32 s4, s4, s10
	s_addc_u32 s5, s5, s11
	v_mov_b32_e32 v1, 0
	global_load_ushort v1, v1, s[4:5]
	s_load_dwordx2 s[10:11], s[0:1], 0x0
	s_ashr_i32 s7, s6, 31
	s_mul_hi_u32 s3, s6, s2
	s_mul_i32 s5, s7, s2
	s_mul_i32 s4, s6, s2
	s_add_i32 s5, s3, s5
	v_mov_b64_e32 v[2:3], s[8:9]
	s_lshl_b64 s[8:9], s[4:5], 1
	s_mov_b64 s[12:13], -1
	s_waitcnt vmcnt(0)
	v_readfirstlane_b32 s3, v1
	s_sext_i32_i16 s4, s3
	s_ashr_i32 s5, s4, 31
	s_waitcnt lgkmcnt(0)
	s_add_u32 s8, s10, s8
	v_cmp_lt_i64_e32 vcc, s[4:5], v[2:3]
	s_addc_u32 s3, s11, s9
	s_add_i32 s5, s6, 1
	s_lshr_b32 s10, s5, 31
	s_add_i32 s5, s5, s10
	s_and_b32 s9, s3, 0xffff
	s_lshl_b32 s3, s5, 1
	s_and_b32 s10, s3, -4
	s_cmp_gt_i32 s4, -1
	s_cselect_b64 s[14:15], -1, 0
	s_and_b64 s[14:15], s[14:15], vcc
	s_and_b64 vcc, exec, s[14:15]
	v_lshlrev_b32_e32 v2, 2, v0
	s_cbranch_vccnz .LBB138_5
; %bb.1:
	v_cmp_gt_i32_e32 vcc, s6, v2
	s_and_saveexec_b64 s[12:13], vcc
	s_cbranch_execz .LBB138_4
; %bb.2:
	s_load_dword s3, s[0:1], 0x3c
	v_mov_b32_e32 v3, 0
	s_mov_b32 s15, 0
	v_lshlrev_b32_e32 v6, 3, v0
	s_mov_b64 s[16:17], 0
	s_waitcnt lgkmcnt(0)
	s_and_b32 s3, s3, 0xffff
	s_lshl_b32 s14, s3, 2
	s_lshl_b32 s3, s3, 3
	s_mov_b32 s11, 0x20000
	v_mov_b32_e32 v0, v3
	v_mov_b32_e32 v1, v3
	v_mov_b64_e32 v[4:5], v[2:3]
.LBB138_3:                              ; =>This Inner Loop Header: Depth=1
	v_lshl_add_u64 v[4:5], s[14:15], 0, v[4:5]
	v_cmp_le_i64_e32 vcc, s[6:7], v[4:5]
	buffer_store_dwordx2 v[0:1], v6, s[8:11], 0 offen
	s_or_b64 s[16:17], vcc, s[16:17]
	v_add_u32_e32 v6, s3, v6
	s_andn2_b64 exec, exec, s[16:17]
	s_cbranch_execnz .LBB138_3
.LBB138_4:
	s_or_b64 exec, exec, s[12:13]
	s_mov_b64 s[12:13], 0
.LBB138_5:
	s_andn2_b64 vcc, exec, s[12:13]
	s_cbranch_vccnz .LBB138_9
; %bb.6:
	v_cmp_gt_i32_e32 vcc, s6, v2
	s_and_saveexec_b64 s[12:13], vcc
	s_cbranch_execz .LBB138_9
; %bb.7:
	s_load_dwordx2 s[18:19], s[0:1], 0x8
	s_load_dwordx2 s[12:13], s[0:1], 0x18
	s_mul_hi_i32 s5, s6, s4
	s_mul_i32 s4, s6, s4
	s_lshl_b32 s14, s6, 2
	s_lshl_b64 s[4:5], s[4:5], 3
	s_waitcnt lgkmcnt(0)
	s_add_u32 s16, s12, s4
	s_addc_u32 s3, s13, s5
	s_lshl_b64 s[4:5], s[6:7], 2
	s_add_u32 s12, s16, s4
	s_addc_u32 s13, s3, s5
	s_and_b32 s17, s3, 0xffff
	s_mul_i32 s3, s2, s7
	s_mul_hi_u32 s20, s2, s6
	s_add_i32 s3, s20, s3
	s_mul_i32 s2, s2, s6
	s_and_b32 s13, s13, 0xffff
	s_lshl_b64 s[2:3], s[2:3], 3
	s_add_u32 s20, s18, s2
	s_addc_u32 s2, s19, s3
	s_add_u32 s24, s20, s4
	s_addc_u32 s3, s2, s5
	s_and_b32 s21, s2, 0xffff
	s_and_b32 s25, s3, 0xffff
	s_mov_b32 s11, 0x20000
	s_add_u32 s28, s0, 48
	s_mov_b32 s15, s11
	v_mov_b32_e32 v3, 0
	s_addc_u32 s29, s1, 0
	s_mov_b64 s[30:31], 0
	s_mov_b32 s22, s14
	s_mov_b32 s23, s11
	;; [unrolled: 1-line block ×6, first 2 shown]
	v_mov_b32_e32 v0, 0x7f800000
	s_mov_b32 s38, 0x7060302
	s_mov_b32 s26, s14
	;; [unrolled: 1-line block ×5, first 2 shown]
.LBB138_8:                              ; =>This Inner Loop Header: Depth=1
	v_lshlrev_b32_e32 v1, 2, v2
	buffer_load_dwordx4 v[4:7], v1, s[20:23], 0 offen
	buffer_load_dwordx4 v[8:11], v1, s[24:27], 0 offen
	;; [unrolled: 1-line block ×4, first 2 shown]
	s_waitcnt vmcnt(1)
	v_pk_add_f32 v[6:7], v[6:7], v[14:15]
	v_pk_add_f32 v[4:5], v[4:5], v[12:13]
	v_mul_f32_e32 v13, 0xbfb8aa3b, v6
	v_mul_f32_e32 v1, 0xbfb8aa3b, v4
	;; [unrolled: 1-line block ×4, first 2 shown]
	s_waitcnt vmcnt(0)
	v_pk_add_f32 v[10:11], v[10:11], v[18:19]
	v_pk_add_f32 v[8:9], v[8:9], v[16:17]
	v_fma_f32 v15, v4, s33, -v1
	v_rndne_f32_e32 v16, v1
	v_fma_f32 v17, v5, s33, -v12
	v_rndne_f32_e32 v18, v12
	;; [unrolled: 2-line block ×4, first 2 shown]
	v_fmac_f32_e32 v15, 0xb2a5705f, v4
	v_sub_f32_e32 v1, v1, v16
	v_fmac_f32_e32 v17, 0xb2a5705f, v5
	v_sub_f32_e32 v12, v12, v18
	;; [unrolled: 2-line block ×4, first 2 shown]
	v_add_f32_e32 v1, v1, v15
	v_add_f32_e32 v12, v12, v17
	;; [unrolled: 1-line block ×4, first 2 shown]
	v_cvt_i32_f32_e32 v16, v16
	v_cvt_i32_f32_e32 v18, v18
	;; [unrolled: 1-line block ×4, first 2 shown]
	v_exp_f32_e32 v1, v1
	v_exp_f32_e32 v12, v12
	;; [unrolled: 1-line block ×4, first 2 shown]
	v_ldexp_f32 v1, v1, v16
	v_ldexp_f32 v12, v12, v18
	v_cmp_nlt_f32_e32 vcc, s36, v5
	v_ldexp_f32 v13, v13, v20
	v_cmp_nlt_f32_e64 s[0:1], s36, v6
	v_ldexp_f32 v14, v14, v22
	v_cmp_nlt_f32_e64 s[2:3], s36, v7
	v_cmp_nlt_f32_e64 s[4:5], s36, v4
	v_cndmask_b32_e32 v12, 0, v12, vcc
	v_cmp_ngt_f32_e32 vcc, s37, v5
	v_cndmask_b32_e64 v1, 0, v1, s[4:5]
	v_cndmask_b32_e64 v13, 0, v13, s[0:1]
	v_cmp_ngt_f32_e64 s[0:1], s37, v6
	v_cndmask_b32_e64 v14, 0, v14, s[2:3]
	v_cmp_ngt_f32_e64 s[2:3], s37, v7
	v_cmp_ngt_f32_e64 s[4:5], s37, v4
	v_cndmask_b32_e32 v12, v0, v12, vcc
	v_cndmask_b32_e64 v13, v0, v13, s[0:1]
	v_cndmask_b32_e64 v1, v0, v1, s[4:5]
	;; [unrolled: 1-line block ×3, first 2 shown]
	v_add_f32_e32 v1, 1.0, v1
	v_add_f32_e32 v15, 1.0, v12
	;; [unrolled: 1-line block ×4, first 2 shown]
	v_rcp_f32_e32 v12, v1
	v_rcp_f32_e32 v13, v15
	;; [unrolled: 1-line block ×4, first 2 shown]
	v_lshlrev_b32_e32 v1, 1, v2
	v_pk_mul_f32 v[4:5], v[4:5], v[12:13]
	v_pk_mul_f32 v[6:7], v[6:7], v[14:15]
	;;#ASMSTART
	v_pk_mul_f32 v[4:5], v[4:5], v[8:9]
	;;#ASMEND
	s_nop 0
	;;#ASMSTART
	v_pk_mul_f32 v[6:7], v[6:7], v[10:11]
	;;#ASMEND
	s_load_dword s0, s[28:29], 0xc
	v_perm_b32 v7, v7, v6, s38
	v_perm_b32 v6, v5, v4, s38
	buffer_store_dwordx2 v[6:7], v1, s[8:11], 0 offen
	s_waitcnt lgkmcnt(0)
	s_and_b32 s0, s0, 0xffff
	s_lshl_b32 s34, s0, 2
	v_lshl_add_u64 v[2:3], s[34:35], 0, v[2:3]
	v_cmp_le_i64_e32 vcc, s[6:7], v[2:3]
	s_or_b64 s[30:31], vcc, s[30:31]
	s_andn2_b64 exec, exec, s[30:31]
	s_cbranch_execnz .LBB138_8
.LBB138_9:
	s_endpgm
	.section	.rodata,"a",@progbits
	.p2align	6, 0x0
	.amdhsa_kernel _ZN5aiter23act_and_mul_bias_kernelIftsfTnPFfRKT2_EXadL_ZNS_11silu_kernelIfEEfRKT_EELi4EEEvPT0_PS8_PKT1_PS2_il
		.amdhsa_group_segment_fixed_size 0
		.amdhsa_private_segment_fixed_size 0
		.amdhsa_kernarg_size 304
		.amdhsa_user_sgpr_count 2
		.amdhsa_user_sgpr_dispatch_ptr 0
		.amdhsa_user_sgpr_queue_ptr 0
		.amdhsa_user_sgpr_kernarg_segment_ptr 1
		.amdhsa_user_sgpr_dispatch_id 0
		.amdhsa_user_sgpr_kernarg_preload_length 0
		.amdhsa_user_sgpr_kernarg_preload_offset 0
		.amdhsa_user_sgpr_private_segment_size 0
		.amdhsa_uses_dynamic_stack 0
		.amdhsa_enable_private_segment 0
		.amdhsa_system_sgpr_workgroup_id_x 1
		.amdhsa_system_sgpr_workgroup_id_y 0
		.amdhsa_system_sgpr_workgroup_id_z 0
		.amdhsa_system_sgpr_workgroup_info 0
		.amdhsa_system_vgpr_workitem_id 0
		.amdhsa_next_free_vgpr 23
		.amdhsa_next_free_sgpr 39
		.amdhsa_accum_offset 24
		.amdhsa_reserve_vcc 1
		.amdhsa_float_round_mode_32 0
		.amdhsa_float_round_mode_16_64 0
		.amdhsa_float_denorm_mode_32 3
		.amdhsa_float_denorm_mode_16_64 3
		.amdhsa_dx10_clamp 1
		.amdhsa_ieee_mode 1
		.amdhsa_fp16_overflow 0
		.amdhsa_tg_split 0
		.amdhsa_exception_fp_ieee_invalid_op 0
		.amdhsa_exception_fp_denorm_src 0
		.amdhsa_exception_fp_ieee_div_zero 0
		.amdhsa_exception_fp_ieee_overflow 0
		.amdhsa_exception_fp_ieee_underflow 0
		.amdhsa_exception_fp_ieee_inexact 0
		.amdhsa_exception_int_div_zero 0
	.end_amdhsa_kernel
	.section	.text._ZN5aiter23act_and_mul_bias_kernelIftsfTnPFfRKT2_EXadL_ZNS_11silu_kernelIfEEfRKT_EELi4EEEvPT0_PS8_PKT1_PS2_il,"axG",@progbits,_ZN5aiter23act_and_mul_bias_kernelIftsfTnPFfRKT2_EXadL_ZNS_11silu_kernelIfEEfRKT_EELi4EEEvPT0_PS8_PKT1_PS2_il,comdat
.Lfunc_end138:
	.size	_ZN5aiter23act_and_mul_bias_kernelIftsfTnPFfRKT2_EXadL_ZNS_11silu_kernelIfEEfRKT_EELi4EEEvPT0_PS8_PKT1_PS2_il, .Lfunc_end138-_ZN5aiter23act_and_mul_bias_kernelIftsfTnPFfRKT2_EXadL_ZNS_11silu_kernelIfEEfRKT_EELi4EEEvPT0_PS8_PKT1_PS2_il
                                        ; -- End function
	.section	.AMDGPU.csdata,"",@progbits
; Kernel info:
; codeLenInByte = 1084
; NumSgprs: 45
; NumVgprs: 23
; NumAgprs: 0
; TotalNumVgprs: 23
; ScratchSize: 0
; MemoryBound: 0
; FloatMode: 240
; IeeeMode: 1
; LDSByteSize: 0 bytes/workgroup (compile time only)
; SGPRBlocks: 5
; VGPRBlocks: 2
; NumSGPRsForWavesPerEU: 45
; NumVGPRsForWavesPerEU: 23
; AccumOffset: 24
; Occupancy: 8
; WaveLimiterHint : 0
; COMPUTE_PGM_RSRC2:SCRATCH_EN: 0
; COMPUTE_PGM_RSRC2:USER_SGPR: 2
; COMPUTE_PGM_RSRC2:TRAP_HANDLER: 0
; COMPUTE_PGM_RSRC2:TGID_X_EN: 1
; COMPUTE_PGM_RSRC2:TGID_Y_EN: 0
; COMPUTE_PGM_RSRC2:TGID_Z_EN: 0
; COMPUTE_PGM_RSRC2:TIDIG_COMP_CNT: 0
; COMPUTE_PGM_RSRC3_GFX90A:ACCUM_OFFSET: 5
; COMPUTE_PGM_RSRC3_GFX90A:TG_SPLIT: 0
	.section	.text._ZN5aiter23act_and_mul_bias_kernelIftsfTnPFfRKT2_EXadL_ZNS_11silu_kernelIfEEfRKT_EELi2EEEvPT0_PS8_PKT1_PS2_il,"axG",@progbits,_ZN5aiter23act_and_mul_bias_kernelIftsfTnPFfRKT2_EXadL_ZNS_11silu_kernelIfEEfRKT_EELi2EEEvPT0_PS8_PKT1_PS2_il,comdat
	.protected	_ZN5aiter23act_and_mul_bias_kernelIftsfTnPFfRKT2_EXadL_ZNS_11silu_kernelIfEEfRKT_EELi2EEEvPT0_PS8_PKT1_PS2_il ; -- Begin function _ZN5aiter23act_and_mul_bias_kernelIftsfTnPFfRKT2_EXadL_ZNS_11silu_kernelIfEEfRKT_EELi2EEEvPT0_PS8_PKT1_PS2_il
	.globl	_ZN5aiter23act_and_mul_bias_kernelIftsfTnPFfRKT2_EXadL_ZNS_11silu_kernelIfEEfRKT_EELi2EEEvPT0_PS8_PKT1_PS2_il
	.p2align	8
	.type	_ZN5aiter23act_and_mul_bias_kernelIftsfTnPFfRKT2_EXadL_ZNS_11silu_kernelIfEEfRKT_EELi2EEEvPT0_PS8_PKT1_PS2_il,@function
_ZN5aiter23act_and_mul_bias_kernelIftsfTnPFfRKT2_EXadL_ZNS_11silu_kernelIfEEfRKT_EELi2EEEvPT0_PS8_PKT1_PS2_il: ; @_ZN5aiter23act_and_mul_bias_kernelIftsfTnPFfRKT2_EXadL_ZNS_11silu_kernelIfEEfRKT_EELi2EEEvPT0_PS8_PKT1_PS2_il
; %bb.0:
	s_load_dwordx2 s[4:5], s[0:1], 0x10
	s_load_dword s24, s[0:1], 0x20
	s_load_dwordx2 s[6:7], s[0:1], 0x28
	s_mov_b32 s3, 0
	s_lshl_b64 s[8:9], s[2:3], 1
	s_waitcnt lgkmcnt(0)
	s_add_u32 s4, s4, s8
	s_addc_u32 s5, s5, s9
	v_mov_b32_e32 v1, 0
	global_load_ushort v1, v1, s[4:5]
	s_load_dwordx2 s[4:5], s[0:1], 0x0
	s_ashr_i32 s25, s24, 31
	s_mul_hi_u32 s3, s24, s2
	v_mov_b64_e32 v[2:3], s[6:7]
	s_mul_i32 s6, s25, s2
	s_mul_i32 s8, s24, s2
	s_add_i32 s9, s3, s6
	s_lshl_b64 s[6:7], s[8:9], 1
	s_mov_b64 s[10:11], -1
	s_waitcnt vmcnt(0)
	v_readfirstlane_b32 s3, v1
	s_sext_i32_i16 s8, s3
	s_ashr_i32 s9, s8, 31
	s_waitcnt lgkmcnt(0)
	s_add_u32 s4, s4, s6
	s_addc_u32 s3, s5, s7
	s_add_i32 s6, s24, 1
	s_lshr_b32 s7, s6, 31
	s_add_i32 s6, s6, s7
	s_and_b32 s5, s3, 0xffff
	s_lshl_b32 s3, s6, 1
	s_and_b32 s6, s3, -4
	s_cmp_gt_i32 s8, -1
	v_cmp_lt_i64_e32 vcc, s[8:9], v[2:3]
	s_cselect_b64 s[12:13], -1, 0
	s_and_b64 s[12:13], s[12:13], vcc
	s_and_b64 vcc, exec, s[12:13]
	v_lshlrev_b32_e32 v2, 1, v0
	s_cbranch_vccnz .LBB139_5
; %bb.1:
	v_cmp_gt_i32_e32 vcc, s24, v2
	s_and_saveexec_b64 s[10:11], vcc
	s_cbranch_execz .LBB139_4
; %bb.2:
	s_load_dword s3, s[0:1], 0x3c
	v_mov_b32_e32 v3, 0
	s_mov_b32 s13, 0
	v_lshlrev_b32_e32 v4, 2, v0
	s_mov_b64 s[14:15], 0
	s_waitcnt lgkmcnt(0)
	s_and_b32 s3, s3, 0xffff
	s_lshl_b32 s12, s3, 1
	s_lshl_b32 s3, s3, 2
	s_mov_b32 s7, 0x20000
	v_mov_b64_e32 v[0:1], v[2:3]
.LBB139_3:                              ; =>This Inner Loop Header: Depth=1
	v_lshl_add_u64 v[0:1], s[12:13], 0, v[0:1]
	v_cmp_le_i64_e32 vcc, s[24:25], v[0:1]
	buffer_store_dword v3, v4, s[4:7], 0 offen
	s_or_b64 s[14:15], vcc, s[14:15]
	v_add_u32_e32 v4, s3, v4
	s_andn2_b64 exec, exec, s[14:15]
	s_cbranch_execnz .LBB139_3
.LBB139_4:
	s_or_b64 exec, exec, s[10:11]
	s_mov_b64 s[10:11], 0
.LBB139_5:
	s_andn2_b64 vcc, exec, s[10:11]
	s_cbranch_vccnz .LBB139_9
; %bb.6:
	v_cmp_gt_i32_e32 vcc, s24, v2
	s_and_saveexec_b64 s[10:11], vcc
	s_cbranch_execz .LBB139_9
; %bb.7:
	s_load_dwordx2 s[14:15], s[0:1], 0x8
	s_load_dwordx2 s[12:13], s[0:1], 0x18
	s_mul_hi_i32 s9, s24, s8
	s_mul_i32 s8, s24, s8
	s_lshl_b32 s10, s24, 2
	s_lshl_b64 s[8:9], s[8:9], 3
	s_waitcnt lgkmcnt(0)
	s_add_u32 s12, s12, s8
	s_addc_u32 s3, s13, s9
	s_lshl_b64 s[18:19], s[24:25], 2
	s_add_u32 s8, s12, s18
	s_addc_u32 s9, s3, s19
	s_and_b32 s13, s3, 0xffff
	s_mul_i32 s3, s2, s25
	s_mul_hi_u32 s16, s2, s24
	s_add_i32 s3, s16, s3
	s_mul_i32 s2, s2, s24
	s_and_b32 s9, s9, 0xffff
	s_lshl_b64 s[2:3], s[2:3], 3
	s_add_u32 s16, s14, s2
	s_addc_u32 s2, s15, s3
	s_add_u32 s20, s16, s18
	s_addc_u32 s3, s2, s19
	s_and_b32 s17, s2, 0xffff
	s_and_b32 s21, s3, 0xffff
	s_mov_b32 s7, 0x20000
	s_add_u32 s2, s0, 48
	s_mov_b32 s11, s7
	v_mov_b32_e32 v3, 0
	s_addc_u32 s3, s1, 0
	s_mov_b64 s[26:27], 0
	s_mov_b32 s18, s10
	s_mov_b32 s19, s7
	;; [unrolled: 1-line block ×6, first 2 shown]
	v_mov_b32_e32 v0, 0x7f800000
	s_mov_b32 s34, 0x7060302
	s_mov_b32 s22, s10
	;; [unrolled: 1-line block ×5, first 2 shown]
.LBB139_8:                              ; =>This Inner Loop Header: Depth=1
	v_lshlrev_b32_e32 v1, 2, v2
	buffer_load_dwordx2 v[4:5], v1, s[12:15], 0 offen
	buffer_load_dwordx2 v[6:7], v1, s[16:19], 0 offen
	;; [unrolled: 1-line block ×4, first 2 shown]
	s_waitcnt vmcnt(2)
	v_pk_add_f32 v[4:5], v[6:7], v[4:5]
	s_nop 0
	v_mul_f32_e32 v1, 0xbfb8aa3b, v5
	v_mul_f32_e32 v6, 0xbfb8aa3b, v4
	v_fma_f32 v7, v5, s30, -v1
	v_rndne_f32_e32 v12, v1
	v_fma_f32 v13, v4, s30, -v6
	v_rndne_f32_e32 v14, v6
	v_fmac_f32_e32 v7, 0xb2a5705f, v5
	v_sub_f32_e32 v1, v1, v12
	v_fmac_f32_e32 v13, 0xb2a5705f, v4
	v_sub_f32_e32 v6, v6, v14
	v_add_f32_e32 v1, v1, v7
	v_add_f32_e32 v6, v6, v13
	v_cvt_i32_f32_e32 v12, v12
	v_cvt_i32_f32_e32 v14, v14
	v_exp_f32_e32 v1, v1
	v_exp_f32_e32 v6, v6
	v_cmp_nlt_f32_e32 vcc, s31, v4
	v_cmp_nlt_f32_e64 s[0:1], s31, v5
	v_ldexp_f32 v1, v1, v12
	v_ldexp_f32 v6, v6, v14
	v_cndmask_b32_e64 v1, 0, v1, s[0:1]
	v_cndmask_b32_e32 v6, 0, v6, vcc
	v_cmp_ngt_f32_e32 vcc, s33, v4
	v_cmp_ngt_f32_e64 s[0:1], s33, v5
	s_waitcnt vmcnt(0)
	v_pk_add_f32 v[8:9], v[8:9], v[10:11]
	v_cndmask_b32_e32 v6, v0, v6, vcc
	v_cndmask_b32_e64 v1, v0, v1, s[0:1]
	v_add_f32_e32 v1, 1.0, v1
	v_add_f32_e32 v6, 1.0, v6
	v_rcp_f32_e32 v7, v1
	v_rcp_f32_e32 v6, v6
	v_lshlrev_b32_e32 v1, 1, v2
	v_pk_mul_f32 v[4:5], v[4:5], v[6:7]
	s_nop 0
	;;#ASMSTART
	v_pk_mul_f32 v[4:5], v[4:5], v[8:9]
	;;#ASMEND
	s_load_dword s0, s[2:3], 0xc
	v_perm_b32 v4, v5, v4, s34
	buffer_store_dword v4, v1, s[4:7], 0 offen
	s_waitcnt lgkmcnt(0)
	s_and_b32 s0, s0, 0xffff
	s_lshl_b32 s28, s0, 1
	v_lshl_add_u64 v[2:3], s[28:29], 0, v[2:3]
	v_cmp_le_i64_e32 vcc, s[24:25], v[2:3]
	s_or_b64 s[26:27], vcc, s[26:27]
	s_andn2_b64 exec, exec, s[26:27]
	s_cbranch_execnz .LBB139_8
.LBB139_9:
	s_endpgm
	.section	.rodata,"a",@progbits
	.p2align	6, 0x0
	.amdhsa_kernel _ZN5aiter23act_and_mul_bias_kernelIftsfTnPFfRKT2_EXadL_ZNS_11silu_kernelIfEEfRKT_EELi2EEEvPT0_PS8_PKT1_PS2_il
		.amdhsa_group_segment_fixed_size 0
		.amdhsa_private_segment_fixed_size 0
		.amdhsa_kernarg_size 304
		.amdhsa_user_sgpr_count 2
		.amdhsa_user_sgpr_dispatch_ptr 0
		.amdhsa_user_sgpr_queue_ptr 0
		.amdhsa_user_sgpr_kernarg_segment_ptr 1
		.amdhsa_user_sgpr_dispatch_id 0
		.amdhsa_user_sgpr_kernarg_preload_length 0
		.amdhsa_user_sgpr_kernarg_preload_offset 0
		.amdhsa_user_sgpr_private_segment_size 0
		.amdhsa_uses_dynamic_stack 0
		.amdhsa_enable_private_segment 0
		.amdhsa_system_sgpr_workgroup_id_x 1
		.amdhsa_system_sgpr_workgroup_id_y 0
		.amdhsa_system_sgpr_workgroup_id_z 0
		.amdhsa_system_sgpr_workgroup_info 0
		.amdhsa_system_vgpr_workitem_id 0
		.amdhsa_next_free_vgpr 15
		.amdhsa_next_free_sgpr 35
		.amdhsa_accum_offset 16
		.amdhsa_reserve_vcc 1
		.amdhsa_float_round_mode_32 0
		.amdhsa_float_round_mode_16_64 0
		.amdhsa_float_denorm_mode_32 3
		.amdhsa_float_denorm_mode_16_64 3
		.amdhsa_dx10_clamp 1
		.amdhsa_ieee_mode 1
		.amdhsa_fp16_overflow 0
		.amdhsa_tg_split 0
		.amdhsa_exception_fp_ieee_invalid_op 0
		.amdhsa_exception_fp_denorm_src 0
		.amdhsa_exception_fp_ieee_div_zero 0
		.amdhsa_exception_fp_ieee_overflow 0
		.amdhsa_exception_fp_ieee_underflow 0
		.amdhsa_exception_fp_ieee_inexact 0
		.amdhsa_exception_int_div_zero 0
	.end_amdhsa_kernel
	.section	.text._ZN5aiter23act_and_mul_bias_kernelIftsfTnPFfRKT2_EXadL_ZNS_11silu_kernelIfEEfRKT_EELi2EEEvPT0_PS8_PKT1_PS2_il,"axG",@progbits,_ZN5aiter23act_and_mul_bias_kernelIftsfTnPFfRKT2_EXadL_ZNS_11silu_kernelIfEEfRKT_EELi2EEEvPT0_PS8_PKT1_PS2_il,comdat
.Lfunc_end139:
	.size	_ZN5aiter23act_and_mul_bias_kernelIftsfTnPFfRKT2_EXadL_ZNS_11silu_kernelIfEEfRKT_EELi2EEEvPT0_PS8_PKT1_PS2_il, .Lfunc_end139-_ZN5aiter23act_and_mul_bias_kernelIftsfTnPFfRKT2_EXadL_ZNS_11silu_kernelIfEEfRKT_EELi2EEEvPT0_PS8_PKT1_PS2_il
                                        ; -- End function
	.section	.AMDGPU.csdata,"",@progbits
; Kernel info:
; codeLenInByte = 856
; NumSgprs: 41
; NumVgprs: 15
; NumAgprs: 0
; TotalNumVgprs: 15
; ScratchSize: 0
; MemoryBound: 0
; FloatMode: 240
; IeeeMode: 1
; LDSByteSize: 0 bytes/workgroup (compile time only)
; SGPRBlocks: 5
; VGPRBlocks: 1
; NumSGPRsForWavesPerEU: 41
; NumVGPRsForWavesPerEU: 15
; AccumOffset: 16
; Occupancy: 8
; WaveLimiterHint : 0
; COMPUTE_PGM_RSRC2:SCRATCH_EN: 0
; COMPUTE_PGM_RSRC2:USER_SGPR: 2
; COMPUTE_PGM_RSRC2:TRAP_HANDLER: 0
; COMPUTE_PGM_RSRC2:TGID_X_EN: 1
; COMPUTE_PGM_RSRC2:TGID_Y_EN: 0
; COMPUTE_PGM_RSRC2:TGID_Z_EN: 0
; COMPUTE_PGM_RSRC2:TIDIG_COMP_CNT: 0
; COMPUTE_PGM_RSRC3_GFX90A:ACCUM_OFFSET: 3
; COMPUTE_PGM_RSRC3_GFX90A:TG_SPLIT: 0
	.section	.text._ZN5aiter23act_and_mul_bias_kernelIftsfTnPFfRKT2_EXadL_ZNS_11silu_kernelIfEEfRKT_EELi1EEEvPT0_PS8_PKT1_PS2_il,"axG",@progbits,_ZN5aiter23act_and_mul_bias_kernelIftsfTnPFfRKT2_EXadL_ZNS_11silu_kernelIfEEfRKT_EELi1EEEvPT0_PS8_PKT1_PS2_il,comdat
	.protected	_ZN5aiter23act_and_mul_bias_kernelIftsfTnPFfRKT2_EXadL_ZNS_11silu_kernelIfEEfRKT_EELi1EEEvPT0_PS8_PKT1_PS2_il ; -- Begin function _ZN5aiter23act_and_mul_bias_kernelIftsfTnPFfRKT2_EXadL_ZNS_11silu_kernelIfEEfRKT_EELi1EEEvPT0_PS8_PKT1_PS2_il
	.globl	_ZN5aiter23act_and_mul_bias_kernelIftsfTnPFfRKT2_EXadL_ZNS_11silu_kernelIfEEfRKT_EELi1EEEvPT0_PS8_PKT1_PS2_il
	.p2align	8
	.type	_ZN5aiter23act_and_mul_bias_kernelIftsfTnPFfRKT2_EXadL_ZNS_11silu_kernelIfEEfRKT_EELi1EEEvPT0_PS8_PKT1_PS2_il,@function
_ZN5aiter23act_and_mul_bias_kernelIftsfTnPFfRKT2_EXadL_ZNS_11silu_kernelIfEEfRKT_EELi1EEEvPT0_PS8_PKT1_PS2_il: ; @_ZN5aiter23act_and_mul_bias_kernelIftsfTnPFfRKT2_EXadL_ZNS_11silu_kernelIfEEfRKT_EELi1EEEvPT0_PS8_PKT1_PS2_il
; %bb.0:
	s_load_dwordx2 s[4:5], s[0:1], 0x10
	s_load_dword s20, s[0:1], 0x20
	s_load_dwordx2 s[8:9], s[0:1], 0x28
	s_mov_b32 s3, 0
	s_lshl_b64 s[6:7], s[2:3], 1
	s_waitcnt lgkmcnt(0)
	s_add_u32 s4, s4, s6
	s_addc_u32 s5, s5, s7
	v_mov_b32_e32 v1, 0
	global_load_ushort v1, v1, s[4:5]
	s_load_dwordx2 s[4:5], s[0:1], 0x0
	s_ashr_i32 s21, s20, 31
	s_mul_hi_u32 s3, s20, s2
	v_mov_b64_e32 v[2:3], s[8:9]
	s_mul_i32 s8, s21, s2
	s_add_i32 s11, s3, s8
	s_mul_i32 s10, s20, s2
	s_lshl_b64 s[8:9], s[10:11], 1
	s_mov_b64 s[6:7], -1
	s_waitcnt vmcnt(0)
	v_readfirstlane_b32 s3, v1
	s_sext_i32_i16 s12, s3
	s_ashr_i32 s13, s12, 31
	s_waitcnt lgkmcnt(0)
	s_add_u32 s8, s4, s8
	s_addc_u32 s3, s5, s9
	s_add_i32 s4, s20, 1
	s_lshr_b32 s5, s4, 31
	s_add_i32 s4, s4, s5
	s_and_b32 s9, s3, 0xffff
	s_lshl_b32 s3, s4, 1
	s_and_b32 s10, s3, -4
	s_cmp_gt_i32 s12, -1
	v_cmp_lt_i64_e32 vcc, s[12:13], v[2:3]
	s_cselect_b64 s[4:5], -1, 0
	s_and_b64 s[4:5], s[4:5], vcc
	s_and_b64 vcc, exec, s[4:5]
	v_cmp_gt_i32_e64 s[4:5], s20, v0
	s_cbranch_vccnz .LBB140_5
; %bb.1:
	s_and_saveexec_b64 s[6:7], s[4:5]
	s_cbranch_execz .LBB140_4
; %bb.2:
	s_load_dword s3, s[0:1], 0x3c
	v_mov_b32_e32 v1, 0
	s_mov_b32 s5, 0
	v_lshlrev_b32_e32 v4, 1, v0
	s_mov_b64 s[14:15], 0
	s_waitcnt lgkmcnt(0)
	s_and_b32 s4, s3, 0xffff
	s_lshl_b32 s3, s4, 1
	s_mov_b32 s11, 0x20000
	v_mov_b64_e32 v[2:3], v[0:1]
.LBB140_3:                              ; =>This Inner Loop Header: Depth=1
	v_lshl_add_u64 v[2:3], v[2:3], 0, s[4:5]
	v_cmp_le_i64_e32 vcc, s[20:21], v[2:3]
	buffer_store_short v1, v4, s[8:11], 0 offen
	s_or_b64 s[14:15], vcc, s[14:15]
	v_add_u32_e32 v4, s3, v4
	s_andn2_b64 exec, exec, s[14:15]
	s_cbranch_execnz .LBB140_3
.LBB140_4:
	s_or_b64 exec, exec, s[6:7]
	s_mov_b64 s[6:7], 0
.LBB140_5:
	s_andn2_b64 vcc, exec, s[6:7]
	s_cbranch_vccnz .LBB140_9
; %bb.6:
	v_cmp_gt_i32_e32 vcc, s20, v0
	s_and_saveexec_b64 s[4:5], vcc
	s_cbranch_execz .LBB140_9
; %bb.7:
	s_load_dwordx2 s[14:15], s[0:1], 0x8
	s_load_dwordx2 s[4:5], s[0:1], 0x18
	s_mul_hi_i32 s13, s20, s12
	s_mul_i32 s12, s20, s12
	s_lshl_b32 s6, s20, 2
	s_lshl_b64 s[12:13], s[12:13], 3
	s_load_dword s18, s[0:1], 0x3c
	s_waitcnt lgkmcnt(0)
	s_add_u32 s0, s4, s12
	s_addc_u32 s1, s5, s13
	s_lshl_b64 s[16:17], s[20:21], 2
	s_add_u32 s4, s0, s16
	s_addc_u32 s3, s1, s17
	s_and_b32 s5, s3, 0xffff
	s_mul_i32 s3, s2, s21
	s_mul_hi_u32 s12, s2, s20
	s_add_i32 s3, s12, s3
	s_mul_i32 s2, s2, s20
	s_and_b32 s1, s1, 0xffff
	s_lshl_b64 s[2:3], s[2:3], 3
	s_add_u32 s12, s14, s2
	s_addc_u32 s2, s15, s3
	s_add_u32 s16, s12, s16
	s_mov_b32 s11, 0x20000
	s_addc_u32 s3, s2, s17
	s_and_b32 s22, s18, 0xffff
	s_mov_b32 s7, s11
	s_and_b32 s13, s2, 0xffff
	s_and_b32 s17, s3, 0xffff
	s_mov_b32 s23, 0
	v_mov_b32_e32 v1, 0
	v_lshlrev_b32_e32 v2, 1, v0
	s_lshl_b32 s26, s22, 1
	v_lshlrev_b32_e32 v3, 2, v0
	s_lshl_b32 s27, s22, 2
	s_mov_b64 s[24:25], 0
	s_mov_b32 s14, s6
	s_mov_b32 s15, s11
	s_mov_b32 s28, 0xbfb8aa3b
	s_mov_b32 s29, 0x42ce8ed0
	s_mov_b32 s30, 0xc2b17218
	v_mov_b32_e32 v4, 0x7f800000
	s_mov_b32 s18, s6
	s_mov_b32 s19, s11
	;; [unrolled: 1-line block ×4, first 2 shown]
.LBB140_8:                              ; =>This Inner Loop Header: Depth=1
	buffer_load_dword v7, v3, s[12:15], 0 offen
	buffer_load_dword v6, v3, s[16:19], 0 offen
	;; [unrolled: 1-line block ×4, first 2 shown]
	v_lshl_add_u64 v[0:1], v[0:1], 0, s[22:23]
	v_add_u32_e32 v3, s27, v3
	s_waitcnt vmcnt(0)
	v_pk_add_f32 v[6:7], v[6:7], v[8:9]
	s_nop 0
	v_mul_f32_e32 v5, 0xbfb8aa3b, v7
	v_fma_f32 v8, v7, s28, -v5
	v_rndne_f32_e32 v9, v5
	v_fmac_f32_e32 v8, 0xb2a5705f, v7
	v_sub_f32_e32 v5, v5, v9
	v_add_f32_e32 v5, v5, v8
	v_cvt_i32_f32_e32 v9, v9
	v_exp_f32_e32 v5, v5
	v_cmp_nlt_f32_e32 vcc, s29, v7
	v_ldexp_f32 v5, v5, v9
	s_nop 0
	v_cndmask_b32_e32 v5, 0, v5, vcc
	v_cmp_ngt_f32_e32 vcc, s30, v7
	s_nop 1
	v_cndmask_b32_e32 v5, v4, v5, vcc
	v_add_f32_e32 v5, 1.0, v5
	v_rcp_f32_e32 v5, v5
	v_cmp_le_i64_e32 vcc, s[20:21], v[0:1]
	s_or_b64 s[24:25], vcc, s[24:25]
	v_mul_f32_e32 v5, v7, v5
	v_mul_f32_e32 v5, v6, v5
	v_lshrrev_b32_e32 v5, 16, v5
	buffer_store_short v5, v2, s[8:11], 0 offen
	v_add_u32_e32 v2, s26, v2
	s_andn2_b64 exec, exec, s[24:25]
	s_cbranch_execnz .LBB140_8
.LBB140_9:
	s_endpgm
	.section	.rodata,"a",@progbits
	.p2align	6, 0x0
	.amdhsa_kernel _ZN5aiter23act_and_mul_bias_kernelIftsfTnPFfRKT2_EXadL_ZNS_11silu_kernelIfEEfRKT_EELi1EEEvPT0_PS8_PKT1_PS2_il
		.amdhsa_group_segment_fixed_size 0
		.amdhsa_private_segment_fixed_size 0
		.amdhsa_kernarg_size 304
		.amdhsa_user_sgpr_count 2
		.amdhsa_user_sgpr_dispatch_ptr 0
		.amdhsa_user_sgpr_queue_ptr 0
		.amdhsa_user_sgpr_kernarg_segment_ptr 1
		.amdhsa_user_sgpr_dispatch_id 0
		.amdhsa_user_sgpr_kernarg_preload_length 0
		.amdhsa_user_sgpr_kernarg_preload_offset 0
		.amdhsa_user_sgpr_private_segment_size 0
		.amdhsa_uses_dynamic_stack 0
		.amdhsa_enable_private_segment 0
		.amdhsa_system_sgpr_workgroup_id_x 1
		.amdhsa_system_sgpr_workgroup_id_y 0
		.amdhsa_system_sgpr_workgroup_id_z 0
		.amdhsa_system_sgpr_workgroup_info 0
		.amdhsa_system_vgpr_workitem_id 0
		.amdhsa_next_free_vgpr 10
		.amdhsa_next_free_sgpr 31
		.amdhsa_accum_offset 12
		.amdhsa_reserve_vcc 1
		.amdhsa_float_round_mode_32 0
		.amdhsa_float_round_mode_16_64 0
		.amdhsa_float_denorm_mode_32 3
		.amdhsa_float_denorm_mode_16_64 3
		.amdhsa_dx10_clamp 1
		.amdhsa_ieee_mode 1
		.amdhsa_fp16_overflow 0
		.amdhsa_tg_split 0
		.amdhsa_exception_fp_ieee_invalid_op 0
		.amdhsa_exception_fp_denorm_src 0
		.amdhsa_exception_fp_ieee_div_zero 0
		.amdhsa_exception_fp_ieee_overflow 0
		.amdhsa_exception_fp_ieee_underflow 0
		.amdhsa_exception_fp_ieee_inexact 0
		.amdhsa_exception_int_div_zero 0
	.end_amdhsa_kernel
	.section	.text._ZN5aiter23act_and_mul_bias_kernelIftsfTnPFfRKT2_EXadL_ZNS_11silu_kernelIfEEfRKT_EELi1EEEvPT0_PS8_PKT1_PS2_il,"axG",@progbits,_ZN5aiter23act_and_mul_bias_kernelIftsfTnPFfRKT2_EXadL_ZNS_11silu_kernelIfEEfRKT_EELi1EEEvPT0_PS8_PKT1_PS2_il,comdat
.Lfunc_end140:
	.size	_ZN5aiter23act_and_mul_bias_kernelIftsfTnPFfRKT2_EXadL_ZNS_11silu_kernelIfEEfRKT_EELi1EEEvPT0_PS8_PKT1_PS2_il, .Lfunc_end140-_ZN5aiter23act_and_mul_bias_kernelIftsfTnPFfRKT2_EXadL_ZNS_11silu_kernelIfEEfRKT_EELi1EEEvPT0_PS8_PKT1_PS2_il
                                        ; -- End function
	.section	.AMDGPU.csdata,"",@progbits
; Kernel info:
; codeLenInByte = 732
; NumSgprs: 37
; NumVgprs: 10
; NumAgprs: 0
; TotalNumVgprs: 10
; ScratchSize: 0
; MemoryBound: 0
; FloatMode: 240
; IeeeMode: 1
; LDSByteSize: 0 bytes/workgroup (compile time only)
; SGPRBlocks: 4
; VGPRBlocks: 1
; NumSGPRsForWavesPerEU: 37
; NumVGPRsForWavesPerEU: 10
; AccumOffset: 12
; Occupancy: 8
; WaveLimiterHint : 0
; COMPUTE_PGM_RSRC2:SCRATCH_EN: 0
; COMPUTE_PGM_RSRC2:USER_SGPR: 2
; COMPUTE_PGM_RSRC2:TRAP_HANDLER: 0
; COMPUTE_PGM_RSRC2:TGID_X_EN: 1
; COMPUTE_PGM_RSRC2:TGID_Y_EN: 0
; COMPUTE_PGM_RSRC2:TGID_Z_EN: 0
; COMPUTE_PGM_RSRC2:TIDIG_COMP_CNT: 0
; COMPUTE_PGM_RSRC3_GFX90A:ACCUM_OFFSET: 2
; COMPUTE_PGM_RSRC3_GFX90A:TG_SPLIT: 0
	.section	.text._ZN5aiter23act_and_mul_bias_kernelIfDF16_sfTnPFfRKT2_EXadL_ZNS_11silu_kernelIfEEfRKT_EELi16EEEvPT0_PS8_PKT1_PS2_il,"axG",@progbits,_ZN5aiter23act_and_mul_bias_kernelIfDF16_sfTnPFfRKT2_EXadL_ZNS_11silu_kernelIfEEfRKT_EELi16EEEvPT0_PS8_PKT1_PS2_il,comdat
	.protected	_ZN5aiter23act_and_mul_bias_kernelIfDF16_sfTnPFfRKT2_EXadL_ZNS_11silu_kernelIfEEfRKT_EELi16EEEvPT0_PS8_PKT1_PS2_il ; -- Begin function _ZN5aiter23act_and_mul_bias_kernelIfDF16_sfTnPFfRKT2_EXadL_ZNS_11silu_kernelIfEEfRKT_EELi16EEEvPT0_PS8_PKT1_PS2_il
	.globl	_ZN5aiter23act_and_mul_bias_kernelIfDF16_sfTnPFfRKT2_EXadL_ZNS_11silu_kernelIfEEfRKT_EELi16EEEvPT0_PS8_PKT1_PS2_il
	.p2align	8
	.type	_ZN5aiter23act_and_mul_bias_kernelIfDF16_sfTnPFfRKT2_EXadL_ZNS_11silu_kernelIfEEfRKT_EELi16EEEvPT0_PS8_PKT1_PS2_il,@function
_ZN5aiter23act_and_mul_bias_kernelIfDF16_sfTnPFfRKT2_EXadL_ZNS_11silu_kernelIfEEfRKT_EELi16EEEvPT0_PS8_PKT1_PS2_il: ; @_ZN5aiter23act_and_mul_bias_kernelIfDF16_sfTnPFfRKT2_EXadL_ZNS_11silu_kernelIfEEfRKT_EELi16EEEvPT0_PS8_PKT1_PS2_il
; %bb.0:
	s_load_dwordx2 s[4:5], s[0:1], 0x10
	s_load_dword s30, s[0:1], 0x20
	s_load_dwordx2 s[8:9], s[0:1], 0x28
	s_mov_b32 s3, 0
	s_lshl_b64 s[6:7], s[2:3], 1
	s_waitcnt lgkmcnt(0)
	s_add_u32 s4, s4, s6
	s_addc_u32 s5, s5, s7
	v_mov_b32_e32 v1, 0
	global_load_ushort v1, v1, s[4:5]
	s_load_dwordx2 s[10:11], s[0:1], 0x0
	s_ashr_i32 s31, s30, 31
	s_mul_hi_u32 s3, s30, s2
	s_mul_i32 s5, s31, s2
	s_mul_i32 s4, s30, s2
	s_add_i32 s5, s3, s5
	v_mov_b64_e32 v[2:3], s[8:9]
	s_lshl_b64 s[8:9], s[4:5], 1
	s_mov_b64 s[6:7], -1
	v_lshlrev_b32_e32 v56, 4, v0
	s_waitcnt vmcnt(0)
	v_readfirstlane_b32 s3, v1
	s_sext_i32_i16 s4, s3
	s_ashr_i32 s5, s4, 31
	s_waitcnt lgkmcnt(0)
	s_add_u32 s36, s10, s8
	v_cmp_lt_i64_e32 vcc, s[4:5], v[2:3]
	s_addc_u32 s3, s11, s9
	s_add_i32 s5, s30, 1
	s_lshr_b32 s8, s5, 31
	s_add_i32 s5, s5, s8
	s_and_b32 s37, s3, 0xffff
	s_lshl_b32 s3, s5, 1
	s_and_b32 s38, s3, -4
	s_cmp_gt_i32 s4, -1
	s_cselect_b64 s[8:9], -1, 0
	s_and_b64 s[8:9], s[8:9], vcc
	s_and_b64 vcc, exec, s[8:9]
	s_cbranch_vccnz .LBB141_5
; %bb.1:
	v_cmp_gt_i32_e32 vcc, s30, v56
	s_and_saveexec_b64 s[6:7], vcc
	s_cbranch_execz .LBB141_4
; %bb.2:
	s_load_dword s3, s[0:1], 0x3c
	s_mov_b32 s9, 0
	s_mov_b32 s12, s9
	;; [unrolled: 1-line block ×3, first 2 shown]
	v_mov_b32_e32 v57, 0
	v_lshlrev_b32_e32 v6, 5, v0
	s_waitcnt lgkmcnt(0)
	s_and_b32 s3, s3, 0xffff
	s_mov_b32 s14, s9
	s_mov_b32 s15, s9
	v_mov_b64_e32 v[0:1], s[12:13]
	s_lshl_b32 s8, s3, 4
	s_lshl_b32 s3, s3, 5
	s_mov_b64 s[10:11], 0
	s_mov_b32 s39, 0x20000
	v_mov_b64_e32 v[2:3], s[14:15]
	v_mov_b64_e32 v[4:5], v[56:57]
.LBB141_3:                              ; =>This Inner Loop Header: Depth=1
	v_lshl_add_u64 v[4:5], s[8:9], 0, v[4:5]
	v_cmp_le_i64_e32 vcc, s[30:31], v[4:5]
	buffer_store_dwordx4 v[0:3], v6, s[36:39], 0 offen
	buffer_store_dwordx4 v[0:3], v6, s[36:39], 16 offen
	s_or_b64 s[10:11], vcc, s[10:11]
	v_add_u32_e32 v6, s3, v6
	s_andn2_b64 exec, exec, s[10:11]
	s_cbranch_execnz .LBB141_3
.LBB141_4:
	s_or_b64 exec, exec, s[6:7]
	s_mov_b64 s[6:7], 0
.LBB141_5:
	s_andn2_b64 vcc, exec, s[6:7]
	s_cbranch_vccnz .LBB141_9
; %bb.6:
	v_cmp_gt_i32_e32 vcc, s30, v56
	s_and_saveexec_b64 s[6:7], vcc
	s_cbranch_execz .LBB141_9
; %bb.7:
	s_load_dwordx2 s[6:7], s[0:1], 0x8
	s_load_dwordx2 s[8:9], s[0:1], 0x18
	s_mul_hi_i32 s5, s30, s4
	s_mul_i32 s4, s30, s4
	s_lshl_b32 s42, s30, 2
	s_lshl_b64 s[4:5], s[4:5], 3
	s_waitcnt lgkmcnt(0)
	s_add_u32 s44, s8, s4
	s_addc_u32 s3, s9, s5
	s_lshl_b64 s[4:5], s[30:31], 2
	s_add_u32 s40, s44, s4
	s_addc_u32 s8, s3, s5
	s_and_b32 s45, s3, 0xffff
	s_and_b32 s41, s8, 0xffff
	s_mul_i32 s3, s2, s31
	s_mul_hi_u32 s8, s2, s30
	s_add_i32 s3, s8, s3
	s_mul_i32 s2, s2, s30
	s_lshl_b64 s[2:3], s[2:3], 3
	s_add_u32 s48, s6, s2
	s_addc_u32 s2, s7, s3
	s_add_u32 s52, s48, s4
	s_addc_u32 s3, s2, s5
	s_and_b32 s49, s2, 0xffff
	s_and_b32 s53, s3, 0xffff
	s_mov_b32 s39, 0x20000
	s_add_u32 s34, s0, 48
	s_mov_b32 s43, s39
	v_mov_b32_e32 v57, 0
	s_addc_u32 s35, s1, 0
	s_mov_b64 s[56:57], 0
	s_mov_b32 s50, s42
	s_mov_b32 s51, s39
	s_mov_b32 s59, 0
	s_mov_b32 s33, 0xbfb8aa3b
	s_mov_b32 s60, 0x42ce8ed0
	s_mov_b32 s61, 0xc2b17218
	v_mov_b32_e32 v58, 0x7f800000
	s_mov_b32 s54, s42
	s_mov_b32 s55, s39
	;; [unrolled: 1-line block ×4, first 2 shown]
.LBB141_8:                              ; =>This Inner Loop Header: Depth=1
	v_lshlrev_b32_e32 v59, 2, v56
	buffer_load_dwordx4 v[24:27], v59, s[40:43], 0 offen
	buffer_load_dwordx4 v[36:39], v59, s[52:55], 0 offen
	;; [unrolled: 1-line block ×15, first 2 shown]
	s_waitcnt vmcnt(13)
	v_pk_add_f32 v[38:39], v[38:39], v[26:27]
	v_pk_add_f32 v[36:37], v[36:37], v[24:25]
	buffer_load_dwordx4 v[24:27], v59, s[44:47], 48 offen
	s_waitcnt vmcnt(11)
	v_pk_add_f32 v[28:29], v[28:29], v[44:45]
	s_waitcnt vmcnt(10)
	v_pk_add_f32 v[32:33], v[48:49], v[32:33]
	v_pk_add_f32 v[34:35], v[50:51], v[34:35]
	s_waitcnt vmcnt(8)
	v_pk_add_f32 v[42:43], v[42:43], v[54:55]
	v_pk_add_f32 v[40:41], v[40:41], v[52:53]
	;; [unrolled: 1-line block ×3, first 2 shown]
	v_cmp_nlt_f32_e32 vcc, s60, v34
	s_waitcnt vmcnt(4)
	v_pk_add_f32 v[6:7], v[6:7], v[22:23]
	s_waitcnt vmcnt(3)
	v_pk_add_f32 v[2:3], v[2:3], v[14:15]
	v_pk_add_f32 v[4:5], v[4:5], v[20:21]
	;; [unrolled: 1-line block ×3, first 2 shown]
	v_mul_f32_e32 v20, 0xbfb8aa3b, v40
	v_mul_f32_e32 v21, 0xbfb8aa3b, v41
	;; [unrolled: 1-line block ×4, first 2 shown]
	s_waitcnt vmcnt(2)
	v_pk_add_f32 v[10:11], v[62:63], v[10:11]
	v_pk_add_f32 v[8:9], v[60:61], v[8:9]
	v_fma_f32 v59, v40, s33, -v20
	v_rndne_f32_e32 v60, v20
	v_fma_f32 v61, v41, s33, -v21
	v_rndne_f32_e32 v62, v21
	;; [unrolled: 2-line block ×4, first 2 shown]
	v_fmac_f32_e32 v59, 0xb2a5705f, v40
	v_sub_f32_e32 v20, v20, v60
	v_fmac_f32_e32 v61, 0xb2a5705f, v41
	v_sub_f32_e32 v21, v21, v62
	;; [unrolled: 2-line block ×4, first 2 shown]
	v_add_f32_e32 v20, v20, v59
	v_add_f32_e32 v21, v21, v61
	;; [unrolled: 1-line block ×4, first 2 shown]
	v_cvt_i32_f32_e32 v60, v60
	v_cvt_i32_f32_e32 v62, v62
	;; [unrolled: 1-line block ×4, first 2 shown]
	v_exp_f32_e32 v20, v20
	v_exp_f32_e32 v21, v21
	;; [unrolled: 1-line block ×4, first 2 shown]
	v_ldexp_f32 v20, v20, v60
	v_ldexp_f32 v21, v21, v62
	;; [unrolled: 1-line block ×4, first 2 shown]
	v_cmp_nlt_f32_e64 s[0:1], s60, v35
	v_cmp_nlt_f32_e64 s[2:3], s60, v40
	v_cmp_nlt_f32_e64 s[4:5], s60, v41
	v_cmp_nlt_f32_e64 s[6:7], s60, v42
	v_cmp_nlt_f32_e64 s[8:9], s60, v43
	v_cmp_nlt_f32_e64 s[26:27], s60, v32
	v_cmp_nlt_f32_e64 s[28:29], s60, v33
	v_cmp_nlt_f32_e64 s[10:11], s60, v8
	v_cmp_nlt_f32_e64 s[12:13], s60, v9
	v_cmp_nlt_f32_e64 s[14:15], s60, v10
	v_cmp_nlt_f32_e64 s[16:17], s60, v11
	v_cndmask_b32_e64 v20, 0, v20, s[2:3]
	v_cmp_ngt_f32_e64 s[2:3], s61, v40
	v_cndmask_b32_e64 v21, 0, v21, s[4:5]
	v_cmp_ngt_f32_e64 s[4:5], s61, v41
	;; [unrolled: 2-line block ×4, first 2 shown]
	v_cndmask_b32_e64 v20, v58, v20, s[2:3]
	v_cndmask_b32_e64 v21, v58, v21, s[4:5]
	;; [unrolled: 1-line block ×4, first 2 shown]
	s_waitcnt vmcnt(0)
	v_pk_add_f32 v[14:15], v[16:17], v[24:25]
	v_mul_f32_e32 v16, 0xbfb8aa3b, v32
	v_pk_add_f32 v[12:13], v[18:19], v[26:27]
	v_mul_f32_e32 v17, 0xbfb8aa3b, v33
	v_mul_f32_e32 v18, 0xbfb8aa3b, v34
	;; [unrolled: 1-line block ×3, first 2 shown]
	v_fma_f32 v48, v32, s33, -v16
	v_rndne_f32_e32 v49, v16
	v_fma_f32 v50, v33, s33, -v17
	v_rndne_f32_e32 v51, v17
	;; [unrolled: 2-line block ×4, first 2 shown]
	v_fmac_f32_e32 v48, 0xb2a5705f, v32
	v_sub_f32_e32 v16, v16, v49
	v_mul_f32_e32 v25, 0xbfb8aa3b, v9
	v_mul_f32_e32 v26, 0xbfb8aa3b, v10
	;; [unrolled: 1-line block ×4, first 2 shown]
	v_add_f32_e32 v48, v16, v48
	v_fmac_f32_e32 v50, 0xb2a5705f, v33
	v_sub_f32_e32 v16, v17, v51
	v_fmac_f32_e32 v52, 0xb2a5705f, v34
	v_sub_f32_e32 v18, v18, v53
	;; [unrolled: 2-line block ×3, first 2 shown]
	v_add_f32_e32 v17, v16, v50
	v_fma_f32 v16, v9, s33, -v25
	v_add_f32_e32 v18, v18, v52
	v_rndne_f32_e32 v50, v25
	v_add_f32_e32 v19, v19, v54
	v_fma_f32 v52, v10, s33, -v26
	v_rndne_f32_e32 v54, v26
	v_fma_f32 v59, v11, s33, -v27
	v_rndne_f32_e32 v61, v27
	;; [unrolled: 2-line block ×3, first 2 shown]
	v_mul_f32_e32 v45, 0xbfb8aa3b, v15
	v_mul_f32_e32 v46, 0xbfb8aa3b, v12
	v_fmac_f32_e32 v16, 0xb2a5705f, v9
	v_sub_f32_e32 v25, v25, v50
	v_fmac_f32_e32 v52, 0xb2a5705f, v10
	v_sub_f32_e32 v26, v26, v54
	;; [unrolled: 2-line block ×4, first 2 shown]
	v_add_f32_e32 v25, v25, v16
	v_fma_f32 v16, v15, s33, -v45
	v_add_f32_e32 v26, v26, v52
	v_rndne_f32_e32 v52, v45
	v_add_f32_e32 v27, v27, v59
	v_fma_f32 v59, v12, s33, -v46
	v_add_f32_e32 v44, v44, v63
	v_rndne_f32_e32 v63, v46
	v_mul_f32_e32 v24, 0xbfb8aa3b, v8
	v_mul_f32_e32 v47, 0xbfb8aa3b, v13
	v_fmac_f32_e32 v16, 0xb2a5705f, v15
	v_sub_f32_e32 v45, v45, v52
	v_fmac_f32_e32 v59, 0xb2a5705f, v12
	v_sub_f32_e32 v46, v46, v63
	v_fma_f32 v67, v8, s33, -v24
	v_rndne_f32_e32 v68, v24
	v_add_f32_e32 v45, v45, v16
	v_fma_f32 v16, v13, s33, -v47
	v_add_f32_e32 v46, v46, v59
	v_rndne_f32_e32 v59, v47
	v_fmac_f32_e32 v67, 0xb2a5705f, v8
	v_sub_f32_e32 v24, v24, v68
	v_fmac_f32_e32 v16, 0xb2a5705f, v13
	v_sub_f32_e32 v47, v47, v59
	v_add_f32_e32 v24, v24, v67
	v_add_f32_e32 v47, v47, v16
	v_cvt_i32_f32_e32 v49, v49
	v_cvt_i32_f32_e32 v51, v51
	;; [unrolled: 1-line block ×4, first 2 shown]
	v_exp_f32_e32 v48, v48
	v_exp_f32_e32 v17, v17
	;; [unrolled: 1-line block ×4, first 2 shown]
	v_cvt_i32_f32_e32 v67, v68
	v_cvt_i32_f32_e32 v50, v50
	v_cvt_i32_f32_e32 v54, v54
	v_cvt_i32_f32_e32 v61, v61
	v_cvt_i32_f32_e32 v65, v65
	v_cvt_i32_f32_e32 v52, v52
	v_cvt_i32_f32_e32 v63, v63
	v_cvt_i32_f32_e32 v59, v59
	v_exp_f32_e32 v24, v24
	v_exp_f32_e32 v25, v25
	;; [unrolled: 1-line block ×8, first 2 shown]
	v_ldexp_f32 v48, v48, v49
	v_ldexp_f32 v17, v17, v51
	;; [unrolled: 1-line block ×11, first 2 shown]
	v_cmp_nlt_f32_e64 s[18:19], s60, v14
	v_cmp_nlt_f32_e64 s[20:21], s60, v15
	;; [unrolled: 1-line block ×3, first 2 shown]
	v_ldexp_f32 v47, v47, v59
	v_cmp_nlt_f32_e64 s[24:25], s60, v13
	v_cndmask_b32_e64 v17, 0, v17, s[28:29]
	v_cmp_ngt_f32_e64 s[28:29], s61, v33
	v_cndmask_b32_e32 v18, 0, v18, vcc
	v_cmp_ngt_f32_e32 vcc, s61, v34
	v_cndmask_b32_e64 v19, 0, v19, s[0:1]
	v_cmp_ngt_f32_e64 s[0:1], s61, v35
	v_cndmask_b32_e64 v48, 0, v48, s[26:27]
	v_cmp_ngt_f32_e64 s[26:27], s61, v32
	;; [unrolled: 2-line block ×10, first 2 shown]
	v_cndmask_b32_e64 v48, v58, v48, s[26:27]
	v_cndmask_b32_e64 v17, v58, v17, s[28:29]
	v_cndmask_b32_e32 v18, v58, v18, vcc
	v_cndmask_b32_e64 v19, v58, v19, s[0:1]
	v_cndmask_b32_e64 v24, v58, v24, s[10:11]
	;; [unrolled: 1-line block ×9, first 2 shown]
	v_add_f32_e32 v48, 1.0, v48
	v_add_f32_e32 v17, 1.0, v17
	;; [unrolled: 1-line block ×16, first 2 shown]
	v_rcp_f32_e32 v18, v48
	v_rcp_f32_e32 v19, v17
	;; [unrolled: 1-line block ×16, first 2 shown]
	v_pk_mul_f32 v[18:19], v[32:33], v[18:19]
	v_pk_mul_f32 v[20:21], v[34:35], v[20:21]
	;; [unrolled: 1-line block ×8, first 2 shown]
	;;#ASMSTART
	v_pk_mul_f32 v[18:19], v[18:19], v[36:37]
	;;#ASMEND
	;;#ASMSTART
	v_pk_mul_f32 v[20:21], v[20:21], v[38:39]
	;;#ASMEND
	;;#ASMSTART
	v_pk_mul_f32 v[22:23], v[22:23], v[28:29]
	;;#ASMEND
	;;#ASMSTART
	v_pk_mul_f32 v[24:25], v[24:25], v[30:31]
	;;#ASMEND
	;;#ASMSTART
	v_pk_mul_f32 v[4:5], v[8:9], v[4:5]
	;;#ASMEND
	;;#ASMSTART
	v_pk_mul_f32 v[6:7], v[10:11], v[6:7]
	;;#ASMEND
	;;#ASMSTART
	v_pk_mul_f32 v[0:1], v[14:15], v[0:1]
	;;#ASMEND
	s_nop 0
	;;#ASMSTART
	v_pk_mul_f32 v[2:3], v[12:13], v[2:3]
	;;#ASMEND
	s_load_dword s0, s[34:35], 0xc
	v_cvt_f16_f32_e32 v8, v18
	v_cvt_f16_f32_e32 v9, v19
	;; [unrolled: 1-line block ×16, first 2 shown]
	s_waitcnt lgkmcnt(0)
	s_and_b32 s0, s0, 0xffff
	s_lshl_b32 s58, s0, 4
	v_lshlrev_b32_e32 v16, 1, v56
	v_lshl_add_u64 v[56:57], s[58:59], 0, v[56:57]
	v_cmp_le_i64_e32 vcc, s[30:31], v[56:57]
	v_pack_b32_f16 v1, v10, v11
	v_pack_b32_f16 v3, v14, v15
	;; [unrolled: 1-line block ×8, first 2 shown]
	s_or_b64 s[56:57], vcc, s[56:57]
	buffer_store_dwordx4 v[0:3], v16, s[36:39], 0 offen
	buffer_store_dwordx4 v[4:7], v16, s[36:39], 16 offen
	s_andn2_b64 exec, exec, s[56:57]
	s_cbranch_execnz .LBB141_8
.LBB141_9:
	s_endpgm
	.section	.rodata,"a",@progbits
	.p2align	6, 0x0
	.amdhsa_kernel _ZN5aiter23act_and_mul_bias_kernelIfDF16_sfTnPFfRKT2_EXadL_ZNS_11silu_kernelIfEEfRKT_EELi16EEEvPT0_PS8_PKT1_PS2_il
		.amdhsa_group_segment_fixed_size 0
		.amdhsa_private_segment_fixed_size 0
		.amdhsa_kernarg_size 304
		.amdhsa_user_sgpr_count 2
		.amdhsa_user_sgpr_dispatch_ptr 0
		.amdhsa_user_sgpr_queue_ptr 0
		.amdhsa_user_sgpr_kernarg_segment_ptr 1
		.amdhsa_user_sgpr_dispatch_id 0
		.amdhsa_user_sgpr_kernarg_preload_length 0
		.amdhsa_user_sgpr_kernarg_preload_offset 0
		.amdhsa_user_sgpr_private_segment_size 0
		.amdhsa_uses_dynamic_stack 0
		.amdhsa_enable_private_segment 0
		.amdhsa_system_sgpr_workgroup_id_x 1
		.amdhsa_system_sgpr_workgroup_id_y 0
		.amdhsa_system_sgpr_workgroup_id_z 0
		.amdhsa_system_sgpr_workgroup_info 0
		.amdhsa_system_vgpr_workitem_id 0
		.amdhsa_next_free_vgpr 69
		.amdhsa_next_free_sgpr 62
		.amdhsa_accum_offset 72
		.amdhsa_reserve_vcc 1
		.amdhsa_float_round_mode_32 0
		.amdhsa_float_round_mode_16_64 0
		.amdhsa_float_denorm_mode_32 3
		.amdhsa_float_denorm_mode_16_64 3
		.amdhsa_dx10_clamp 1
		.amdhsa_ieee_mode 1
		.amdhsa_fp16_overflow 0
		.amdhsa_tg_split 0
		.amdhsa_exception_fp_ieee_invalid_op 0
		.amdhsa_exception_fp_denorm_src 0
		.amdhsa_exception_fp_ieee_div_zero 0
		.amdhsa_exception_fp_ieee_overflow 0
		.amdhsa_exception_fp_ieee_underflow 0
		.amdhsa_exception_fp_ieee_inexact 0
		.amdhsa_exception_int_div_zero 0
	.end_amdhsa_kernel
	.section	.text._ZN5aiter23act_and_mul_bias_kernelIfDF16_sfTnPFfRKT2_EXadL_ZNS_11silu_kernelIfEEfRKT_EELi16EEEvPT0_PS8_PKT1_PS2_il,"axG",@progbits,_ZN5aiter23act_and_mul_bias_kernelIfDF16_sfTnPFfRKT2_EXadL_ZNS_11silu_kernelIfEEfRKT_EELi16EEEvPT0_PS8_PKT1_PS2_il,comdat
.Lfunc_end141:
	.size	_ZN5aiter23act_and_mul_bias_kernelIfDF16_sfTnPFfRKT2_EXadL_ZNS_11silu_kernelIfEEfRKT_EELi16EEEvPT0_PS8_PKT1_PS2_il, .Lfunc_end141-_ZN5aiter23act_and_mul_bias_kernelIfDF16_sfTnPFfRKT2_EXadL_ZNS_11silu_kernelIfEEfRKT_EELi16EEEvPT0_PS8_PKT1_PS2_il
                                        ; -- End function
	.section	.AMDGPU.csdata,"",@progbits
; Kernel info:
; codeLenInByte = 2636
; NumSgprs: 68
; NumVgprs: 69
; NumAgprs: 0
; TotalNumVgprs: 69
; ScratchSize: 0
; MemoryBound: 0
; FloatMode: 240
; IeeeMode: 1
; LDSByteSize: 0 bytes/workgroup (compile time only)
; SGPRBlocks: 8
; VGPRBlocks: 8
; NumSGPRsForWavesPerEU: 68
; NumVGPRsForWavesPerEU: 69
; AccumOffset: 72
; Occupancy: 7
; WaveLimiterHint : 0
; COMPUTE_PGM_RSRC2:SCRATCH_EN: 0
; COMPUTE_PGM_RSRC2:USER_SGPR: 2
; COMPUTE_PGM_RSRC2:TRAP_HANDLER: 0
; COMPUTE_PGM_RSRC2:TGID_X_EN: 1
; COMPUTE_PGM_RSRC2:TGID_Y_EN: 0
; COMPUTE_PGM_RSRC2:TGID_Z_EN: 0
; COMPUTE_PGM_RSRC2:TIDIG_COMP_CNT: 0
; COMPUTE_PGM_RSRC3_GFX90A:ACCUM_OFFSET: 17
; COMPUTE_PGM_RSRC3_GFX90A:TG_SPLIT: 0
	.section	.text._ZN5aiter23act_and_mul_bias_kernelIfDF16_sfTnPFfRKT2_EXadL_ZNS_11silu_kernelIfEEfRKT_EELi8EEEvPT0_PS8_PKT1_PS2_il,"axG",@progbits,_ZN5aiter23act_and_mul_bias_kernelIfDF16_sfTnPFfRKT2_EXadL_ZNS_11silu_kernelIfEEfRKT_EELi8EEEvPT0_PS8_PKT1_PS2_il,comdat
	.protected	_ZN5aiter23act_and_mul_bias_kernelIfDF16_sfTnPFfRKT2_EXadL_ZNS_11silu_kernelIfEEfRKT_EELi8EEEvPT0_PS8_PKT1_PS2_il ; -- Begin function _ZN5aiter23act_and_mul_bias_kernelIfDF16_sfTnPFfRKT2_EXadL_ZNS_11silu_kernelIfEEfRKT_EELi8EEEvPT0_PS8_PKT1_PS2_il
	.globl	_ZN5aiter23act_and_mul_bias_kernelIfDF16_sfTnPFfRKT2_EXadL_ZNS_11silu_kernelIfEEfRKT_EELi8EEEvPT0_PS8_PKT1_PS2_il
	.p2align	8
	.type	_ZN5aiter23act_and_mul_bias_kernelIfDF16_sfTnPFfRKT2_EXadL_ZNS_11silu_kernelIfEEfRKT_EELi8EEEvPT0_PS8_PKT1_PS2_il,@function
_ZN5aiter23act_and_mul_bias_kernelIfDF16_sfTnPFfRKT2_EXadL_ZNS_11silu_kernelIfEEfRKT_EELi8EEEvPT0_PS8_PKT1_PS2_il: ; @_ZN5aiter23act_and_mul_bias_kernelIfDF16_sfTnPFfRKT2_EXadL_ZNS_11silu_kernelIfEEfRKT_EELi8EEEvPT0_PS8_PKT1_PS2_il
; %bb.0:
	s_load_dwordx2 s[4:5], s[0:1], 0x10
	s_load_dword s14, s[0:1], 0x20
	s_load_dwordx2 s[8:9], s[0:1], 0x28
	s_mov_b32 s3, 0
	s_lshl_b64 s[6:7], s[2:3], 1
	s_waitcnt lgkmcnt(0)
	s_add_u32 s4, s4, s6
	s_addc_u32 s5, s5, s7
	v_mov_b32_e32 v1, 0
	global_load_ushort v1, v1, s[4:5]
	s_load_dwordx2 s[10:11], s[0:1], 0x0
	s_ashr_i32 s15, s14, 31
	s_mul_hi_u32 s3, s14, s2
	s_mul_i32 s5, s15, s2
	s_mul_i32 s4, s14, s2
	s_add_i32 s5, s3, s5
	v_mov_b64_e32 v[2:3], s[8:9]
	s_lshl_b64 s[8:9], s[4:5], 1
	s_mov_b64 s[6:7], -1
	v_lshlrev_b32_e32 v4, 3, v0
	s_waitcnt vmcnt(0)
	v_readfirstlane_b32 s3, v1
	s_sext_i32_i16 s4, s3
	s_ashr_i32 s5, s4, 31
	s_waitcnt lgkmcnt(0)
	s_add_u32 s16, s10, s8
	v_cmp_lt_i64_e32 vcc, s[4:5], v[2:3]
	s_addc_u32 s3, s11, s9
	s_add_i32 s5, s14, 1
	s_lshr_b32 s8, s5, 31
	s_add_i32 s5, s5, s8
	s_and_b32 s17, s3, 0xffff
	s_lshl_b32 s3, s5, 1
	s_and_b32 s18, s3, -4
	s_cmp_gt_i32 s4, -1
	s_cselect_b64 s[8:9], -1, 0
	s_and_b64 s[8:9], s[8:9], vcc
	s_and_b64 vcc, exec, s[8:9]
	s_cbranch_vccnz .LBB142_5
; %bb.1:
	v_cmp_gt_i32_e32 vcc, s14, v4
	s_and_saveexec_b64 s[6:7], vcc
	s_cbranch_execz .LBB142_4
; %bb.2:
	s_load_dword s3, s[0:1], 0x3c
	v_mov_b32_e32 v5, 0
	s_mov_b32 s9, 0
	v_lshlrev_b32_e32 v8, 4, v0
	s_mov_b64 s[10:11], 0
	s_waitcnt lgkmcnt(0)
	s_and_b32 s3, s3, 0xffff
	s_lshl_b32 s8, s3, 3
	s_lshl_b32 s3, s3, 4
	s_mov_b32 s19, 0x20000
	v_mov_b32_e32 v0, v5
	v_mov_b32_e32 v1, v5
	;; [unrolled: 1-line block ×4, first 2 shown]
	v_mov_b64_e32 v[6:7], v[4:5]
.LBB142_3:                              ; =>This Inner Loop Header: Depth=1
	v_lshl_add_u64 v[6:7], s[8:9], 0, v[6:7]
	v_cmp_le_i64_e32 vcc, s[14:15], v[6:7]
	buffer_store_dwordx4 v[0:3], v8, s[16:19], 0 offen
	s_or_b64 s[10:11], vcc, s[10:11]
	v_add_u32_e32 v8, s3, v8
	s_andn2_b64 exec, exec, s[10:11]
	s_cbranch_execnz .LBB142_3
.LBB142_4:
	s_or_b64 exec, exec, s[6:7]
	s_mov_b64 s[6:7], 0
.LBB142_5:
	s_andn2_b64 vcc, exec, s[6:7]
	s_cbranch_vccnz .LBB142_9
; %bb.6:
	v_cmp_gt_i32_e32 vcc, s14, v4
	s_and_saveexec_b64 s[6:7], vcc
	s_cbranch_execz .LBB142_9
; %bb.7:
	s_load_dwordx2 s[6:7], s[0:1], 0x8
	s_load_dwordx2 s[8:9], s[0:1], 0x18
	s_mul_hi_i32 s5, s14, s4
	s_mul_i32 s4, s14, s4
	s_lshl_b32 s22, s14, 2
	s_lshl_b64 s[4:5], s[4:5], 3
	s_waitcnt lgkmcnt(0)
	s_add_u32 s24, s8, s4
	s_addc_u32 s3, s9, s5
	s_lshl_b64 s[4:5], s[14:15], 2
	s_add_u32 s20, s24, s4
	s_addc_u32 s8, s3, s5
	s_and_b32 s25, s3, 0xffff
	s_and_b32 s21, s8, 0xffff
	s_mul_i32 s3, s2, s15
	s_mul_hi_u32 s8, s2, s14
	s_add_i32 s3, s8, s3
	s_mul_i32 s2, s2, s14
	s_lshl_b64 s[2:3], s[2:3], 3
	s_add_u32 s28, s6, s2
	s_addc_u32 s2, s7, s3
	s_add_u32 s36, s28, s4
	s_addc_u32 s3, s2, s5
	s_and_b32 s29, s2, 0xffff
	s_and_b32 s37, s3, 0xffff
	s_mov_b32 s19, 0x20000
	s_add_u32 s34, s0, 48
	s_mov_b32 s23, s19
	v_mov_b32_e32 v5, 0
	s_addc_u32 s35, s1, 0
	s_mov_b64 s[40:41], 0
	s_mov_b32 s30, s22
	s_mov_b32 s31, s19
	;; [unrolled: 1-line block ×6, first 2 shown]
	v_mov_b32_e32 v10, 0x7f800000
	s_mov_b32 s38, s22
	s_mov_b32 s39, s19
	;; [unrolled: 1-line block ×4, first 2 shown]
.LBB142_8:                              ; =>This Inner Loop Header: Depth=1
	v_lshlrev_b32_e32 v0, 2, v4
	buffer_load_dwordx4 v[6:9], v0, s[20:23], 0 offen
	buffer_load_dwordx4 v[12:15], v0, s[36:39], 0 offen
	;; [unrolled: 1-line block ×8, first 2 shown]
	v_lshlrev_b32_e32 v11, 1, v4
	s_waitcnt vmcnt(6)
	v_pk_add_f32 v[0:1], v[14:15], v[8:9]
	v_pk_add_f32 v[2:3], v[12:13], v[6:7]
	s_waitcnt vmcnt(4)
	v_pk_add_f32 v[12:13], v[18:19], v[22:23]
	v_pk_add_f32 v[14:15], v[16:17], v[20:21]
	;; [unrolled: 3-line block ×4, first 2 shown]
	v_mul_f32_e32 v20, 0xbfb8aa3b, v14
	v_mul_f32_e32 v21, 0xbfb8aa3b, v15
	;; [unrolled: 1-line block ×8, first 2 shown]
	v_fma_f32 v28, v14, s33, -v20
	v_rndne_f32_e32 v29, v20
	v_fma_f32 v30, v15, s33, -v21
	v_rndne_f32_e32 v31, v21
	;; [unrolled: 2-line block ×8, first 2 shown]
	v_fmac_f32_e32 v28, 0xb2a5705f, v14
	v_sub_f32_e32 v20, v20, v29
	v_fmac_f32_e32 v30, 0xb2a5705f, v15
	v_sub_f32_e32 v21, v21, v31
	v_fmac_f32_e32 v32, 0xb2a5705f, v12
	v_sub_f32_e32 v22, v22, v33
	v_fmac_f32_e32 v34, 0xb2a5705f, v13
	v_sub_f32_e32 v23, v23, v35
	v_fmac_f32_e32 v36, 0xb2a5705f, v18
	v_sub_f32_e32 v24, v24, v37
	v_fmac_f32_e32 v38, 0xb2a5705f, v19
	v_sub_f32_e32 v25, v25, v39
	v_fmac_f32_e32 v40, 0xb2a5705f, v16
	v_sub_f32_e32 v26, v26, v41
	v_fmac_f32_e32 v42, 0xb2a5705f, v17
	v_sub_f32_e32 v27, v27, v43
	v_add_f32_e32 v20, v20, v28
	v_add_f32_e32 v21, v21, v30
	;; [unrolled: 1-line block ×8, first 2 shown]
	v_cvt_i32_f32_e32 v29, v29
	v_cvt_i32_f32_e32 v31, v31
	;; [unrolled: 1-line block ×8, first 2 shown]
	v_exp_f32_e32 v20, v20
	v_exp_f32_e32 v21, v21
	;; [unrolled: 1-line block ×8, first 2 shown]
	v_ldexp_f32 v20, v20, v29
	v_ldexp_f32 v21, v21, v31
	v_cmp_nlt_f32_e32 vcc, s44, v15
	v_ldexp_f32 v22, v22, v33
	v_cmp_nlt_f32_e64 s[0:1], s44, v12
	v_ldexp_f32 v23, v23, v35
	v_cmp_nlt_f32_e64 s[2:3], s44, v13
	;; [unrolled: 2-line block ×6, first 2 shown]
	v_cmp_nlt_f32_e64 s[12:13], s44, v14
	v_cndmask_b32_e32 v21, 0, v21, vcc
	v_cmp_ngt_f32_e32 vcc, s45, v15
	v_cndmask_b32_e64 v20, 0, v20, s[12:13]
	v_cndmask_b32_e64 v22, 0, v22, s[0:1]
	v_cmp_ngt_f32_e64 s[0:1], s45, v12
	v_cndmask_b32_e64 v23, 0, v23, s[2:3]
	v_cmp_ngt_f32_e64 s[2:3], s45, v13
	;; [unrolled: 2-line block ×6, first 2 shown]
	v_cmp_ngt_f32_e64 s[12:13], s45, v14
	v_cndmask_b32_e32 v21, v10, v21, vcc
	v_cndmask_b32_e64 v22, v10, v22, s[0:1]
	v_cndmask_b32_e64 v20, v10, v20, s[12:13]
	;; [unrolled: 1-line block ×7, first 2 shown]
	v_add_f32_e32 v20, 1.0, v20
	v_add_f32_e32 v21, 1.0, v21
	;; [unrolled: 1-line block ×8, first 2 shown]
	v_rcp_f32_e32 v20, v20
	v_rcp_f32_e32 v21, v21
	;; [unrolled: 1-line block ×8, first 2 shown]
	v_pk_mul_f32 v[14:15], v[14:15], v[20:21]
	v_pk_mul_f32 v[12:13], v[12:13], v[22:23]
	;; [unrolled: 1-line block ×4, first 2 shown]
	;;#ASMSTART
	v_pk_mul_f32 v[2:3], v[14:15], v[2:3]
	;;#ASMEND
	;;#ASMSTART
	v_pk_mul_f32 v[0:1], v[12:13], v[0:1]
	;;#ASMEND
	;; [unrolled: 3-line block ×3, first 2 shown]
	s_nop 0
	;;#ASMSTART
	v_pk_mul_f32 v[6:7], v[16:17], v[6:7]
	;;#ASMEND
	s_load_dword s0, s[34:35], 0xc
	v_cvt_f16_f32_e32 v2, v2
	v_cvt_f16_f32_e32 v12, v3
	;; [unrolled: 1-line block ×8, first 2 shown]
	s_waitcnt lgkmcnt(0)
	s_and_b32 s0, s0, 0xffff
	s_lshl_b32 s42, s0, 3
	v_lshl_add_u64 v[4:5], s[42:43], 0, v[4:5]
	v_cmp_le_i64_e32 vcc, s[14:15], v[4:5]
	v_pack_b32_f16 v1, v0, v1
	v_pack_b32_f16 v3, v3, v6
	;; [unrolled: 1-line block ×4, first 2 shown]
	s_or_b64 s[40:41], vcc, s[40:41]
	buffer_store_dwordx4 v[0:3], v11, s[16:19], 0 offen
	s_andn2_b64 exec, exec, s[40:41]
	s_cbranch_execnz .LBB142_8
.LBB142_9:
	s_endpgm
	.section	.rodata,"a",@progbits
	.p2align	6, 0x0
	.amdhsa_kernel _ZN5aiter23act_and_mul_bias_kernelIfDF16_sfTnPFfRKT2_EXadL_ZNS_11silu_kernelIfEEfRKT_EELi8EEEvPT0_PS8_PKT1_PS2_il
		.amdhsa_group_segment_fixed_size 0
		.amdhsa_private_segment_fixed_size 0
		.amdhsa_kernarg_size 304
		.amdhsa_user_sgpr_count 2
		.amdhsa_user_sgpr_dispatch_ptr 0
		.amdhsa_user_sgpr_queue_ptr 0
		.amdhsa_user_sgpr_kernarg_segment_ptr 1
		.amdhsa_user_sgpr_dispatch_id 0
		.amdhsa_user_sgpr_kernarg_preload_length 0
		.amdhsa_user_sgpr_kernarg_preload_offset 0
		.amdhsa_user_sgpr_private_segment_size 0
		.amdhsa_uses_dynamic_stack 0
		.amdhsa_enable_private_segment 0
		.amdhsa_system_sgpr_workgroup_id_x 1
		.amdhsa_system_sgpr_workgroup_id_y 0
		.amdhsa_system_sgpr_workgroup_id_z 0
		.amdhsa_system_sgpr_workgroup_info 0
		.amdhsa_system_vgpr_workitem_id 0
		.amdhsa_next_free_vgpr 44
		.amdhsa_next_free_sgpr 46
		.amdhsa_accum_offset 44
		.amdhsa_reserve_vcc 1
		.amdhsa_float_round_mode_32 0
		.amdhsa_float_round_mode_16_64 0
		.amdhsa_float_denorm_mode_32 3
		.amdhsa_float_denorm_mode_16_64 3
		.amdhsa_dx10_clamp 1
		.amdhsa_ieee_mode 1
		.amdhsa_fp16_overflow 0
		.amdhsa_tg_split 0
		.amdhsa_exception_fp_ieee_invalid_op 0
		.amdhsa_exception_fp_denorm_src 0
		.amdhsa_exception_fp_ieee_div_zero 0
		.amdhsa_exception_fp_ieee_overflow 0
		.amdhsa_exception_fp_ieee_underflow 0
		.amdhsa_exception_fp_ieee_inexact 0
		.amdhsa_exception_int_div_zero 0
	.end_amdhsa_kernel
	.section	.text._ZN5aiter23act_and_mul_bias_kernelIfDF16_sfTnPFfRKT2_EXadL_ZNS_11silu_kernelIfEEfRKT_EELi8EEEvPT0_PS8_PKT1_PS2_il,"axG",@progbits,_ZN5aiter23act_and_mul_bias_kernelIfDF16_sfTnPFfRKT2_EXadL_ZNS_11silu_kernelIfEEfRKT_EELi8EEEvPT0_PS8_PKT1_PS2_il,comdat
.Lfunc_end142:
	.size	_ZN5aiter23act_and_mul_bias_kernelIfDF16_sfTnPFfRKT2_EXadL_ZNS_11silu_kernelIfEEfRKT_EELi8EEEvPT0_PS8_PKT1_PS2_il, .Lfunc_end142-_ZN5aiter23act_and_mul_bias_kernelIfDF16_sfTnPFfRKT2_EXadL_ZNS_11silu_kernelIfEEfRKT_EELi8EEEvPT0_PS8_PKT1_PS2_il
                                        ; -- End function
	.section	.AMDGPU.csdata,"",@progbits
; Kernel info:
; codeLenInByte = 1604
; NumSgprs: 52
; NumVgprs: 44
; NumAgprs: 0
; TotalNumVgprs: 44
; ScratchSize: 0
; MemoryBound: 0
; FloatMode: 240
; IeeeMode: 1
; LDSByteSize: 0 bytes/workgroup (compile time only)
; SGPRBlocks: 6
; VGPRBlocks: 5
; NumSGPRsForWavesPerEU: 52
; NumVGPRsForWavesPerEU: 44
; AccumOffset: 44
; Occupancy: 8
; WaveLimiterHint : 0
; COMPUTE_PGM_RSRC2:SCRATCH_EN: 0
; COMPUTE_PGM_RSRC2:USER_SGPR: 2
; COMPUTE_PGM_RSRC2:TRAP_HANDLER: 0
; COMPUTE_PGM_RSRC2:TGID_X_EN: 1
; COMPUTE_PGM_RSRC2:TGID_Y_EN: 0
; COMPUTE_PGM_RSRC2:TGID_Z_EN: 0
; COMPUTE_PGM_RSRC2:TIDIG_COMP_CNT: 0
; COMPUTE_PGM_RSRC3_GFX90A:ACCUM_OFFSET: 10
; COMPUTE_PGM_RSRC3_GFX90A:TG_SPLIT: 0
	.section	.text._ZN5aiter23act_and_mul_bias_kernelIfDF16_sfTnPFfRKT2_EXadL_ZNS_11silu_kernelIfEEfRKT_EELi4EEEvPT0_PS8_PKT1_PS2_il,"axG",@progbits,_ZN5aiter23act_and_mul_bias_kernelIfDF16_sfTnPFfRKT2_EXadL_ZNS_11silu_kernelIfEEfRKT_EELi4EEEvPT0_PS8_PKT1_PS2_il,comdat
	.protected	_ZN5aiter23act_and_mul_bias_kernelIfDF16_sfTnPFfRKT2_EXadL_ZNS_11silu_kernelIfEEfRKT_EELi4EEEvPT0_PS8_PKT1_PS2_il ; -- Begin function _ZN5aiter23act_and_mul_bias_kernelIfDF16_sfTnPFfRKT2_EXadL_ZNS_11silu_kernelIfEEfRKT_EELi4EEEvPT0_PS8_PKT1_PS2_il
	.globl	_ZN5aiter23act_and_mul_bias_kernelIfDF16_sfTnPFfRKT2_EXadL_ZNS_11silu_kernelIfEEfRKT_EELi4EEEvPT0_PS8_PKT1_PS2_il
	.p2align	8
	.type	_ZN5aiter23act_and_mul_bias_kernelIfDF16_sfTnPFfRKT2_EXadL_ZNS_11silu_kernelIfEEfRKT_EELi4EEEvPT0_PS8_PKT1_PS2_il,@function
_ZN5aiter23act_and_mul_bias_kernelIfDF16_sfTnPFfRKT2_EXadL_ZNS_11silu_kernelIfEEfRKT_EELi4EEEvPT0_PS8_PKT1_PS2_il: ; @_ZN5aiter23act_and_mul_bias_kernelIfDF16_sfTnPFfRKT2_EXadL_ZNS_11silu_kernelIfEEfRKT_EELi4EEEvPT0_PS8_PKT1_PS2_il
; %bb.0:
	s_load_dwordx2 s[4:5], s[0:1], 0x10
	s_load_dword s6, s[0:1], 0x20
	s_load_dwordx2 s[8:9], s[0:1], 0x28
	s_mov_b32 s3, 0
	s_lshl_b64 s[10:11], s[2:3], 1
	s_waitcnt lgkmcnt(0)
	s_add_u32 s4, s4, s10
	s_addc_u32 s5, s5, s11
	v_mov_b32_e32 v1, 0
	global_load_ushort v1, v1, s[4:5]
	s_load_dwordx2 s[10:11], s[0:1], 0x0
	s_ashr_i32 s7, s6, 31
	s_mul_hi_u32 s3, s6, s2
	s_mul_i32 s5, s7, s2
	s_mul_i32 s4, s6, s2
	s_add_i32 s5, s3, s5
	v_mov_b64_e32 v[2:3], s[8:9]
	s_lshl_b64 s[8:9], s[4:5], 1
	s_mov_b64 s[12:13], -1
	s_waitcnt vmcnt(0)
	v_readfirstlane_b32 s3, v1
	s_sext_i32_i16 s4, s3
	s_ashr_i32 s5, s4, 31
	s_waitcnt lgkmcnt(0)
	s_add_u32 s8, s10, s8
	v_cmp_lt_i64_e32 vcc, s[4:5], v[2:3]
	s_addc_u32 s3, s11, s9
	s_add_i32 s5, s6, 1
	s_lshr_b32 s10, s5, 31
	s_add_i32 s5, s5, s10
	s_and_b32 s9, s3, 0xffff
	s_lshl_b32 s3, s5, 1
	s_and_b32 s10, s3, -4
	s_cmp_gt_i32 s4, -1
	s_cselect_b64 s[14:15], -1, 0
	s_and_b64 s[14:15], s[14:15], vcc
	s_and_b64 vcc, exec, s[14:15]
	v_lshlrev_b32_e32 v2, 2, v0
	s_cbranch_vccnz .LBB143_5
; %bb.1:
	v_cmp_gt_i32_e32 vcc, s6, v2
	s_and_saveexec_b64 s[12:13], vcc
	s_cbranch_execz .LBB143_4
; %bb.2:
	s_load_dword s3, s[0:1], 0x3c
	v_mov_b32_e32 v3, 0
	s_mov_b32 s15, 0
	v_lshlrev_b32_e32 v6, 3, v0
	s_mov_b64 s[16:17], 0
	s_waitcnt lgkmcnt(0)
	s_and_b32 s3, s3, 0xffff
	s_lshl_b32 s14, s3, 2
	s_lshl_b32 s3, s3, 3
	s_mov_b32 s11, 0x20000
	v_mov_b32_e32 v0, v3
	v_mov_b32_e32 v1, v3
	v_mov_b64_e32 v[4:5], v[2:3]
.LBB143_3:                              ; =>This Inner Loop Header: Depth=1
	v_lshl_add_u64 v[4:5], s[14:15], 0, v[4:5]
	v_cmp_le_i64_e32 vcc, s[6:7], v[4:5]
	buffer_store_dwordx2 v[0:1], v6, s[8:11], 0 offen
	s_or_b64 s[16:17], vcc, s[16:17]
	v_add_u32_e32 v6, s3, v6
	s_andn2_b64 exec, exec, s[16:17]
	s_cbranch_execnz .LBB143_3
.LBB143_4:
	s_or_b64 exec, exec, s[12:13]
	s_mov_b64 s[12:13], 0
.LBB143_5:
	s_andn2_b64 vcc, exec, s[12:13]
	s_cbranch_vccnz .LBB143_9
; %bb.6:
	v_cmp_gt_i32_e32 vcc, s6, v2
	s_and_saveexec_b64 s[12:13], vcc
	s_cbranch_execz .LBB143_9
; %bb.7:
	s_load_dwordx2 s[18:19], s[0:1], 0x8
	s_load_dwordx2 s[12:13], s[0:1], 0x18
	s_mul_hi_i32 s5, s6, s4
	s_mul_i32 s4, s6, s4
	s_lshl_b32 s14, s6, 2
	s_lshl_b64 s[4:5], s[4:5], 3
	s_waitcnt lgkmcnt(0)
	s_add_u32 s16, s12, s4
	s_addc_u32 s3, s13, s5
	s_lshl_b64 s[4:5], s[6:7], 2
	s_add_u32 s12, s16, s4
	s_addc_u32 s13, s3, s5
	s_and_b32 s17, s3, 0xffff
	s_mul_i32 s3, s2, s7
	s_mul_hi_u32 s20, s2, s6
	s_add_i32 s3, s20, s3
	s_mul_i32 s2, s2, s6
	s_and_b32 s13, s13, 0xffff
	s_lshl_b64 s[2:3], s[2:3], 3
	s_add_u32 s20, s18, s2
	s_addc_u32 s2, s19, s3
	s_add_u32 s24, s20, s4
	s_addc_u32 s3, s2, s5
	s_and_b32 s21, s2, 0xffff
	s_and_b32 s25, s3, 0xffff
	s_mov_b32 s11, 0x20000
	s_add_u32 s28, s0, 48
	s_mov_b32 s15, s11
	v_mov_b32_e32 v3, 0
	s_addc_u32 s29, s1, 0
	s_mov_b64 s[30:31], 0
	s_mov_b32 s22, s14
	s_mov_b32 s23, s11
	;; [unrolled: 1-line block ×6, first 2 shown]
	v_mov_b32_e32 v0, 0x7f800000
	s_mov_b32 s26, s14
	s_mov_b32 s27, s11
	;; [unrolled: 1-line block ×4, first 2 shown]
.LBB143_8:                              ; =>This Inner Loop Header: Depth=1
	v_lshlrev_b32_e32 v1, 2, v2
	buffer_load_dwordx4 v[4:7], v1, s[20:23], 0 offen
	buffer_load_dwordx4 v[8:11], v1, s[24:27], 0 offen
	;; [unrolled: 1-line block ×4, first 2 shown]
	v_lshlrev_b32_e32 v1, 1, v2
	s_waitcnt vmcnt(1)
	v_pk_add_f32 v[6:7], v[6:7], v[14:15]
	v_pk_add_f32 v[4:5], v[4:5], v[12:13]
	v_mul_f32_e32 v14, 0xbfb8aa3b, v6
	v_mul_f32_e32 v12, 0xbfb8aa3b, v4
	;; [unrolled: 1-line block ×4, first 2 shown]
	s_waitcnt vmcnt(0)
	v_pk_add_f32 v[10:11], v[10:11], v[18:19]
	v_pk_add_f32 v[8:9], v[8:9], v[16:17]
	v_fma_f32 v16, v4, s33, -v12
	v_rndne_f32_e32 v17, v12
	v_fma_f32 v18, v5, s33, -v13
	v_rndne_f32_e32 v19, v13
	;; [unrolled: 2-line block ×4, first 2 shown]
	v_fmac_f32_e32 v16, 0xb2a5705f, v4
	v_sub_f32_e32 v12, v12, v17
	v_fmac_f32_e32 v18, 0xb2a5705f, v5
	v_sub_f32_e32 v13, v13, v19
	;; [unrolled: 2-line block ×4, first 2 shown]
	v_add_f32_e32 v12, v12, v16
	v_add_f32_e32 v13, v13, v18
	;; [unrolled: 1-line block ×4, first 2 shown]
	v_cvt_i32_f32_e32 v17, v17
	v_cvt_i32_f32_e32 v19, v19
	;; [unrolled: 1-line block ×4, first 2 shown]
	v_exp_f32_e32 v12, v12
	v_exp_f32_e32 v13, v13
	;; [unrolled: 1-line block ×4, first 2 shown]
	v_ldexp_f32 v12, v12, v17
	v_ldexp_f32 v13, v13, v19
	v_cmp_nlt_f32_e32 vcc, s36, v5
	v_ldexp_f32 v14, v14, v21
	v_cmp_nlt_f32_e64 s[0:1], s36, v6
	v_ldexp_f32 v15, v15, v23
	v_cmp_nlt_f32_e64 s[2:3], s36, v7
	v_cmp_nlt_f32_e64 s[4:5], s36, v4
	v_cndmask_b32_e32 v13, 0, v13, vcc
	v_cmp_ngt_f32_e32 vcc, s37, v5
	v_cndmask_b32_e64 v12, 0, v12, s[4:5]
	v_cndmask_b32_e64 v14, 0, v14, s[0:1]
	v_cmp_ngt_f32_e64 s[0:1], s37, v6
	v_cndmask_b32_e64 v15, 0, v15, s[2:3]
	v_cmp_ngt_f32_e64 s[2:3], s37, v7
	v_cmp_ngt_f32_e64 s[4:5], s37, v4
	v_cndmask_b32_e32 v13, v0, v13, vcc
	v_cndmask_b32_e64 v14, v0, v14, s[0:1]
	v_cndmask_b32_e64 v12, v0, v12, s[4:5]
	;; [unrolled: 1-line block ×3, first 2 shown]
	v_add_f32_e32 v12, 1.0, v12
	v_add_f32_e32 v13, 1.0, v13
	;; [unrolled: 1-line block ×4, first 2 shown]
	v_rcp_f32_e32 v12, v12
	v_rcp_f32_e32 v13, v13
	;; [unrolled: 1-line block ×4, first 2 shown]
	v_pk_mul_f32 v[4:5], v[4:5], v[12:13]
	s_nop 0
	;;#ASMSTART
	v_pk_mul_f32 v[4:5], v[4:5], v[8:9]
	;;#ASMEND
	v_pk_mul_f32 v[6:7], v[6:7], v[14:15]
	v_cvt_f16_f32_e32 v4, v4
	;;#ASMSTART
	v_pk_mul_f32 v[6:7], v[6:7], v[10:11]
	;;#ASMEND
	s_load_dword s0, s[28:29], 0xc
	v_cvt_f16_f32_e32 v6, v6
	v_cvt_f16_f32_e32 v7, v7
	v_cvt_f16_f32_e32 v8, v5
	s_waitcnt lgkmcnt(0)
	s_and_b32 s0, s0, 0xffff
	s_lshl_b32 s34, s0, 2
	v_lshl_add_u64 v[2:3], s[34:35], 0, v[2:3]
	v_cmp_le_i64_e32 vcc, s[6:7], v[2:3]
	v_pack_b32_f16 v5, v6, v7
	v_pack_b32_f16 v4, v4, v8
	s_or_b64 s[30:31], vcc, s[30:31]
	buffer_store_dwordx2 v[4:5], v1, s[8:11], 0 offen
	s_andn2_b64 exec, exec, s[30:31]
	s_cbranch_execnz .LBB143_8
.LBB143_9:
	s_endpgm
	.section	.rodata,"a",@progbits
	.p2align	6, 0x0
	.amdhsa_kernel _ZN5aiter23act_and_mul_bias_kernelIfDF16_sfTnPFfRKT2_EXadL_ZNS_11silu_kernelIfEEfRKT_EELi4EEEvPT0_PS8_PKT1_PS2_il
		.amdhsa_group_segment_fixed_size 0
		.amdhsa_private_segment_fixed_size 0
		.amdhsa_kernarg_size 304
		.amdhsa_user_sgpr_count 2
		.amdhsa_user_sgpr_dispatch_ptr 0
		.amdhsa_user_sgpr_queue_ptr 0
		.amdhsa_user_sgpr_kernarg_segment_ptr 1
		.amdhsa_user_sgpr_dispatch_id 0
		.amdhsa_user_sgpr_kernarg_preload_length 0
		.amdhsa_user_sgpr_kernarg_preload_offset 0
		.amdhsa_user_sgpr_private_segment_size 0
		.amdhsa_uses_dynamic_stack 0
		.amdhsa_enable_private_segment 0
		.amdhsa_system_sgpr_workgroup_id_x 1
		.amdhsa_system_sgpr_workgroup_id_y 0
		.amdhsa_system_sgpr_workgroup_id_z 0
		.amdhsa_system_sgpr_workgroup_info 0
		.amdhsa_system_vgpr_workitem_id 0
		.amdhsa_next_free_vgpr 24
		.amdhsa_next_free_sgpr 38
		.amdhsa_accum_offset 24
		.amdhsa_reserve_vcc 1
		.amdhsa_float_round_mode_32 0
		.amdhsa_float_round_mode_16_64 0
		.amdhsa_float_denorm_mode_32 3
		.amdhsa_float_denorm_mode_16_64 3
		.amdhsa_dx10_clamp 1
		.amdhsa_ieee_mode 1
		.amdhsa_fp16_overflow 0
		.amdhsa_tg_split 0
		.amdhsa_exception_fp_ieee_invalid_op 0
		.amdhsa_exception_fp_denorm_src 0
		.amdhsa_exception_fp_ieee_div_zero 0
		.amdhsa_exception_fp_ieee_overflow 0
		.amdhsa_exception_fp_ieee_underflow 0
		.amdhsa_exception_fp_ieee_inexact 0
		.amdhsa_exception_int_div_zero 0
	.end_amdhsa_kernel
	.section	.text._ZN5aiter23act_and_mul_bias_kernelIfDF16_sfTnPFfRKT2_EXadL_ZNS_11silu_kernelIfEEfRKT_EELi4EEEvPT0_PS8_PKT1_PS2_il,"axG",@progbits,_ZN5aiter23act_and_mul_bias_kernelIfDF16_sfTnPFfRKT2_EXadL_ZNS_11silu_kernelIfEEfRKT_EELi4EEEvPT0_PS8_PKT1_PS2_il,comdat
.Lfunc_end143:
	.size	_ZN5aiter23act_and_mul_bias_kernelIfDF16_sfTnPFfRKT2_EXadL_ZNS_11silu_kernelIfEEfRKT_EELi4EEEvPT0_PS8_PKT1_PS2_il, .Lfunc_end143-_ZN5aiter23act_and_mul_bias_kernelIfDF16_sfTnPFfRKT2_EXadL_ZNS_11silu_kernelIfEEfRKT_EELi4EEEvPT0_PS8_PKT1_PS2_il
                                        ; -- End function
	.section	.AMDGPU.csdata,"",@progbits
; Kernel info:
; codeLenInByte = 1092
; NumSgprs: 44
; NumVgprs: 24
; NumAgprs: 0
; TotalNumVgprs: 24
; ScratchSize: 0
; MemoryBound: 0
; FloatMode: 240
; IeeeMode: 1
; LDSByteSize: 0 bytes/workgroup (compile time only)
; SGPRBlocks: 5
; VGPRBlocks: 2
; NumSGPRsForWavesPerEU: 44
; NumVGPRsForWavesPerEU: 24
; AccumOffset: 24
; Occupancy: 8
; WaveLimiterHint : 0
; COMPUTE_PGM_RSRC2:SCRATCH_EN: 0
; COMPUTE_PGM_RSRC2:USER_SGPR: 2
; COMPUTE_PGM_RSRC2:TRAP_HANDLER: 0
; COMPUTE_PGM_RSRC2:TGID_X_EN: 1
; COMPUTE_PGM_RSRC2:TGID_Y_EN: 0
; COMPUTE_PGM_RSRC2:TGID_Z_EN: 0
; COMPUTE_PGM_RSRC2:TIDIG_COMP_CNT: 0
; COMPUTE_PGM_RSRC3_GFX90A:ACCUM_OFFSET: 5
; COMPUTE_PGM_RSRC3_GFX90A:TG_SPLIT: 0
	.section	.text._ZN5aiter23act_and_mul_bias_kernelIfDF16_sfTnPFfRKT2_EXadL_ZNS_11silu_kernelIfEEfRKT_EELi2EEEvPT0_PS8_PKT1_PS2_il,"axG",@progbits,_ZN5aiter23act_and_mul_bias_kernelIfDF16_sfTnPFfRKT2_EXadL_ZNS_11silu_kernelIfEEfRKT_EELi2EEEvPT0_PS8_PKT1_PS2_il,comdat
	.protected	_ZN5aiter23act_and_mul_bias_kernelIfDF16_sfTnPFfRKT2_EXadL_ZNS_11silu_kernelIfEEfRKT_EELi2EEEvPT0_PS8_PKT1_PS2_il ; -- Begin function _ZN5aiter23act_and_mul_bias_kernelIfDF16_sfTnPFfRKT2_EXadL_ZNS_11silu_kernelIfEEfRKT_EELi2EEEvPT0_PS8_PKT1_PS2_il
	.globl	_ZN5aiter23act_and_mul_bias_kernelIfDF16_sfTnPFfRKT2_EXadL_ZNS_11silu_kernelIfEEfRKT_EELi2EEEvPT0_PS8_PKT1_PS2_il
	.p2align	8
	.type	_ZN5aiter23act_and_mul_bias_kernelIfDF16_sfTnPFfRKT2_EXadL_ZNS_11silu_kernelIfEEfRKT_EELi2EEEvPT0_PS8_PKT1_PS2_il,@function
_ZN5aiter23act_and_mul_bias_kernelIfDF16_sfTnPFfRKT2_EXadL_ZNS_11silu_kernelIfEEfRKT_EELi2EEEvPT0_PS8_PKT1_PS2_il: ; @_ZN5aiter23act_and_mul_bias_kernelIfDF16_sfTnPFfRKT2_EXadL_ZNS_11silu_kernelIfEEfRKT_EELi2EEEvPT0_PS8_PKT1_PS2_il
; %bb.0:
	s_load_dwordx2 s[4:5], s[0:1], 0x10
	s_load_dword s24, s[0:1], 0x20
	s_load_dwordx2 s[6:7], s[0:1], 0x28
	s_mov_b32 s3, 0
	s_lshl_b64 s[8:9], s[2:3], 1
	s_waitcnt lgkmcnt(0)
	s_add_u32 s4, s4, s8
	s_addc_u32 s5, s5, s9
	v_mov_b32_e32 v1, 0
	global_load_ushort v1, v1, s[4:5]
	s_load_dwordx2 s[4:5], s[0:1], 0x0
	s_ashr_i32 s25, s24, 31
	s_mul_hi_u32 s3, s24, s2
	v_mov_b64_e32 v[2:3], s[6:7]
	s_mul_i32 s6, s25, s2
	s_mul_i32 s8, s24, s2
	s_add_i32 s9, s3, s6
	s_lshl_b64 s[6:7], s[8:9], 1
	s_mov_b64 s[10:11], -1
	s_waitcnt vmcnt(0)
	v_readfirstlane_b32 s3, v1
	s_sext_i32_i16 s8, s3
	s_ashr_i32 s9, s8, 31
	s_waitcnt lgkmcnt(0)
	s_add_u32 s4, s4, s6
	s_addc_u32 s3, s5, s7
	s_add_i32 s6, s24, 1
	s_lshr_b32 s7, s6, 31
	s_add_i32 s6, s6, s7
	s_and_b32 s5, s3, 0xffff
	s_lshl_b32 s3, s6, 1
	s_and_b32 s6, s3, -4
	s_cmp_gt_i32 s8, -1
	v_cmp_lt_i64_e32 vcc, s[8:9], v[2:3]
	s_cselect_b64 s[12:13], -1, 0
	s_and_b64 s[12:13], s[12:13], vcc
	s_and_b64 vcc, exec, s[12:13]
	v_lshlrev_b32_e32 v2, 1, v0
	s_cbranch_vccnz .LBB144_5
; %bb.1:
	v_cmp_gt_i32_e32 vcc, s24, v2
	s_and_saveexec_b64 s[10:11], vcc
	s_cbranch_execz .LBB144_4
; %bb.2:
	s_load_dword s3, s[0:1], 0x3c
	v_mov_b32_e32 v3, 0
	s_mov_b32 s13, 0
	v_lshlrev_b32_e32 v4, 2, v0
	s_mov_b64 s[14:15], 0
	s_waitcnt lgkmcnt(0)
	s_and_b32 s3, s3, 0xffff
	s_lshl_b32 s12, s3, 1
	s_lshl_b32 s3, s3, 2
	s_mov_b32 s7, 0x20000
	v_mov_b64_e32 v[0:1], v[2:3]
.LBB144_3:                              ; =>This Inner Loop Header: Depth=1
	v_lshl_add_u64 v[0:1], s[12:13], 0, v[0:1]
	v_cmp_le_i64_e32 vcc, s[24:25], v[0:1]
	buffer_store_dword v3, v4, s[4:7], 0 offen
	s_or_b64 s[14:15], vcc, s[14:15]
	v_add_u32_e32 v4, s3, v4
	s_andn2_b64 exec, exec, s[14:15]
	s_cbranch_execnz .LBB144_3
.LBB144_4:
	s_or_b64 exec, exec, s[10:11]
	s_mov_b64 s[10:11], 0
.LBB144_5:
	s_andn2_b64 vcc, exec, s[10:11]
	s_cbranch_vccnz .LBB144_9
; %bb.6:
	v_cmp_gt_i32_e32 vcc, s24, v2
	s_and_saveexec_b64 s[10:11], vcc
	s_cbranch_execz .LBB144_9
; %bb.7:
	s_load_dwordx2 s[14:15], s[0:1], 0x8
	s_load_dwordx2 s[12:13], s[0:1], 0x18
	s_mul_hi_i32 s9, s24, s8
	s_mul_i32 s8, s24, s8
	s_lshl_b32 s10, s24, 2
	s_lshl_b64 s[8:9], s[8:9], 3
	s_waitcnt lgkmcnt(0)
	s_add_u32 s12, s12, s8
	s_addc_u32 s3, s13, s9
	s_lshl_b64 s[18:19], s[24:25], 2
	s_add_u32 s8, s12, s18
	s_addc_u32 s9, s3, s19
	s_and_b32 s13, s3, 0xffff
	s_mul_i32 s3, s2, s25
	s_mul_hi_u32 s16, s2, s24
	s_add_i32 s3, s16, s3
	s_mul_i32 s2, s2, s24
	s_and_b32 s9, s9, 0xffff
	s_lshl_b64 s[2:3], s[2:3], 3
	s_add_u32 s16, s14, s2
	s_addc_u32 s2, s15, s3
	s_add_u32 s20, s16, s18
	s_addc_u32 s3, s2, s19
	s_and_b32 s17, s2, 0xffff
	s_and_b32 s21, s3, 0xffff
	s_mov_b32 s7, 0x20000
	s_add_u32 s2, s0, 48
	s_mov_b32 s11, s7
	v_mov_b32_e32 v3, 0
	s_addc_u32 s3, s1, 0
	s_mov_b64 s[26:27], 0
	s_mov_b32 s18, s10
	s_mov_b32 s19, s7
	s_mov_b32 s29, 0
	s_mov_b32 s30, 0xbfb8aa3b
	s_mov_b32 s31, 0x42ce8ed0
	s_mov_b32 s33, 0xc2b17218
	v_mov_b32_e32 v0, 0x7f800000
	s_mov_b32 s22, s10
	s_mov_b32 s23, s7
	;; [unrolled: 1-line block ×4, first 2 shown]
.LBB144_8:                              ; =>This Inner Loop Header: Depth=1
	v_lshlrev_b32_e32 v1, 2, v2
	buffer_load_dwordx2 v[4:5], v1, s[16:19], 0 offen
	buffer_load_dwordx2 v[6:7], v1, s[20:23], 0 offen
	;; [unrolled: 1-line block ×4, first 2 shown]
	v_lshlrev_b32_e32 v1, 1, v2
	s_waitcnt vmcnt(1)
	v_pk_add_f32 v[4:5], v[4:5], v[8:9]
	s_nop 0
	v_mul_f32_e32 v8, 0xbfb8aa3b, v5
	v_mul_f32_e32 v9, 0xbfb8aa3b, v4
	s_waitcnt vmcnt(0)
	v_pk_add_f32 v[6:7], v[6:7], v[10:11]
	v_fma_f32 v10, v5, s30, -v8
	v_rndne_f32_e32 v11, v8
	v_fma_f32 v12, v4, s30, -v9
	v_rndne_f32_e32 v13, v9
	v_fmac_f32_e32 v10, 0xb2a5705f, v5
	v_sub_f32_e32 v8, v8, v11
	v_fmac_f32_e32 v12, 0xb2a5705f, v4
	v_sub_f32_e32 v9, v9, v13
	v_add_f32_e32 v8, v8, v10
	v_add_f32_e32 v9, v9, v12
	v_cvt_i32_f32_e32 v11, v11
	v_cvt_i32_f32_e32 v13, v13
	v_exp_f32_e32 v8, v8
	v_exp_f32_e32 v9, v9
	v_cmp_nlt_f32_e32 vcc, s31, v4
	v_cmp_nlt_f32_e64 s[0:1], s31, v5
	v_ldexp_f32 v8, v8, v11
	v_ldexp_f32 v9, v9, v13
	v_cndmask_b32_e64 v8, 0, v8, s[0:1]
	v_cndmask_b32_e32 v9, 0, v9, vcc
	v_cmp_ngt_f32_e32 vcc, s33, v4
	v_cmp_ngt_f32_e64 s[0:1], s33, v5
	s_nop 0
	v_cndmask_b32_e32 v9, v0, v9, vcc
	v_cndmask_b32_e64 v8, v0, v8, s[0:1]
	v_add_f32_e32 v8, 1.0, v8
	v_add_f32_e32 v10, 1.0, v9
	v_rcp_f32_e32 v9, v8
	v_rcp_f32_e32 v8, v10
	s_nop 0
	v_pk_mul_f32 v[4:5], v[4:5], v[8:9]
	s_nop 0
	;;#ASMSTART
	v_pk_mul_f32 v[4:5], v[4:5], v[6:7]
	;;#ASMEND
	s_load_dword s0, s[2:3], 0xc
	v_cvt_f16_f32_e32 v4, v4
	v_cvt_f16_f32_e32 v5, v5
	s_waitcnt lgkmcnt(0)
	s_and_b32 s0, s0, 0xffff
	s_lshl_b32 s28, s0, 1
	v_lshl_add_u64 v[2:3], s[28:29], 0, v[2:3]
	v_cmp_le_i64_e32 vcc, s[24:25], v[2:3]
	v_pack_b32_f16 v4, v4, v5
	s_or_b64 s[26:27], vcc, s[26:27]
	buffer_store_dword v4, v1, s[4:7], 0 offen
	s_andn2_b64 exec, exec, s[26:27]
	s_cbranch_execnz .LBB144_8
.LBB144_9:
	s_endpgm
	.section	.rodata,"a",@progbits
	.p2align	6, 0x0
	.amdhsa_kernel _ZN5aiter23act_and_mul_bias_kernelIfDF16_sfTnPFfRKT2_EXadL_ZNS_11silu_kernelIfEEfRKT_EELi2EEEvPT0_PS8_PKT1_PS2_il
		.amdhsa_group_segment_fixed_size 0
		.amdhsa_private_segment_fixed_size 0
		.amdhsa_kernarg_size 304
		.amdhsa_user_sgpr_count 2
		.amdhsa_user_sgpr_dispatch_ptr 0
		.amdhsa_user_sgpr_queue_ptr 0
		.amdhsa_user_sgpr_kernarg_segment_ptr 1
		.amdhsa_user_sgpr_dispatch_id 0
		.amdhsa_user_sgpr_kernarg_preload_length 0
		.amdhsa_user_sgpr_kernarg_preload_offset 0
		.amdhsa_user_sgpr_private_segment_size 0
		.amdhsa_uses_dynamic_stack 0
		.amdhsa_enable_private_segment 0
		.amdhsa_system_sgpr_workgroup_id_x 1
		.amdhsa_system_sgpr_workgroup_id_y 0
		.amdhsa_system_sgpr_workgroup_id_z 0
		.amdhsa_system_sgpr_workgroup_info 0
		.amdhsa_system_vgpr_workitem_id 0
		.amdhsa_next_free_vgpr 14
		.amdhsa_next_free_sgpr 34
		.amdhsa_accum_offset 16
		.amdhsa_reserve_vcc 1
		.amdhsa_float_round_mode_32 0
		.amdhsa_float_round_mode_16_64 0
		.amdhsa_float_denorm_mode_32 3
		.amdhsa_float_denorm_mode_16_64 3
		.amdhsa_dx10_clamp 1
		.amdhsa_ieee_mode 1
		.amdhsa_fp16_overflow 0
		.amdhsa_tg_split 0
		.amdhsa_exception_fp_ieee_invalid_op 0
		.amdhsa_exception_fp_denorm_src 0
		.amdhsa_exception_fp_ieee_div_zero 0
		.amdhsa_exception_fp_ieee_overflow 0
		.amdhsa_exception_fp_ieee_underflow 0
		.amdhsa_exception_fp_ieee_inexact 0
		.amdhsa_exception_int_div_zero 0
	.end_amdhsa_kernel
	.section	.text._ZN5aiter23act_and_mul_bias_kernelIfDF16_sfTnPFfRKT2_EXadL_ZNS_11silu_kernelIfEEfRKT_EELi2EEEvPT0_PS8_PKT1_PS2_il,"axG",@progbits,_ZN5aiter23act_and_mul_bias_kernelIfDF16_sfTnPFfRKT2_EXadL_ZNS_11silu_kernelIfEEfRKT_EELi2EEEvPT0_PS8_PKT1_PS2_il,comdat
.Lfunc_end144:
	.size	_ZN5aiter23act_and_mul_bias_kernelIfDF16_sfTnPFfRKT2_EXadL_ZNS_11silu_kernelIfEEfRKT_EELi2EEEvPT0_PS8_PKT1_PS2_il, .Lfunc_end144-_ZN5aiter23act_and_mul_bias_kernelIfDF16_sfTnPFfRKT2_EXadL_ZNS_11silu_kernelIfEEfRKT_EELi2EEEvPT0_PS8_PKT1_PS2_il
                                        ; -- End function
	.section	.AMDGPU.csdata,"",@progbits
; Kernel info:
; codeLenInByte = 864
; NumSgprs: 40
; NumVgprs: 14
; NumAgprs: 0
; TotalNumVgprs: 14
; ScratchSize: 0
; MemoryBound: 0
; FloatMode: 240
; IeeeMode: 1
; LDSByteSize: 0 bytes/workgroup (compile time only)
; SGPRBlocks: 4
; VGPRBlocks: 1
; NumSGPRsForWavesPerEU: 40
; NumVGPRsForWavesPerEU: 14
; AccumOffset: 16
; Occupancy: 8
; WaveLimiterHint : 0
; COMPUTE_PGM_RSRC2:SCRATCH_EN: 0
; COMPUTE_PGM_RSRC2:USER_SGPR: 2
; COMPUTE_PGM_RSRC2:TRAP_HANDLER: 0
; COMPUTE_PGM_RSRC2:TGID_X_EN: 1
; COMPUTE_PGM_RSRC2:TGID_Y_EN: 0
; COMPUTE_PGM_RSRC2:TGID_Z_EN: 0
; COMPUTE_PGM_RSRC2:TIDIG_COMP_CNT: 0
; COMPUTE_PGM_RSRC3_GFX90A:ACCUM_OFFSET: 3
; COMPUTE_PGM_RSRC3_GFX90A:TG_SPLIT: 0
	.section	.text._ZN5aiter23act_and_mul_bias_kernelIfDF16_sfTnPFfRKT2_EXadL_ZNS_11silu_kernelIfEEfRKT_EELi1EEEvPT0_PS8_PKT1_PS2_il,"axG",@progbits,_ZN5aiter23act_and_mul_bias_kernelIfDF16_sfTnPFfRKT2_EXadL_ZNS_11silu_kernelIfEEfRKT_EELi1EEEvPT0_PS8_PKT1_PS2_il,comdat
	.protected	_ZN5aiter23act_and_mul_bias_kernelIfDF16_sfTnPFfRKT2_EXadL_ZNS_11silu_kernelIfEEfRKT_EELi1EEEvPT0_PS8_PKT1_PS2_il ; -- Begin function _ZN5aiter23act_and_mul_bias_kernelIfDF16_sfTnPFfRKT2_EXadL_ZNS_11silu_kernelIfEEfRKT_EELi1EEEvPT0_PS8_PKT1_PS2_il
	.globl	_ZN5aiter23act_and_mul_bias_kernelIfDF16_sfTnPFfRKT2_EXadL_ZNS_11silu_kernelIfEEfRKT_EELi1EEEvPT0_PS8_PKT1_PS2_il
	.p2align	8
	.type	_ZN5aiter23act_and_mul_bias_kernelIfDF16_sfTnPFfRKT2_EXadL_ZNS_11silu_kernelIfEEfRKT_EELi1EEEvPT0_PS8_PKT1_PS2_il,@function
_ZN5aiter23act_and_mul_bias_kernelIfDF16_sfTnPFfRKT2_EXadL_ZNS_11silu_kernelIfEEfRKT_EELi1EEEvPT0_PS8_PKT1_PS2_il: ; @_ZN5aiter23act_and_mul_bias_kernelIfDF16_sfTnPFfRKT2_EXadL_ZNS_11silu_kernelIfEEfRKT_EELi1EEEvPT0_PS8_PKT1_PS2_il
; %bb.0:
	s_load_dwordx2 s[4:5], s[0:1], 0x10
	s_load_dword s20, s[0:1], 0x20
	s_load_dwordx2 s[8:9], s[0:1], 0x28
	s_mov_b32 s3, 0
	s_lshl_b64 s[6:7], s[2:3], 1
	s_waitcnt lgkmcnt(0)
	s_add_u32 s4, s4, s6
	s_addc_u32 s5, s5, s7
	v_mov_b32_e32 v1, 0
	global_load_ushort v1, v1, s[4:5]
	s_load_dwordx2 s[4:5], s[0:1], 0x0
	s_ashr_i32 s21, s20, 31
	s_mul_hi_u32 s3, s20, s2
	v_mov_b64_e32 v[2:3], s[8:9]
	s_mul_i32 s8, s21, s2
	s_add_i32 s11, s3, s8
	s_mul_i32 s10, s20, s2
	s_lshl_b64 s[8:9], s[10:11], 1
	s_mov_b64 s[6:7], -1
	s_waitcnt vmcnt(0)
	v_readfirstlane_b32 s3, v1
	s_sext_i32_i16 s12, s3
	s_ashr_i32 s13, s12, 31
	s_waitcnt lgkmcnt(0)
	s_add_u32 s8, s4, s8
	s_addc_u32 s3, s5, s9
	s_add_i32 s4, s20, 1
	s_lshr_b32 s5, s4, 31
	s_add_i32 s4, s4, s5
	s_and_b32 s9, s3, 0xffff
	s_lshl_b32 s3, s4, 1
	s_and_b32 s10, s3, -4
	s_cmp_gt_i32 s12, -1
	v_cmp_lt_i64_e32 vcc, s[12:13], v[2:3]
	s_cselect_b64 s[4:5], -1, 0
	s_and_b64 s[4:5], s[4:5], vcc
	s_and_b64 vcc, exec, s[4:5]
	v_cmp_gt_i32_e64 s[4:5], s20, v0
	s_cbranch_vccnz .LBB145_5
; %bb.1:
	s_and_saveexec_b64 s[6:7], s[4:5]
	s_cbranch_execz .LBB145_4
; %bb.2:
	s_load_dword s3, s[0:1], 0x3c
	v_mov_b32_e32 v1, 0
	s_mov_b32 s5, 0
	v_lshlrev_b32_e32 v4, 1, v0
	s_mov_b64 s[14:15], 0
	s_waitcnt lgkmcnt(0)
	s_and_b32 s4, s3, 0xffff
	s_lshl_b32 s3, s4, 1
	s_mov_b32 s11, 0x20000
	v_mov_b64_e32 v[2:3], v[0:1]
.LBB145_3:                              ; =>This Inner Loop Header: Depth=1
	v_lshl_add_u64 v[2:3], v[2:3], 0, s[4:5]
	v_cmp_le_i64_e32 vcc, s[20:21], v[2:3]
	buffer_store_short v1, v4, s[8:11], 0 offen
	s_or_b64 s[14:15], vcc, s[14:15]
	v_add_u32_e32 v4, s3, v4
	s_andn2_b64 exec, exec, s[14:15]
	s_cbranch_execnz .LBB145_3
.LBB145_4:
	s_or_b64 exec, exec, s[6:7]
	s_mov_b64 s[6:7], 0
.LBB145_5:
	s_andn2_b64 vcc, exec, s[6:7]
	s_cbranch_vccnz .LBB145_9
; %bb.6:
	v_cmp_gt_i32_e32 vcc, s20, v0
	s_and_saveexec_b64 s[4:5], vcc
	s_cbranch_execz .LBB145_9
; %bb.7:
	s_load_dwordx2 s[14:15], s[0:1], 0x8
	s_load_dwordx2 s[4:5], s[0:1], 0x18
	s_mul_hi_i32 s13, s20, s12
	s_mul_i32 s12, s20, s12
	s_lshl_b32 s6, s20, 2
	s_lshl_b64 s[12:13], s[12:13], 3
	s_load_dword s18, s[0:1], 0x3c
	s_waitcnt lgkmcnt(0)
	s_add_u32 s0, s4, s12
	s_addc_u32 s1, s5, s13
	s_lshl_b64 s[16:17], s[20:21], 2
	s_add_u32 s4, s0, s16
	s_addc_u32 s3, s1, s17
	s_and_b32 s5, s3, 0xffff
	s_mul_i32 s3, s2, s21
	s_mul_hi_u32 s12, s2, s20
	s_add_i32 s3, s12, s3
	s_mul_i32 s2, s2, s20
	s_and_b32 s1, s1, 0xffff
	s_lshl_b64 s[2:3], s[2:3], 3
	s_add_u32 s12, s14, s2
	s_addc_u32 s2, s15, s3
	s_add_u32 s16, s12, s16
	s_mov_b32 s11, 0x20000
	s_addc_u32 s3, s2, s17
	s_and_b32 s22, s18, 0xffff
	s_mov_b32 s7, s11
	s_and_b32 s13, s2, 0xffff
	s_and_b32 s17, s3, 0xffff
	s_mov_b32 s23, 0
	v_mov_b32_e32 v1, 0
	v_lshlrev_b32_e32 v2, 1, v0
	s_lshl_b32 s26, s22, 1
	v_lshlrev_b32_e32 v3, 2, v0
	s_lshl_b32 s27, s22, 2
	s_mov_b64 s[24:25], 0
	s_mov_b32 s14, s6
	s_mov_b32 s15, s11
	;; [unrolled: 1-line block ×5, first 2 shown]
	v_mov_b32_e32 v4, 0x7f800000
	s_mov_b32 s18, s6
	s_mov_b32 s19, s11
	;; [unrolled: 1-line block ×4, first 2 shown]
.LBB145_8:                              ; =>This Inner Loop Header: Depth=1
	buffer_load_dword v7, v3, s[12:15], 0 offen
	buffer_load_dword v6, v3, s[16:19], 0 offen
	;; [unrolled: 1-line block ×4, first 2 shown]
	v_lshl_add_u64 v[0:1], v[0:1], 0, s[22:23]
	v_add_u32_e32 v3, s27, v3
	s_waitcnt vmcnt(0)
	v_pk_add_f32 v[6:7], v[6:7], v[8:9]
	s_nop 0
	v_mul_f32_e32 v5, 0xbfb8aa3b, v7
	v_fma_f32 v8, v7, s28, -v5
	v_rndne_f32_e32 v9, v5
	v_fmac_f32_e32 v8, 0xb2a5705f, v7
	v_sub_f32_e32 v5, v5, v9
	v_add_f32_e32 v5, v5, v8
	v_cvt_i32_f32_e32 v9, v9
	v_exp_f32_e32 v5, v5
	v_cmp_nlt_f32_e32 vcc, s29, v7
	v_ldexp_f32 v5, v5, v9
	s_nop 0
	v_cndmask_b32_e32 v5, 0, v5, vcc
	v_cmp_ngt_f32_e32 vcc, s30, v7
	s_nop 1
	v_cndmask_b32_e32 v5, v4, v5, vcc
	v_add_f32_e32 v5, 1.0, v5
	v_rcp_f32_e32 v5, v5
	v_cmp_le_i64_e32 vcc, s[20:21], v[0:1]
	s_or_b64 s[24:25], vcc, s[24:25]
	v_mul_f32_e32 v5, v7, v5
	v_fma_mixlo_f16 v5, v6, v5, 0
	buffer_store_short v5, v2, s[8:11], 0 offen
	v_add_u32_e32 v2, s26, v2
	s_andn2_b64 exec, exec, s[24:25]
	s_cbranch_execnz .LBB145_8
.LBB145_9:
	s_endpgm
	.section	.rodata,"a",@progbits
	.p2align	6, 0x0
	.amdhsa_kernel _ZN5aiter23act_and_mul_bias_kernelIfDF16_sfTnPFfRKT2_EXadL_ZNS_11silu_kernelIfEEfRKT_EELi1EEEvPT0_PS8_PKT1_PS2_il
		.amdhsa_group_segment_fixed_size 0
		.amdhsa_private_segment_fixed_size 0
		.amdhsa_kernarg_size 304
		.amdhsa_user_sgpr_count 2
		.amdhsa_user_sgpr_dispatch_ptr 0
		.amdhsa_user_sgpr_queue_ptr 0
		.amdhsa_user_sgpr_kernarg_segment_ptr 1
		.amdhsa_user_sgpr_dispatch_id 0
		.amdhsa_user_sgpr_kernarg_preload_length 0
		.amdhsa_user_sgpr_kernarg_preload_offset 0
		.amdhsa_user_sgpr_private_segment_size 0
		.amdhsa_uses_dynamic_stack 0
		.amdhsa_enable_private_segment 0
		.amdhsa_system_sgpr_workgroup_id_x 1
		.amdhsa_system_sgpr_workgroup_id_y 0
		.amdhsa_system_sgpr_workgroup_id_z 0
		.amdhsa_system_sgpr_workgroup_info 0
		.amdhsa_system_vgpr_workitem_id 0
		.amdhsa_next_free_vgpr 10
		.amdhsa_next_free_sgpr 31
		.amdhsa_accum_offset 12
		.amdhsa_reserve_vcc 1
		.amdhsa_float_round_mode_32 0
		.amdhsa_float_round_mode_16_64 0
		.amdhsa_float_denorm_mode_32 3
		.amdhsa_float_denorm_mode_16_64 3
		.amdhsa_dx10_clamp 1
		.amdhsa_ieee_mode 1
		.amdhsa_fp16_overflow 0
		.amdhsa_tg_split 0
		.amdhsa_exception_fp_ieee_invalid_op 0
		.amdhsa_exception_fp_denorm_src 0
		.amdhsa_exception_fp_ieee_div_zero 0
		.amdhsa_exception_fp_ieee_overflow 0
		.amdhsa_exception_fp_ieee_underflow 0
		.amdhsa_exception_fp_ieee_inexact 0
		.amdhsa_exception_int_div_zero 0
	.end_amdhsa_kernel
	.section	.text._ZN5aiter23act_and_mul_bias_kernelIfDF16_sfTnPFfRKT2_EXadL_ZNS_11silu_kernelIfEEfRKT_EELi1EEEvPT0_PS8_PKT1_PS2_il,"axG",@progbits,_ZN5aiter23act_and_mul_bias_kernelIfDF16_sfTnPFfRKT2_EXadL_ZNS_11silu_kernelIfEEfRKT_EELi1EEEvPT0_PS8_PKT1_PS2_il,comdat
.Lfunc_end145:
	.size	_ZN5aiter23act_and_mul_bias_kernelIfDF16_sfTnPFfRKT2_EXadL_ZNS_11silu_kernelIfEEfRKT_EELi1EEEvPT0_PS8_PKT1_PS2_il, .Lfunc_end145-_ZN5aiter23act_and_mul_bias_kernelIfDF16_sfTnPFfRKT2_EXadL_ZNS_11silu_kernelIfEEfRKT_EELi1EEEvPT0_PS8_PKT1_PS2_il
                                        ; -- End function
	.section	.AMDGPU.csdata,"",@progbits
; Kernel info:
; codeLenInByte = 732
; NumSgprs: 37
; NumVgprs: 10
; NumAgprs: 0
; TotalNumVgprs: 10
; ScratchSize: 0
; MemoryBound: 0
; FloatMode: 240
; IeeeMode: 1
; LDSByteSize: 0 bytes/workgroup (compile time only)
; SGPRBlocks: 4
; VGPRBlocks: 1
; NumSGPRsForWavesPerEU: 37
; NumVGPRsForWavesPerEU: 10
; AccumOffset: 12
; Occupancy: 8
; WaveLimiterHint : 0
; COMPUTE_PGM_RSRC2:SCRATCH_EN: 0
; COMPUTE_PGM_RSRC2:USER_SGPR: 2
; COMPUTE_PGM_RSRC2:TRAP_HANDLER: 0
; COMPUTE_PGM_RSRC2:TGID_X_EN: 1
; COMPUTE_PGM_RSRC2:TGID_Y_EN: 0
; COMPUTE_PGM_RSRC2:TGID_Z_EN: 0
; COMPUTE_PGM_RSRC2:TIDIG_COMP_CNT: 0
; COMPUTE_PGM_RSRC3_GFX90A:ACCUM_OFFSET: 2
; COMPUTE_PGM_RSRC3_GFX90A:TG_SPLIT: 0
	.section	.text._ZN5aiter23act_and_mul_bias_kernelIffsfTnPFfRKT2_EXadL_ZNS_11silu_kernelIfEEfRKT_EELi16EEEvPT0_PS8_PKT1_PS2_il,"axG",@progbits,_ZN5aiter23act_and_mul_bias_kernelIffsfTnPFfRKT2_EXadL_ZNS_11silu_kernelIfEEfRKT_EELi16EEEvPT0_PS8_PKT1_PS2_il,comdat
	.protected	_ZN5aiter23act_and_mul_bias_kernelIffsfTnPFfRKT2_EXadL_ZNS_11silu_kernelIfEEfRKT_EELi16EEEvPT0_PS8_PKT1_PS2_il ; -- Begin function _ZN5aiter23act_and_mul_bias_kernelIffsfTnPFfRKT2_EXadL_ZNS_11silu_kernelIfEEfRKT_EELi16EEEvPT0_PS8_PKT1_PS2_il
	.globl	_ZN5aiter23act_and_mul_bias_kernelIffsfTnPFfRKT2_EXadL_ZNS_11silu_kernelIfEEfRKT_EELi16EEEvPT0_PS8_PKT1_PS2_il
	.p2align	8
	.type	_ZN5aiter23act_and_mul_bias_kernelIffsfTnPFfRKT2_EXadL_ZNS_11silu_kernelIfEEfRKT_EELi16EEEvPT0_PS8_PKT1_PS2_il,@function
_ZN5aiter23act_and_mul_bias_kernelIffsfTnPFfRKT2_EXadL_ZNS_11silu_kernelIfEEfRKT_EELi16EEEvPT0_PS8_PKT1_PS2_il: ; @_ZN5aiter23act_and_mul_bias_kernelIffsfTnPFfRKT2_EXadL_ZNS_11silu_kernelIfEEfRKT_EELi16EEEvPT0_PS8_PKT1_PS2_il
; %bb.0:
	s_load_dword s30, s[0:1], 0x20
	s_load_dwordx2 s[4:5], s[0:1], 0x10
	s_load_dwordx2 s[8:9], s[0:1], 0x28
	s_mov_b32 s3, 0
	s_lshl_b64 s[6:7], s[2:3], 1
	s_waitcnt lgkmcnt(0)
	s_ashr_i32 s31, s30, 31
	s_add_u32 s4, s4, s6
	s_addc_u32 s5, s5, s7
	v_mov_b32_e32 v1, 0
	global_load_ushort v1, v1, s[4:5]
	s_load_dwordx2 s[10:11], s[0:1], 0x0
	s_mul_hi_u32 s3, s30, s2
	s_mul_i32 s5, s31, s2
	s_mul_i32 s4, s30, s2
	s_add_i32 s5, s3, s5
	v_mov_b64_e32 v[2:3], s[8:9]
	s_lshl_b64 s[8:9], s[4:5], 2
	s_lshl_b32 s38, s30, 2
	s_mov_b64 s[6:7], -1
	v_lshlrev_b32_e32 v56, 4, v0
	s_waitcnt vmcnt(0)
	v_readfirstlane_b32 s3, v1
	s_sext_i32_i16 s4, s3
	s_ashr_i32 s5, s4, 31
	s_waitcnt lgkmcnt(0)
	s_add_u32 s36, s10, s8
	s_addc_u32 s3, s11, s9
	s_and_b32 s37, s3, 0xffff
	s_cmp_gt_i32 s4, -1
	v_cmp_lt_i64_e32 vcc, s[4:5], v[2:3]
	s_cselect_b64 s[8:9], -1, 0
	s_and_b64 s[8:9], s[8:9], vcc
	s_and_b64 vcc, exec, s[8:9]
	s_cbranch_vccnz .LBB146_5
; %bb.1:
	v_cmp_gt_i32_e32 vcc, s30, v56
	s_and_saveexec_b64 s[6:7], vcc
	s_cbranch_execz .LBB146_4
; %bb.2:
	s_load_dword s3, s[0:1], 0x3c
	s_mov_b32 s9, 0
	s_mov_b32 s12, s9
	;; [unrolled: 1-line block ×3, first 2 shown]
	v_mov_b32_e32 v57, 0
	v_lshlrev_b32_e32 v6, 6, v0
	s_waitcnt lgkmcnt(0)
	s_and_b32 s3, s3, 0xffff
	s_mov_b32 s14, s9
	s_mov_b32 s15, s9
	v_mov_b64_e32 v[0:1], s[12:13]
	s_lshl_b32 s8, s3, 4
	s_lshl_b32 s3, s3, 6
	s_mov_b64 s[10:11], 0
	s_mov_b32 s39, 0x20000
	v_mov_b64_e32 v[2:3], s[14:15]
	v_mov_b64_e32 v[4:5], v[56:57]
.LBB146_3:                              ; =>This Inner Loop Header: Depth=1
	v_lshl_add_u64 v[4:5], s[8:9], 0, v[4:5]
	v_cmp_le_i64_e32 vcc, s[30:31], v[4:5]
	buffer_store_dwordx4 v[0:3], v6, s[36:39], 0 offen
	buffer_store_dwordx4 v[0:3], v6, s[36:39], 16 offen
	;; [unrolled: 1-line block ×4, first 2 shown]
	s_or_b64 s[10:11], vcc, s[10:11]
	v_add_u32_e32 v6, s3, v6
	s_andn2_b64 exec, exec, s[10:11]
	s_cbranch_execnz .LBB146_3
.LBB146_4:
	s_or_b64 exec, exec, s[6:7]
	s_mov_b64 s[6:7], 0
.LBB146_5:
	s_andn2_b64 vcc, exec, s[6:7]
	s_cbranch_vccnz .LBB146_9
; %bb.6:
	v_cmp_gt_i32_e32 vcc, s30, v56
	s_and_saveexec_b64 s[6:7], vcc
	s_cbranch_execz .LBB146_9
; %bb.7:
	s_load_dwordx2 s[6:7], s[0:1], 0x18
	s_load_dwordx2 s[8:9], s[0:1], 0x8
	s_mul_hi_i32 s5, s30, s4
	s_mul_i32 s4, s30, s4
	s_lshl_b64 s[4:5], s[4:5], 3
	s_waitcnt lgkmcnt(0)
	s_add_u32 s40, s6, s4
	s_addc_u32 s3, s7, s5
	s_lshl_b64 s[4:5], s[30:31], 2
	s_add_u32 s44, s40, s4
	s_addc_u32 s6, s3, s5
	s_and_b32 s41, s3, 0xffff
	s_and_b32 s45, s6, 0xffff
	s_mul_i32 s3, s2, s31
	s_mul_hi_u32 s6, s2, s30
	s_add_i32 s3, s6, s3
	s_mul_i32 s2, s2, s30
	s_lshl_b64 s[2:3], s[2:3], 3
	s_add_u32 s48, s8, s2
	s_addc_u32 s2, s9, s3
	s_add_u32 s52, s48, s4
	s_addc_u32 s3, s2, s5
	s_and_b32 s49, s2, 0xffff
	s_and_b32 s53, s3, 0xffff
	s_mov_b32 s39, 0x20000
	s_add_u32 s34, s0, 48
	v_mov_b32_e32 v57, 0
	s_addc_u32 s35, s1, 0
	s_mov_b64 s[56:57], 0
	s_mov_b32 s47, s39
	s_mov_b32 s46, s38
	;; [unrolled: 1-line block ×8, first 2 shown]
	v_mov_b32_e32 v58, 0x7f800000
	s_mov_b32 s54, s38
	s_mov_b32 s55, s39
	;; [unrolled: 1-line block ×4, first 2 shown]
.LBB146_8:                              ; =>This Inner Loop Header: Depth=1
	v_lshlrev_b32_e32 v59, 2, v56
	buffer_load_dwordx4 v[48:51], v59, s[44:47], 0 offen
	buffer_load_dwordx4 v[52:55], v59, s[52:55], 0 offen
	;; [unrolled: 1-line block ×15, first 2 shown]
	s_waitcnt vmcnt(13)
	v_pk_add_f32 v[50:51], v[54:55], v[50:51]
	v_pk_add_f32 v[48:49], v[52:53], v[48:49]
	buffer_load_dwordx4 v[52:55], v59, s[40:43], 48 offen
	s_waitcnt vmcnt(11)
	v_pk_add_f32 v[10:11], v[10:11], v[22:23]
	s_waitcnt vmcnt(10)
	v_pk_add_f32 v[26:27], v[26:27], v[14:15]
	v_pk_add_f32 v[24:25], v[24:25], v[12:13]
	s_waitcnt vmcnt(8)
	v_pk_add_f32 v[18:19], v[18:19], v[30:31]
	v_pk_add_f32 v[16:17], v[16:17], v[28:29]
	;; [unrolled: 1-line block ×3, first 2 shown]
	v_mul_f32_e32 v28, 0xbfb8aa3b, v24
	v_mul_f32_e32 v29, 0xbfb8aa3b, v25
	;; [unrolled: 1-line block ×3, first 2 shown]
	s_waitcnt vmcnt(2)
	v_pk_add_f32 v[20:21], v[34:35], v[62:63]
	v_pk_add_f32 v[22:23], v[32:33], v[60:61]
	v_mul_f32_e32 v31, 0xbfb8aa3b, v27
	v_mul_f32_e32 v32, 0xbfb8aa3b, v16
	;; [unrolled: 1-line block ×5, first 2 shown]
	s_waitcnt vmcnt(1)
	v_pk_add_f32 v[6:7], v[6:7], v[46:47]
	v_pk_add_f32 v[4:5], v[4:5], v[44:45]
	v_fma_f32 v44, v24, s33, -v28
	v_rndne_f32_e32 v45, v28
	v_fma_f32 v46, v25, s33, -v29
	v_rndne_f32_e32 v47, v29
	;; [unrolled: 2-line block ×6, first 2 shown]
	v_pk_add_f32 v[12:13], v[42:43], v[38:39]
	v_pk_add_f32 v[14:15], v[40:41], v[36:37]
	v_mul_f32_e32 v36, 0xbfb8aa3b, v22
	v_mul_f32_e32 v37, 0xbfb8aa3b, v23
	;; [unrolled: 1-line block ×4, first 2 shown]
	v_fmac_f32_e32 v44, 0xb2a5705f, v24
	v_sub_f32_e32 v28, v28, v45
	v_fmac_f32_e32 v46, 0xb2a5705f, v25
	v_sub_f32_e32 v29, v29, v47
	;; [unrolled: 2-line block ×6, first 2 shown]
	v_add_f32_e32 v28, v28, v44
	v_fma_f32 v44, v22, s33, -v36
	v_add_f32_e32 v29, v29, v46
	v_rndne_f32_e32 v46, v36
	v_add_f32_e32 v32, v32, v60
	v_fma_f32 v60, v20, s33, -v38
	v_add_f32_e32 v33, v33, v62
	v_rndne_f32_e32 v62, v38
	;; [unrolled: 4-line block ×3, first 2 shown]
	v_fmac_f32_e32 v44, 0xb2a5705f, v22
	v_sub_f32_e32 v36, v36, v46
	v_fmac_f32_e32 v60, 0xb2a5705f, v20
	v_sub_f32_e32 v38, v38, v62
	;; [unrolled: 2-line block ×3, first 2 shown]
	v_add_f32_e32 v36, v36, v44
	v_add_f32_e32 v38, v38, v60
	;; [unrolled: 1-line block ×3, first 2 shown]
	v_exp_f32_e32 v32, v32
	v_exp_f32_e32 v33, v33
	v_cvt_i32_f32_e32 v46, v46
	v_cvt_i32_f32_e32 v62, v62
	;; [unrolled: 1-line block ×3, first 2 shown]
	v_exp_f32_e32 v28, v28
	v_exp_f32_e32 v29, v29
	;; [unrolled: 1-line block ×5, first 2 shown]
	s_waitcnt vmcnt(0)
	v_pk_add_f32 v[2:3], v[2:3], v[54:55]
	v_pk_add_f32 v[0:1], v[0:1], v[52:53]
	v_fma_f32 v52, v26, s33, -v30
	v_rndne_f32_e32 v53, v30
	v_fma_f32 v54, v27, s33, -v31
	v_rndne_f32_e32 v55, v31
	v_fmac_f32_e32 v52, 0xb2a5705f, v26
	v_sub_f32_e32 v30, v30, v53
	v_fmac_f32_e32 v54, 0xb2a5705f, v27
	v_sub_f32_e32 v31, v31, v55
	v_add_f32_e32 v30, v30, v52
	v_fma_f32 v52, v23, s33, -v37
	v_add_f32_e32 v31, v31, v54
	v_rndne_f32_e32 v54, v37
	v_mul_f32_e32 v40, 0xbfb8aa3b, v0
	v_mul_f32_e32 v41, 0xbfb8aa3b, v1
	v_fmac_f32_e32 v52, 0xb2a5705f, v23
	v_sub_f32_e32 v37, v37, v54
	v_fma_f32 v44, v0, s33, -v40
	v_add_f32_e32 v37, v37, v52
	v_rndne_f32_e32 v52, v40
	v_fma_f32 v60, v1, s33, -v41
	v_rndne_f32_e32 v64, v41
	v_mul_f32_e32 v42, 0xbfb8aa3b, v2
	v_fmac_f32_e32 v44, 0xb2a5705f, v0
	v_sub_f32_e32 v40, v40, v52
	v_fmac_f32_e32 v60, 0xb2a5705f, v1
	v_sub_f32_e32 v41, v41, v64
	v_add_f32_e32 v40, v40, v44
	v_fma_f32 v44, v2, s33, -v42
	v_add_f32_e32 v41, v41, v60
	v_rndne_f32_e32 v60, v42
	v_mul_f32_e32 v43, 0xbfb8aa3b, v3
	v_fmac_f32_e32 v44, 0xb2a5705f, v2
	v_sub_f32_e32 v42, v42, v60
	v_add_f32_e32 v42, v42, v44
	v_fma_f32 v44, v3, s33, -v43
	v_rndne_f32_e32 v68, v43
	v_fmac_f32_e32 v44, 0xb2a5705f, v3
	v_sub_f32_e32 v43, v43, v68
	v_add_f32_e32 v43, v43, v44
	v_cvt_i32_f32_e32 v44, v45
	v_cvt_i32_f32_e32 v45, v47
	;; [unrolled: 1-line block ×13, first 2 shown]
	v_exp_f32_e32 v30, v30
	v_exp_f32_e32 v31, v31
	v_exp_f32_e32 v37, v37
	v_exp_f32_e32 v38, v38
	v_exp_f32_e32 v39, v39
	v_exp_f32_e32 v40, v40
	v_exp_f32_e32 v41, v41
	v_exp_f32_e32 v42, v42
	v_exp_f32_e32 v43, v43
	v_ldexp_f32 v32, v32, v55
	v_ldexp_f32 v33, v33, v61
	v_cmp_nlt_f32_e64 s[2:3], s60, v16
	v_cmp_nlt_f32_e64 s[4:5], s60, v17
	v_ldexp_f32 v28, v28, v44
	v_ldexp_f32 v29, v29, v45
	;; [unrolled: 1-line block ×13, first 2 shown]
	v_cmp_nlt_f32_e32 vcc, s60, v26
	v_cmp_nlt_f32_e64 s[0:1], s60, v27
	v_cmp_nlt_f32_e64 s[6:7], s60, v18
	;; [unrolled: 1-line block ×10, first 2 shown]
	v_ldexp_f32 v43, v43, v67
	v_cmp_nlt_f32_e64 s[24:25], s60, v3
	v_cmp_nlt_f32_e64 s[26:27], s60, v24
	;; [unrolled: 1-line block ×3, first 2 shown]
	v_cndmask_b32_e64 v32, 0, v32, s[2:3]
	v_cmp_ngt_f32_e64 s[2:3], s61, v16
	v_cndmask_b32_e64 v33, 0, v33, s[4:5]
	v_cmp_ngt_f32_e64 s[4:5], s61, v17
	;; [unrolled: 2-line block ×3, first 2 shown]
	v_cndmask_b32_e32 v30, 0, v30, vcc
	v_cmp_ngt_f32_e32 vcc, s61, v26
	v_cndmask_b32_e64 v31, 0, v31, s[0:1]
	v_cmp_ngt_f32_e64 s[0:1], s61, v27
	v_cndmask_b32_e64 v28, 0, v28, s[26:27]
	v_cndmask_b32_e64 v34, 0, v34, s[6:7]
	v_cmp_ngt_f32_e64 s[6:7], s61, v18
	v_cndmask_b32_e64 v35, 0, v35, s[8:9]
	v_cmp_ngt_f32_e64 s[8:9], s61, v19
	;; [unrolled: 2-line block ×10, first 2 shown]
	v_cmp_ngt_f32_e64 s[26:27], s61, v24
	v_cndmask_b32_e64 v32, v58, v32, s[2:3]
	v_cndmask_b32_e64 v33, v58, v33, s[4:5]
	;; [unrolled: 1-line block ×4, first 2 shown]
	v_cndmask_b32_e32 v30, v58, v30, vcc
	v_cndmask_b32_e64 v31, v58, v31, s[0:1]
	v_cndmask_b32_e64 v34, v58, v34, s[6:7]
	;; [unrolled: 1-line block ×11, first 2 shown]
	v_add_f32_e32 v32, 1.0, v32
	v_add_f32_e32 v33, 1.0, v33
	;; [unrolled: 1-line block ×16, first 2 shown]
	v_rcp_f32_e32 v32, v32
	v_rcp_f32_e32 v33, v33
	;; [unrolled: 1-line block ×16, first 2 shown]
	v_pk_mul_f32 v[16:17], v[16:17], v[32:33]
	v_pk_mul_f32 v[24:25], v[24:25], v[28:29]
	;; [unrolled: 1-line block ×8, first 2 shown]
	;;#ASMSTART
	v_pk_mul_f32 v[0:1], v[24:25], v[48:49]
	;;#ASMEND
	;;#ASMSTART
	v_pk_mul_f32 v[2:3], v[26:27], v[50:51]
	;;#ASMEND
	;;#ASMSTART
	v_pk_mul_f32 v[8:9], v[16:17], v[8:9]
	;;#ASMEND
	;;#ASMSTART
	v_pk_mul_f32 v[10:11], v[18:19], v[10:11]
	;;#ASMEND
	;;#ASMSTART
	v_pk_mul_f32 v[14:15], v[22:23], v[14:15]
	;;#ASMEND
	;;#ASMSTART
	v_pk_mul_f32 v[16:17], v[20:21], v[12:13]
	;;#ASMEND
	;;#ASMSTART
	v_pk_mul_f32 v[4:5], v[28:29], v[4:5]
	;;#ASMEND
	s_nop 0
	;;#ASMSTART
	v_pk_mul_f32 v[6:7], v[30:31], v[6:7]
	;;#ASMEND
	s_load_dword s0, s[34:35], 0xc
	buffer_store_dwordx4 v[0:3], v59, s[36:39], 0 offen
	buffer_store_dwordx4 v[8:11], v59, s[36:39], 16 offen
	;; [unrolled: 1-line block ×4, first 2 shown]
	s_waitcnt lgkmcnt(0)
	s_and_b32 s0, s0, 0xffff
	s_lshl_b32 s58, s0, 4
	v_lshl_add_u64 v[56:57], s[58:59], 0, v[56:57]
	v_cmp_le_i64_e32 vcc, s[30:31], v[56:57]
	s_or_b64 s[56:57], vcc, s[56:57]
	s_andn2_b64 exec, exec, s[56:57]
	s_cbranch_execnz .LBB146_8
.LBB146_9:
	s_endpgm
	.section	.rodata,"a",@progbits
	.p2align	6, 0x0
	.amdhsa_kernel _ZN5aiter23act_and_mul_bias_kernelIffsfTnPFfRKT2_EXadL_ZNS_11silu_kernelIfEEfRKT_EELi16EEEvPT0_PS8_PKT1_PS2_il
		.amdhsa_group_segment_fixed_size 0
		.amdhsa_private_segment_fixed_size 0
		.amdhsa_kernarg_size 304
		.amdhsa_user_sgpr_count 2
		.amdhsa_user_sgpr_dispatch_ptr 0
		.amdhsa_user_sgpr_queue_ptr 0
		.amdhsa_user_sgpr_kernarg_segment_ptr 1
		.amdhsa_user_sgpr_dispatch_id 0
		.amdhsa_user_sgpr_kernarg_preload_length 0
		.amdhsa_user_sgpr_kernarg_preload_offset 0
		.amdhsa_user_sgpr_private_segment_size 0
		.amdhsa_uses_dynamic_stack 0
		.amdhsa_enable_private_segment 0
		.amdhsa_system_sgpr_workgroup_id_x 1
		.amdhsa_system_sgpr_workgroup_id_y 0
		.amdhsa_system_sgpr_workgroup_id_z 0
		.amdhsa_system_sgpr_workgroup_info 0
		.amdhsa_system_vgpr_workitem_id 0
		.amdhsa_next_free_vgpr 69
		.amdhsa_next_free_sgpr 62
		.amdhsa_accum_offset 72
		.amdhsa_reserve_vcc 1
		.amdhsa_float_round_mode_32 0
		.amdhsa_float_round_mode_16_64 0
		.amdhsa_float_denorm_mode_32 3
		.amdhsa_float_denorm_mode_16_64 3
		.amdhsa_dx10_clamp 1
		.amdhsa_ieee_mode 1
		.amdhsa_fp16_overflow 0
		.amdhsa_tg_split 0
		.amdhsa_exception_fp_ieee_invalid_op 0
		.amdhsa_exception_fp_denorm_src 0
		.amdhsa_exception_fp_ieee_div_zero 0
		.amdhsa_exception_fp_ieee_overflow 0
		.amdhsa_exception_fp_ieee_underflow 0
		.amdhsa_exception_fp_ieee_inexact 0
		.amdhsa_exception_int_div_zero 0
	.end_amdhsa_kernel
	.section	.text._ZN5aiter23act_and_mul_bias_kernelIffsfTnPFfRKT2_EXadL_ZNS_11silu_kernelIfEEfRKT_EELi16EEEvPT0_PS8_PKT1_PS2_il,"axG",@progbits,_ZN5aiter23act_and_mul_bias_kernelIffsfTnPFfRKT2_EXadL_ZNS_11silu_kernelIfEEfRKT_EELi16EEEvPT0_PS8_PKT1_PS2_il,comdat
.Lfunc_end146:
	.size	_ZN5aiter23act_and_mul_bias_kernelIffsfTnPFfRKT2_EXadL_ZNS_11silu_kernelIfEEfRKT_EELi16EEEvPT0_PS8_PKT1_PS2_il, .Lfunc_end146-_ZN5aiter23act_and_mul_bias_kernelIffsfTnPFfRKT2_EXadL_ZNS_11silu_kernelIfEEfRKT_EELi16EEEvPT0_PS8_PKT1_PS2_il
                                        ; -- End function
	.section	.AMDGPU.csdata,"",@progbits
; Kernel info:
; codeLenInByte = 2516
; NumSgprs: 68
; NumVgprs: 69
; NumAgprs: 0
; TotalNumVgprs: 69
; ScratchSize: 0
; MemoryBound: 0
; FloatMode: 240
; IeeeMode: 1
; LDSByteSize: 0 bytes/workgroup (compile time only)
; SGPRBlocks: 8
; VGPRBlocks: 8
; NumSGPRsForWavesPerEU: 68
; NumVGPRsForWavesPerEU: 69
; AccumOffset: 72
; Occupancy: 7
; WaveLimiterHint : 0
; COMPUTE_PGM_RSRC2:SCRATCH_EN: 0
; COMPUTE_PGM_RSRC2:USER_SGPR: 2
; COMPUTE_PGM_RSRC2:TRAP_HANDLER: 0
; COMPUTE_PGM_RSRC2:TGID_X_EN: 1
; COMPUTE_PGM_RSRC2:TGID_Y_EN: 0
; COMPUTE_PGM_RSRC2:TGID_Z_EN: 0
; COMPUTE_PGM_RSRC2:TIDIG_COMP_CNT: 0
; COMPUTE_PGM_RSRC3_GFX90A:ACCUM_OFFSET: 17
; COMPUTE_PGM_RSRC3_GFX90A:TG_SPLIT: 0
	.section	.text._ZN5aiter23act_and_mul_bias_kernelIffsfTnPFfRKT2_EXadL_ZNS_11silu_kernelIfEEfRKT_EELi8EEEvPT0_PS8_PKT1_PS2_il,"axG",@progbits,_ZN5aiter23act_and_mul_bias_kernelIffsfTnPFfRKT2_EXadL_ZNS_11silu_kernelIfEEfRKT_EELi8EEEvPT0_PS8_PKT1_PS2_il,comdat
	.protected	_ZN5aiter23act_and_mul_bias_kernelIffsfTnPFfRKT2_EXadL_ZNS_11silu_kernelIfEEfRKT_EELi8EEEvPT0_PS8_PKT1_PS2_il ; -- Begin function _ZN5aiter23act_and_mul_bias_kernelIffsfTnPFfRKT2_EXadL_ZNS_11silu_kernelIfEEfRKT_EELi8EEEvPT0_PS8_PKT1_PS2_il
	.globl	_ZN5aiter23act_and_mul_bias_kernelIffsfTnPFfRKT2_EXadL_ZNS_11silu_kernelIfEEfRKT_EELi8EEEvPT0_PS8_PKT1_PS2_il
	.p2align	8
	.type	_ZN5aiter23act_and_mul_bias_kernelIffsfTnPFfRKT2_EXadL_ZNS_11silu_kernelIfEEfRKT_EELi8EEEvPT0_PS8_PKT1_PS2_il,@function
_ZN5aiter23act_and_mul_bias_kernelIffsfTnPFfRKT2_EXadL_ZNS_11silu_kernelIfEEfRKT_EELi8EEEvPT0_PS8_PKT1_PS2_il: ; @_ZN5aiter23act_and_mul_bias_kernelIffsfTnPFfRKT2_EXadL_ZNS_11silu_kernelIfEEfRKT_EELi8EEEvPT0_PS8_PKT1_PS2_il
; %bb.0:
	s_load_dword s14, s[0:1], 0x20
	s_load_dwordx2 s[4:5], s[0:1], 0x10
	s_load_dwordx2 s[8:9], s[0:1], 0x28
	s_mov_b32 s3, 0
	s_lshl_b64 s[6:7], s[2:3], 1
	s_waitcnt lgkmcnt(0)
	s_ashr_i32 s15, s14, 31
	s_add_u32 s4, s4, s6
	s_addc_u32 s5, s5, s7
	v_mov_b32_e32 v1, 0
	global_load_ushort v1, v1, s[4:5]
	s_load_dwordx2 s[10:11], s[0:1], 0x0
	s_mul_hi_u32 s3, s14, s2
	s_mul_i32 s5, s15, s2
	s_mul_i32 s4, s14, s2
	s_add_i32 s5, s3, s5
	v_mov_b64_e32 v[2:3], s[8:9]
	s_lshl_b64 s[8:9], s[4:5], 2
	s_lshl_b32 s18, s14, 2
	s_mov_b64 s[6:7], -1
	v_lshlrev_b32_e32 v4, 3, v0
	s_waitcnt vmcnt(0)
	v_readfirstlane_b32 s3, v1
	s_sext_i32_i16 s4, s3
	s_ashr_i32 s5, s4, 31
	s_waitcnt lgkmcnt(0)
	s_add_u32 s16, s10, s8
	s_addc_u32 s3, s11, s9
	s_and_b32 s17, s3, 0xffff
	s_cmp_gt_i32 s4, -1
	v_cmp_lt_i64_e32 vcc, s[4:5], v[2:3]
	s_cselect_b64 s[8:9], -1, 0
	s_and_b64 s[8:9], s[8:9], vcc
	s_and_b64 vcc, exec, s[8:9]
	s_cbranch_vccnz .LBB147_5
; %bb.1:
	v_cmp_gt_i32_e32 vcc, s14, v4
	s_and_saveexec_b64 s[6:7], vcc
	s_cbranch_execz .LBB147_4
; %bb.2:
	s_load_dword s3, s[0:1], 0x3c
	s_mov_b32 s9, 0
	s_mov_b32 s20, s9
	;; [unrolled: 1-line block ×3, first 2 shown]
	v_mov_b32_e32 v5, 0
	v_lshlrev_b32_e32 v8, 5, v0
	s_waitcnt lgkmcnt(0)
	s_and_b32 s3, s3, 0xffff
	s_mov_b32 s22, s9
	s_mov_b32 s23, s9
	v_mov_b64_e32 v[0:1], s[20:21]
	s_lshl_b32 s8, s3, 3
	s_lshl_b32 s3, s3, 5
	s_mov_b64 s[10:11], 0
	s_mov_b32 s19, 0x20000
	v_mov_b64_e32 v[2:3], s[22:23]
	v_mov_b64_e32 v[6:7], v[4:5]
.LBB147_3:                              ; =>This Inner Loop Header: Depth=1
	v_lshl_add_u64 v[6:7], s[8:9], 0, v[6:7]
	v_cmp_le_i64_e32 vcc, s[14:15], v[6:7]
	buffer_store_dwordx4 v[0:3], v8, s[16:19], 0 offen
	buffer_store_dwordx4 v[0:3], v8, s[16:19], 16 offen
	s_or_b64 s[10:11], vcc, s[10:11]
	v_add_u32_e32 v8, s3, v8
	s_andn2_b64 exec, exec, s[10:11]
	s_cbranch_execnz .LBB147_3
.LBB147_4:
	s_or_b64 exec, exec, s[6:7]
	s_mov_b64 s[6:7], 0
.LBB147_5:
	s_andn2_b64 vcc, exec, s[6:7]
	s_cbranch_vccnz .LBB147_9
; %bb.6:
	v_cmp_gt_i32_e32 vcc, s14, v4
	s_and_saveexec_b64 s[6:7], vcc
	s_cbranch_execz .LBB147_9
; %bb.7:
	s_load_dwordx2 s[6:7], s[0:1], 0x18
	s_load_dwordx2 s[8:9], s[0:1], 0x8
	s_mul_hi_i32 s5, s14, s4
	s_mul_i32 s4, s14, s4
	s_lshl_b64 s[4:5], s[4:5], 3
	s_waitcnt lgkmcnt(0)
	s_add_u32 s20, s6, s4
	s_addc_u32 s3, s7, s5
	s_lshl_b64 s[4:5], s[14:15], 2
	s_add_u32 s24, s20, s4
	s_addc_u32 s6, s3, s5
	s_and_b32 s21, s3, 0xffff
	s_and_b32 s25, s6, 0xffff
	s_mul_i32 s3, s2, s15
	s_mul_hi_u32 s6, s2, s14
	s_add_i32 s3, s6, s3
	s_mul_i32 s2, s2, s14
	s_lshl_b64 s[2:3], s[2:3], 3
	s_add_u32 s28, s8, s2
	s_addc_u32 s2, s9, s3
	s_add_u32 s36, s28, s4
	s_addc_u32 s3, s2, s5
	s_and_b32 s29, s2, 0xffff
	s_and_b32 s37, s3, 0xffff
	s_mov_b32 s19, 0x20000
	s_add_u32 s34, s0, 48
	v_mov_b32_e32 v5, 0
	s_addc_u32 s35, s1, 0
	s_mov_b64 s[40:41], 0
	s_mov_b32 s27, s19
	s_mov_b32 s26, s18
	;; [unrolled: 1-line block ×8, first 2 shown]
	v_mov_b32_e32 v18, 0x7f800000
	s_mov_b32 s38, s18
	s_mov_b32 s39, s19
	;; [unrolled: 1-line block ×4, first 2 shown]
.LBB147_8:                              ; =>This Inner Loop Header: Depth=1
	v_lshlrev_b32_e32 v19, 2, v4
	buffer_load_dwordx4 v[6:9], v19, s[24:27], 0 offen
	buffer_load_dwordx4 v[10:13], v19, s[36:39], 0 offen
	;; [unrolled: 1-line block ×8, first 2 shown]
	s_waitcnt vmcnt(6)
	v_pk_add_f32 v[0:1], v[12:13], v[8:9]
	v_pk_add_f32 v[2:3], v[10:11], v[6:7]
	s_waitcnt vmcnt(4)
	v_pk_add_f32 v[8:9], v[14:15], v[20:21]
	v_pk_add_f32 v[6:7], v[16:17], v[22:23]
	v_mul_f32_e32 v20, 0xbfb8aa3b, v8
	v_mul_f32_e32 v21, 0xbfb8aa3b, v9
	s_waitcnt vmcnt(0)
	v_pk_add_f32 v[14:15], v[34:35], v[38:39]
	v_pk_add_f32 v[16:17], v[32:33], v[36:37]
	;; [unrolled: 1-line block ×4, first 2 shown]
	v_mul_f32_e32 v22, 0xbfb8aa3b, v6
	v_mul_f32_e32 v23, 0xbfb8aa3b, v7
	;; [unrolled: 1-line block ×6, first 2 shown]
	v_fma_f32 v28, v8, s33, -v20
	v_rndne_f32_e32 v29, v20
	v_fma_f32 v30, v9, s33, -v21
	v_rndne_f32_e32 v31, v21
	;; [unrolled: 2-line block ×8, first 2 shown]
	v_fmac_f32_e32 v28, 0xb2a5705f, v8
	v_sub_f32_e32 v20, v20, v29
	v_fmac_f32_e32 v30, 0xb2a5705f, v9
	v_sub_f32_e32 v21, v21, v31
	;; [unrolled: 2-line block ×8, first 2 shown]
	v_add_f32_e32 v20, v20, v28
	v_add_f32_e32 v21, v21, v30
	v_cvt_i32_f32_e32 v29, v29
	v_cvt_i32_f32_e32 v31, v31
	v_add_f32_e32 v22, v22, v32
	v_add_f32_e32 v23, v23, v34
	;; [unrolled: 1-line block ×6, first 2 shown]
	v_exp_f32_e32 v20, v20
	v_exp_f32_e32 v21, v21
	v_cvt_i32_f32_e32 v33, v33
	v_cvt_i32_f32_e32 v35, v35
	;; [unrolled: 1-line block ×6, first 2 shown]
	v_exp_f32_e32 v22, v22
	v_exp_f32_e32 v23, v23
	;; [unrolled: 1-line block ×6, first 2 shown]
	v_ldexp_f32 v20, v20, v29
	v_ldexp_f32 v21, v21, v31
	v_cmp_nlt_f32_e32 vcc, s44, v9
	v_cmp_nlt_f32_e64 s[12:13], s44, v8
	v_ldexp_f32 v22, v22, v33
	v_cmp_nlt_f32_e64 s[0:1], s44, v6
	v_ldexp_f32 v23, v23, v35
	;; [unrolled: 2-line block ×6, first 2 shown]
	v_cmp_nlt_f32_e64 s[10:11], s44, v15
	v_cndmask_b32_e64 v20, 0, v20, s[12:13]
	v_cndmask_b32_e32 v21, 0, v21, vcc
	v_cmp_ngt_f32_e32 vcc, s45, v9
	v_cmp_ngt_f32_e64 s[12:13], s45, v8
	v_cndmask_b32_e64 v22, 0, v22, s[0:1]
	v_cmp_ngt_f32_e64 s[0:1], s45, v6
	v_cndmask_b32_e64 v23, 0, v23, s[2:3]
	;; [unrolled: 2-line block ×7, first 2 shown]
	v_cndmask_b32_e32 v21, v18, v21, vcc
	v_cndmask_b32_e64 v22, v18, v22, s[0:1]
	v_cndmask_b32_e64 v23, v18, v23, s[2:3]
	;; [unrolled: 1-line block ×6, first 2 shown]
	v_add_f32_e32 v20, 1.0, v20
	v_add_f32_e32 v21, 1.0, v21
	;; [unrolled: 1-line block ×8, first 2 shown]
	v_rcp_f32_e32 v20, v20
	v_rcp_f32_e32 v21, v21
	;; [unrolled: 1-line block ×8, first 2 shown]
	v_pk_mul_f32 v[8:9], v[8:9], v[20:21]
	v_pk_mul_f32 v[20:21], v[6:7], v[22:23]
	;; [unrolled: 1-line block ×4, first 2 shown]
	;;#ASMSTART
	v_pk_mul_f32 v[6:7], v[8:9], v[2:3]
	;;#ASMEND
	;;#ASMSTART
	v_pk_mul_f32 v[8:9], v[20:21], v[0:1]
	;;#ASMEND
	;; [unrolled: 3-line block ×3, first 2 shown]
	s_nop 0
	;;#ASMSTART
	v_pk_mul_f32 v[2:3], v[14:15], v[10:11]
	;;#ASMEND
	s_load_dword s0, s[34:35], 0xc
	buffer_store_dwordx4 v[6:9], v19, s[16:19], 0 offen
	buffer_store_dwordx4 v[0:3], v19, s[16:19], 16 offen
	s_waitcnt lgkmcnt(0)
	s_and_b32 s0, s0, 0xffff
	s_lshl_b32 s42, s0, 3
	v_lshl_add_u64 v[4:5], s[42:43], 0, v[4:5]
	v_cmp_le_i64_e32 vcc, s[14:15], v[4:5]
	s_or_b64 s[40:41], vcc, s[40:41]
	s_andn2_b64 exec, exec, s[40:41]
	s_cbranch_execnz .LBB147_8
.LBB147_9:
	s_endpgm
	.section	.rodata,"a",@progbits
	.p2align	6, 0x0
	.amdhsa_kernel _ZN5aiter23act_and_mul_bias_kernelIffsfTnPFfRKT2_EXadL_ZNS_11silu_kernelIfEEfRKT_EELi8EEEvPT0_PS8_PKT1_PS2_il
		.amdhsa_group_segment_fixed_size 0
		.amdhsa_private_segment_fixed_size 0
		.amdhsa_kernarg_size 304
		.amdhsa_user_sgpr_count 2
		.amdhsa_user_sgpr_dispatch_ptr 0
		.amdhsa_user_sgpr_queue_ptr 0
		.amdhsa_user_sgpr_kernarg_segment_ptr 1
		.amdhsa_user_sgpr_dispatch_id 0
		.amdhsa_user_sgpr_kernarg_preload_length 0
		.amdhsa_user_sgpr_kernarg_preload_offset 0
		.amdhsa_user_sgpr_private_segment_size 0
		.amdhsa_uses_dynamic_stack 0
		.amdhsa_enable_private_segment 0
		.amdhsa_system_sgpr_workgroup_id_x 1
		.amdhsa_system_sgpr_workgroup_id_y 0
		.amdhsa_system_sgpr_workgroup_id_z 0
		.amdhsa_system_sgpr_workgroup_info 0
		.amdhsa_system_vgpr_workitem_id 0
		.amdhsa_next_free_vgpr 44
		.amdhsa_next_free_sgpr 46
		.amdhsa_accum_offset 44
		.amdhsa_reserve_vcc 1
		.amdhsa_float_round_mode_32 0
		.amdhsa_float_round_mode_16_64 0
		.amdhsa_float_denorm_mode_32 3
		.amdhsa_float_denorm_mode_16_64 3
		.amdhsa_dx10_clamp 1
		.amdhsa_ieee_mode 1
		.amdhsa_fp16_overflow 0
		.amdhsa_tg_split 0
		.amdhsa_exception_fp_ieee_invalid_op 0
		.amdhsa_exception_fp_denorm_src 0
		.amdhsa_exception_fp_ieee_div_zero 0
		.amdhsa_exception_fp_ieee_overflow 0
		.amdhsa_exception_fp_ieee_underflow 0
		.amdhsa_exception_fp_ieee_inexact 0
		.amdhsa_exception_int_div_zero 0
	.end_amdhsa_kernel
	.section	.text._ZN5aiter23act_and_mul_bias_kernelIffsfTnPFfRKT2_EXadL_ZNS_11silu_kernelIfEEfRKT_EELi8EEEvPT0_PS8_PKT1_PS2_il,"axG",@progbits,_ZN5aiter23act_and_mul_bias_kernelIffsfTnPFfRKT2_EXadL_ZNS_11silu_kernelIfEEfRKT_EELi8EEEvPT0_PS8_PKT1_PS2_il,comdat
.Lfunc_end147:
	.size	_ZN5aiter23act_and_mul_bias_kernelIffsfTnPFfRKT2_EXadL_ZNS_11silu_kernelIfEEfRKT_EELi8EEEvPT0_PS8_PKT1_PS2_il, .Lfunc_end147-_ZN5aiter23act_and_mul_bias_kernelIffsfTnPFfRKT2_EXadL_ZNS_11silu_kernelIfEEfRKT_EELi8EEEvPT0_PS8_PKT1_PS2_il
                                        ; -- End function
	.section	.AMDGPU.csdata,"",@progbits
; Kernel info:
; codeLenInByte = 1540
; NumSgprs: 52
; NumVgprs: 44
; NumAgprs: 0
; TotalNumVgprs: 44
; ScratchSize: 0
; MemoryBound: 0
; FloatMode: 240
; IeeeMode: 1
; LDSByteSize: 0 bytes/workgroup (compile time only)
; SGPRBlocks: 6
; VGPRBlocks: 5
; NumSGPRsForWavesPerEU: 52
; NumVGPRsForWavesPerEU: 44
; AccumOffset: 44
; Occupancy: 8
; WaveLimiterHint : 0
; COMPUTE_PGM_RSRC2:SCRATCH_EN: 0
; COMPUTE_PGM_RSRC2:USER_SGPR: 2
; COMPUTE_PGM_RSRC2:TRAP_HANDLER: 0
; COMPUTE_PGM_RSRC2:TGID_X_EN: 1
; COMPUTE_PGM_RSRC2:TGID_Y_EN: 0
; COMPUTE_PGM_RSRC2:TGID_Z_EN: 0
; COMPUTE_PGM_RSRC2:TIDIG_COMP_CNT: 0
; COMPUTE_PGM_RSRC3_GFX90A:ACCUM_OFFSET: 10
; COMPUTE_PGM_RSRC3_GFX90A:TG_SPLIT: 0
	.section	.text._ZN5aiter23act_and_mul_bias_kernelIffsfTnPFfRKT2_EXadL_ZNS_11silu_kernelIfEEfRKT_EELi4EEEvPT0_PS8_PKT1_PS2_il,"axG",@progbits,_ZN5aiter23act_and_mul_bias_kernelIffsfTnPFfRKT2_EXadL_ZNS_11silu_kernelIfEEfRKT_EELi4EEEvPT0_PS8_PKT1_PS2_il,comdat
	.protected	_ZN5aiter23act_and_mul_bias_kernelIffsfTnPFfRKT2_EXadL_ZNS_11silu_kernelIfEEfRKT_EELi4EEEvPT0_PS8_PKT1_PS2_il ; -- Begin function _ZN5aiter23act_and_mul_bias_kernelIffsfTnPFfRKT2_EXadL_ZNS_11silu_kernelIfEEfRKT_EELi4EEEvPT0_PS8_PKT1_PS2_il
	.globl	_ZN5aiter23act_and_mul_bias_kernelIffsfTnPFfRKT2_EXadL_ZNS_11silu_kernelIfEEfRKT_EELi4EEEvPT0_PS8_PKT1_PS2_il
	.p2align	8
	.type	_ZN5aiter23act_and_mul_bias_kernelIffsfTnPFfRKT2_EXadL_ZNS_11silu_kernelIfEEfRKT_EELi4EEEvPT0_PS8_PKT1_PS2_il,@function
_ZN5aiter23act_and_mul_bias_kernelIffsfTnPFfRKT2_EXadL_ZNS_11silu_kernelIfEEfRKT_EELi4EEEvPT0_PS8_PKT1_PS2_il: ; @_ZN5aiter23act_and_mul_bias_kernelIffsfTnPFfRKT2_EXadL_ZNS_11silu_kernelIfEEfRKT_EELi4EEEvPT0_PS8_PKT1_PS2_il
; %bb.0:
	s_load_dword s6, s[0:1], 0x20
	s_load_dwordx2 s[4:5], s[0:1], 0x10
	s_load_dwordx2 s[8:9], s[0:1], 0x28
	s_mov_b32 s3, 0
	s_lshl_b64 s[10:11], s[2:3], 1
	s_waitcnt lgkmcnt(0)
	s_ashr_i32 s7, s6, 31
	s_add_u32 s4, s4, s10
	s_addc_u32 s5, s5, s11
	v_mov_b32_e32 v1, 0
	global_load_ushort v1, v1, s[4:5]
	s_load_dwordx2 s[14:15], s[0:1], 0x0
	s_mul_hi_u32 s3, s6, s2
	s_mul_i32 s5, s7, s2
	s_mul_i32 s4, s6, s2
	s_add_i32 s5, s3, s5
	v_mov_b64_e32 v[2:3], s[8:9]
	s_lshl_b64 s[8:9], s[4:5], 2
	s_lshl_b32 s10, s6, 2
	s_mov_b64 s[12:13], -1
	v_lshlrev_b32_e32 v4, 2, v0
	s_waitcnt vmcnt(0)
	v_readfirstlane_b32 s3, v1
	s_sext_i32_i16 s4, s3
	s_ashr_i32 s5, s4, 31
	s_waitcnt lgkmcnt(0)
	s_add_u32 s8, s14, s8
	s_addc_u32 s3, s15, s9
	s_and_b32 s9, s3, 0xffff
	s_cmp_gt_i32 s4, -1
	v_cmp_lt_i64_e32 vcc, s[4:5], v[2:3]
	s_cselect_b64 s[14:15], -1, 0
	s_and_b64 s[14:15], s[14:15], vcc
	s_and_b64 vcc, exec, s[14:15]
	s_cbranch_vccnz .LBB148_5
; %bb.1:
	v_cmp_gt_i32_e32 vcc, s6, v4
	s_and_saveexec_b64 s[12:13], vcc
	s_cbranch_execz .LBB148_4
; %bb.2:
	s_load_dword s3, s[0:1], 0x3c
	v_mov_b32_e32 v5, 0
	s_mov_b32 s15, 0
	v_lshlrev_b32_e32 v8, 4, v0
	s_mov_b64 s[16:17], 0
	s_waitcnt lgkmcnt(0)
	s_and_b32 s3, s3, 0xffff
	s_lshl_b32 s14, s3, 2
	s_lshl_b32 s3, s3, 4
	s_mov_b32 s11, 0x20000
	v_mov_b32_e32 v0, v5
	v_mov_b32_e32 v1, v5
	;; [unrolled: 1-line block ×4, first 2 shown]
	v_mov_b64_e32 v[6:7], v[4:5]
.LBB148_3:                              ; =>This Inner Loop Header: Depth=1
	v_lshl_add_u64 v[6:7], s[14:15], 0, v[6:7]
	v_cmp_le_i64_e32 vcc, s[6:7], v[6:7]
	buffer_store_dwordx4 v[0:3], v8, s[8:11], 0 offen
	s_or_b64 s[16:17], vcc, s[16:17]
	v_add_u32_e32 v8, s3, v8
	s_andn2_b64 exec, exec, s[16:17]
	s_cbranch_execnz .LBB148_3
.LBB148_4:
	s_or_b64 exec, exec, s[12:13]
	s_mov_b64 s[12:13], 0
.LBB148_5:
	s_andn2_b64 vcc, exec, s[12:13]
	s_cbranch_vccnz .LBB148_9
; %bb.6:
	v_cmp_gt_i32_e32 vcc, s6, v4
	s_and_saveexec_b64 s[12:13], vcc
	s_cbranch_execz .LBB148_9
; %bb.7:
	s_load_dwordx2 s[12:13], s[0:1], 0x18
	s_load_dwordx2 s[14:15], s[0:1], 0x8
	s_mul_hi_i32 s5, s6, s4
	s_mul_i32 s4, s6, s4
	s_lshl_b64 s[4:5], s[4:5], 3
	s_waitcnt lgkmcnt(0)
	s_add_u32 s12, s12, s4
	s_addc_u32 s3, s13, s5
	s_lshl_b64 s[4:5], s[6:7], 2
	s_add_u32 s16, s12, s4
	s_addc_u32 s17, s3, s5
	s_and_b32 s13, s3, 0xffff
	s_mul_i32 s3, s2, s7
	s_mul_hi_u32 s18, s2, s6
	s_add_i32 s3, s18, s3
	s_mul_i32 s2, s2, s6
	s_and_b32 s17, s17, 0xffff
	s_lshl_b64 s[2:3], s[2:3], 3
	s_add_u32 s20, s14, s2
	s_addc_u32 s2, s15, s3
	s_add_u32 s24, s20, s4
	s_addc_u32 s3, s2, s5
	s_and_b32 s21, s2, 0xffff
	s_and_b32 s25, s3, 0xffff
	s_mov_b32 s11, 0x20000
	s_add_u32 s28, s0, 48
	v_mov_b32_e32 v5, 0
	s_addc_u32 s29, s1, 0
	s_mov_b64 s[30:31], 0
	s_mov_b32 s19, s11
	s_mov_b32 s18, s10
	;; [unrolled: 1-line block ×8, first 2 shown]
	v_mov_b32_e32 v0, 0x7f800000
	s_mov_b32 s26, s10
	s_mov_b32 s27, s11
	;; [unrolled: 1-line block ×4, first 2 shown]
.LBB148_8:                              ; =>This Inner Loop Header: Depth=1
	v_lshlrev_b32_e32 v1, 2, v4
	buffer_load_dwordx4 v[6:9], v1, s[20:23], 0 offen
	buffer_load_dwordx4 v[10:13], v1, s[24:27], 0 offen
	;; [unrolled: 1-line block ×4, first 2 shown]
	s_waitcnt vmcnt(1)
	v_pk_add_f32 v[8:9], v[8:9], v[16:17]
	v_pk_add_f32 v[6:7], v[6:7], v[14:15]
	s_waitcnt vmcnt(0)
	v_pk_add_f32 v[2:3], v[12:13], v[20:21]
	v_mul_f32_e32 v12, 0xbfb8aa3b, v6
	v_mul_f32_e32 v13, 0xbfb8aa3b, v7
	;; [unrolled: 1-line block ×4, first 2 shown]
	v_pk_add_f32 v[10:11], v[10:11], v[18:19]
	v_fma_f32 v16, v6, s33, -v12
	v_rndne_f32_e32 v17, v12
	v_fma_f32 v18, v7, s33, -v13
	v_rndne_f32_e32 v19, v13
	;; [unrolled: 2-line block ×4, first 2 shown]
	v_fmac_f32_e32 v16, 0xb2a5705f, v6
	v_sub_f32_e32 v12, v12, v17
	v_fmac_f32_e32 v18, 0xb2a5705f, v7
	v_sub_f32_e32 v13, v13, v19
	;; [unrolled: 2-line block ×4, first 2 shown]
	v_add_f32_e32 v12, v12, v16
	v_add_f32_e32 v13, v13, v18
	;; [unrolled: 1-line block ×4, first 2 shown]
	v_cvt_i32_f32_e32 v17, v17
	v_cvt_i32_f32_e32 v19, v19
	;; [unrolled: 1-line block ×4, first 2 shown]
	v_exp_f32_e32 v12, v12
	v_exp_f32_e32 v13, v13
	;; [unrolled: 1-line block ×4, first 2 shown]
	v_ldexp_f32 v12, v12, v17
	v_ldexp_f32 v13, v13, v19
	v_cmp_nlt_f32_e32 vcc, s36, v7
	v_ldexp_f32 v14, v14, v21
	v_cmp_nlt_f32_e64 s[0:1], s36, v8
	v_ldexp_f32 v15, v15, v23
	v_cmp_nlt_f32_e64 s[2:3], s36, v9
	v_cmp_nlt_f32_e64 s[4:5], s36, v6
	v_cndmask_b32_e32 v13, 0, v13, vcc
	v_cmp_ngt_f32_e32 vcc, s37, v7
	v_cndmask_b32_e64 v12, 0, v12, s[4:5]
	v_cndmask_b32_e64 v14, 0, v14, s[0:1]
	v_cmp_ngt_f32_e64 s[0:1], s37, v8
	v_cndmask_b32_e64 v15, 0, v15, s[2:3]
	v_cmp_ngt_f32_e64 s[2:3], s37, v9
	v_cmp_ngt_f32_e64 s[4:5], s37, v6
	v_cndmask_b32_e32 v13, v0, v13, vcc
	v_cndmask_b32_e64 v14, v0, v14, s[0:1]
	v_cndmask_b32_e64 v12, v0, v12, s[4:5]
	;; [unrolled: 1-line block ×3, first 2 shown]
	v_add_f32_e32 v12, 1.0, v12
	v_add_f32_e32 v13, 1.0, v13
	;; [unrolled: 1-line block ×4, first 2 shown]
	v_rcp_f32_e32 v12, v12
	v_rcp_f32_e32 v13, v13
	;; [unrolled: 1-line block ×4, first 2 shown]
	v_pk_mul_f32 v[6:7], v[6:7], v[12:13]
	s_nop 0
	;;#ASMSTART
	v_pk_mul_f32 v[6:7], v[6:7], v[10:11]
	;;#ASMEND
	v_pk_mul_f32 v[8:9], v[8:9], v[14:15]
	s_nop 0
	;;#ASMSTART
	v_pk_mul_f32 v[8:9], v[8:9], v[2:3]
	;;#ASMEND
	s_load_dword s0, s[28:29], 0xc
	buffer_store_dwordx4 v[6:9], v1, s[8:11], 0 offen
	s_waitcnt lgkmcnt(0)
	s_and_b32 s0, s0, 0xffff
	s_lshl_b32 s34, s0, 2
	v_lshl_add_u64 v[4:5], s[34:35], 0, v[4:5]
	v_cmp_le_i64_e32 vcc, s[6:7], v[4:5]
	s_or_b64 s[30:31], vcc, s[30:31]
	s_andn2_b64 exec, exec, s[30:31]
	s_cbranch_execnz .LBB148_8
.LBB148_9:
	s_endpgm
	.section	.rodata,"a",@progbits
	.p2align	6, 0x0
	.amdhsa_kernel _ZN5aiter23act_and_mul_bias_kernelIffsfTnPFfRKT2_EXadL_ZNS_11silu_kernelIfEEfRKT_EELi4EEEvPT0_PS8_PKT1_PS2_il
		.amdhsa_group_segment_fixed_size 0
		.amdhsa_private_segment_fixed_size 0
		.amdhsa_kernarg_size 304
		.amdhsa_user_sgpr_count 2
		.amdhsa_user_sgpr_dispatch_ptr 0
		.amdhsa_user_sgpr_queue_ptr 0
		.amdhsa_user_sgpr_kernarg_segment_ptr 1
		.amdhsa_user_sgpr_dispatch_id 0
		.amdhsa_user_sgpr_kernarg_preload_length 0
		.amdhsa_user_sgpr_kernarg_preload_offset 0
		.amdhsa_user_sgpr_private_segment_size 0
		.amdhsa_uses_dynamic_stack 0
		.amdhsa_enable_private_segment 0
		.amdhsa_system_sgpr_workgroup_id_x 1
		.amdhsa_system_sgpr_workgroup_id_y 0
		.amdhsa_system_sgpr_workgroup_id_z 0
		.amdhsa_system_sgpr_workgroup_info 0
		.amdhsa_system_vgpr_workitem_id 0
		.amdhsa_next_free_vgpr 24
		.amdhsa_next_free_sgpr 38
		.amdhsa_accum_offset 24
		.amdhsa_reserve_vcc 1
		.amdhsa_float_round_mode_32 0
		.amdhsa_float_round_mode_16_64 0
		.amdhsa_float_denorm_mode_32 3
		.amdhsa_float_denorm_mode_16_64 3
		.amdhsa_dx10_clamp 1
		.amdhsa_ieee_mode 1
		.amdhsa_fp16_overflow 0
		.amdhsa_tg_split 0
		.amdhsa_exception_fp_ieee_invalid_op 0
		.amdhsa_exception_fp_denorm_src 0
		.amdhsa_exception_fp_ieee_div_zero 0
		.amdhsa_exception_fp_ieee_overflow 0
		.amdhsa_exception_fp_ieee_underflow 0
		.amdhsa_exception_fp_ieee_inexact 0
		.amdhsa_exception_int_div_zero 0
	.end_amdhsa_kernel
	.section	.text._ZN5aiter23act_and_mul_bias_kernelIffsfTnPFfRKT2_EXadL_ZNS_11silu_kernelIfEEfRKT_EELi4EEEvPT0_PS8_PKT1_PS2_il,"axG",@progbits,_ZN5aiter23act_and_mul_bias_kernelIffsfTnPFfRKT2_EXadL_ZNS_11silu_kernelIfEEfRKT_EELi4EEEvPT0_PS8_PKT1_PS2_il,comdat
.Lfunc_end148:
	.size	_ZN5aiter23act_and_mul_bias_kernelIffsfTnPFfRKT2_EXadL_ZNS_11silu_kernelIfEEfRKT_EELi4EEEvPT0_PS8_PKT1_PS2_il, .Lfunc_end148-_ZN5aiter23act_and_mul_bias_kernelIffsfTnPFfRKT2_EXadL_ZNS_11silu_kernelIfEEfRKT_EELi4EEEvPT0_PS8_PKT1_PS2_il
                                        ; -- End function
	.section	.AMDGPU.csdata,"",@progbits
; Kernel info:
; codeLenInByte = 1052
; NumSgprs: 44
; NumVgprs: 24
; NumAgprs: 0
; TotalNumVgprs: 24
; ScratchSize: 0
; MemoryBound: 0
; FloatMode: 240
; IeeeMode: 1
; LDSByteSize: 0 bytes/workgroup (compile time only)
; SGPRBlocks: 5
; VGPRBlocks: 2
; NumSGPRsForWavesPerEU: 44
; NumVGPRsForWavesPerEU: 24
; AccumOffset: 24
; Occupancy: 8
; WaveLimiterHint : 0
; COMPUTE_PGM_RSRC2:SCRATCH_EN: 0
; COMPUTE_PGM_RSRC2:USER_SGPR: 2
; COMPUTE_PGM_RSRC2:TRAP_HANDLER: 0
; COMPUTE_PGM_RSRC2:TGID_X_EN: 1
; COMPUTE_PGM_RSRC2:TGID_Y_EN: 0
; COMPUTE_PGM_RSRC2:TGID_Z_EN: 0
; COMPUTE_PGM_RSRC2:TIDIG_COMP_CNT: 0
; COMPUTE_PGM_RSRC3_GFX90A:ACCUM_OFFSET: 5
; COMPUTE_PGM_RSRC3_GFX90A:TG_SPLIT: 0
	.section	.text._ZN5aiter23act_and_mul_bias_kernelIffsfTnPFfRKT2_EXadL_ZNS_11silu_kernelIfEEfRKT_EELi2EEEvPT0_PS8_PKT1_PS2_il,"axG",@progbits,_ZN5aiter23act_and_mul_bias_kernelIffsfTnPFfRKT2_EXadL_ZNS_11silu_kernelIfEEfRKT_EELi2EEEvPT0_PS8_PKT1_PS2_il,comdat
	.protected	_ZN5aiter23act_and_mul_bias_kernelIffsfTnPFfRKT2_EXadL_ZNS_11silu_kernelIfEEfRKT_EELi2EEEvPT0_PS8_PKT1_PS2_il ; -- Begin function _ZN5aiter23act_and_mul_bias_kernelIffsfTnPFfRKT2_EXadL_ZNS_11silu_kernelIfEEfRKT_EELi2EEEvPT0_PS8_PKT1_PS2_il
	.globl	_ZN5aiter23act_and_mul_bias_kernelIffsfTnPFfRKT2_EXadL_ZNS_11silu_kernelIfEEfRKT_EELi2EEEvPT0_PS8_PKT1_PS2_il
	.p2align	8
	.type	_ZN5aiter23act_and_mul_bias_kernelIffsfTnPFfRKT2_EXadL_ZNS_11silu_kernelIfEEfRKT_EELi2EEEvPT0_PS8_PKT1_PS2_il,@function
_ZN5aiter23act_and_mul_bias_kernelIffsfTnPFfRKT2_EXadL_ZNS_11silu_kernelIfEEfRKT_EELi2EEEvPT0_PS8_PKT1_PS2_il: ; @_ZN5aiter23act_and_mul_bias_kernelIffsfTnPFfRKT2_EXadL_ZNS_11silu_kernelIfEEfRKT_EELi2EEEvPT0_PS8_PKT1_PS2_il
; %bb.0:
	s_load_dword s24, s[0:1], 0x20
	s_load_dwordx2 s[4:5], s[0:1], 0x10
	s_load_dwordx2 s[6:7], s[0:1], 0x28
	s_mov_b32 s3, 0
	s_lshl_b64 s[8:9], s[2:3], 1
	s_waitcnt lgkmcnt(0)
	s_ashr_i32 s25, s24, 31
	s_add_u32 s4, s4, s8
	s_addc_u32 s5, s5, s9
	v_mov_b32_e32 v1, 0
	global_load_ushort v1, v1, s[4:5]
	s_load_dwordx2 s[4:5], s[0:1], 0x0
	s_mul_hi_u32 s3, s24, s2
	v_mov_b64_e32 v[2:3], s[6:7]
	s_mul_i32 s7, s25, s2
	s_mul_i32 s8, s24, s2
	s_add_i32 s9, s3, s7
	s_lshl_b64 s[12:13], s[8:9], 2
	s_lshl_b32 s6, s24, 2
	s_mov_b64 s[10:11], -1
	s_waitcnt vmcnt(0)
	v_readfirstlane_b32 s3, v1
	s_sext_i32_i16 s8, s3
	s_ashr_i32 s9, s8, 31
	s_waitcnt lgkmcnt(0)
	s_add_u32 s4, s4, s12
	s_addc_u32 s3, s5, s13
	s_and_b32 s5, s3, 0xffff
	s_cmp_gt_i32 s8, -1
	v_cmp_lt_i64_e32 vcc, s[8:9], v[2:3]
	s_cselect_b64 s[12:13], -1, 0
	s_and_b64 s[12:13], s[12:13], vcc
	s_and_b64 vcc, exec, s[12:13]
	v_lshlrev_b32_e32 v2, 1, v0
	s_cbranch_vccnz .LBB149_5
; %bb.1:
	v_cmp_gt_i32_e32 vcc, s24, v2
	s_and_saveexec_b64 s[10:11], vcc
	s_cbranch_execz .LBB149_4
; %bb.2:
	s_load_dword s3, s[0:1], 0x3c
	v_mov_b32_e32 v3, 0
	s_mov_b32 s13, 0
	v_lshlrev_b32_e32 v6, 3, v0
	s_mov_b64 s[14:15], 0
	s_waitcnt lgkmcnt(0)
	s_and_b32 s3, s3, 0xffff
	s_lshl_b32 s12, s3, 1
	s_lshl_b32 s3, s3, 3
	s_mov_b32 s7, 0x20000
	v_mov_b32_e32 v0, v3
	v_mov_b32_e32 v1, v3
	v_mov_b64_e32 v[4:5], v[2:3]
.LBB149_3:                              ; =>This Inner Loop Header: Depth=1
	v_lshl_add_u64 v[4:5], s[12:13], 0, v[4:5]
	v_cmp_le_i64_e32 vcc, s[24:25], v[4:5]
	buffer_store_dwordx2 v[0:1], v6, s[4:7], 0 offen
	s_or_b64 s[14:15], vcc, s[14:15]
	v_add_u32_e32 v6, s3, v6
	s_andn2_b64 exec, exec, s[14:15]
	s_cbranch_execnz .LBB149_3
.LBB149_4:
	s_or_b64 exec, exec, s[10:11]
	s_mov_b64 s[10:11], 0
.LBB149_5:
	s_andn2_b64 vcc, exec, s[10:11]
	s_cbranch_vccnz .LBB149_9
; %bb.6:
	v_cmp_gt_i32_e32 vcc, s24, v2
	s_and_saveexec_b64 s[10:11], vcc
	s_cbranch_execz .LBB149_9
; %bb.7:
	s_load_dwordx2 s[10:11], s[0:1], 0x18
	s_load_dwordx2 s[14:15], s[0:1], 0x8
	s_mul_hi_i32 s9, s24, s8
	s_mul_i32 s8, s24, s8
	s_lshl_b64 s[8:9], s[8:9], 3
	s_waitcnt lgkmcnt(0)
	s_add_u32 s8, s10, s8
	s_addc_u32 s3, s11, s9
	s_lshl_b64 s[10:11], s[24:25], 2
	s_add_u32 s12, s8, s10
	s_addc_u32 s13, s3, s11
	s_and_b32 s9, s3, 0xffff
	s_mul_i32 s3, s2, s25
	s_mul_hi_u32 s16, s2, s24
	s_add_i32 s3, s16, s3
	s_mul_i32 s2, s2, s24
	s_and_b32 s13, s13, 0xffff
	s_lshl_b64 s[2:3], s[2:3], 3
	s_add_u32 s16, s14, s2
	s_addc_u32 s2, s15, s3
	s_add_u32 s20, s16, s10
	s_addc_u32 s3, s2, s11
	s_and_b32 s17, s2, 0xffff
	s_and_b32 s21, s3, 0xffff
	s_mov_b32 s7, 0x20000
	s_add_u32 s2, s0, 48
	v_mov_b32_e32 v3, 0
	s_addc_u32 s3, s1, 0
	s_mov_b64 s[26:27], 0
	s_mov_b32 s15, s7
	s_mov_b32 s14, s6
	;; [unrolled: 1-line block ×8, first 2 shown]
	v_mov_b32_e32 v0, 0x7f800000
	s_mov_b32 s22, s6
	s_mov_b32 s23, s7
	;; [unrolled: 1-line block ×4, first 2 shown]
.LBB149_8:                              ; =>This Inner Loop Header: Depth=1
	v_lshlrev_b32_e32 v1, 2, v2
	buffer_load_dwordx2 v[4:5], v1, s[8:11], 0 offen
	buffer_load_dwordx2 v[6:7], v1, s[16:19], 0 offen
	;; [unrolled: 1-line block ×4, first 2 shown]
	s_waitcnt vmcnt(2)
	v_pk_add_f32 v[4:5], v[6:7], v[4:5]
	s_nop 0
	v_mul_f32_e32 v6, 0xbfb8aa3b, v5
	v_mul_f32_e32 v7, 0xbfb8aa3b, v4
	v_fma_f32 v12, v5, s30, -v6
	v_rndne_f32_e32 v13, v6
	v_fma_f32 v14, v4, s30, -v7
	v_rndne_f32_e32 v15, v7
	v_fmac_f32_e32 v12, 0xb2a5705f, v5
	v_sub_f32_e32 v6, v6, v13
	v_fmac_f32_e32 v14, 0xb2a5705f, v4
	v_sub_f32_e32 v7, v7, v15
	v_add_f32_e32 v6, v6, v12
	v_add_f32_e32 v7, v7, v14
	v_cvt_i32_f32_e32 v13, v13
	v_cvt_i32_f32_e32 v15, v15
	v_exp_f32_e32 v6, v6
	v_exp_f32_e32 v7, v7
	v_cmp_nlt_f32_e32 vcc, s31, v4
	v_cmp_nlt_f32_e64 s[0:1], s31, v5
	v_ldexp_f32 v6, v6, v13
	v_ldexp_f32 v7, v7, v15
	v_cndmask_b32_e64 v6, 0, v6, s[0:1]
	v_cndmask_b32_e32 v7, 0, v7, vcc
	v_cmp_ngt_f32_e32 vcc, s33, v4
	v_cmp_ngt_f32_e64 s[0:1], s33, v5
	s_waitcnt vmcnt(0)
	v_pk_add_f32 v[8:9], v[8:9], v[10:11]
	v_cndmask_b32_e32 v7, v0, v7, vcc
	v_cndmask_b32_e64 v6, v0, v6, s[0:1]
	v_add_f32_e32 v6, 1.0, v6
	v_add_f32_e32 v12, 1.0, v7
	v_rcp_f32_e32 v7, v6
	v_rcp_f32_e32 v6, v12
	s_nop 0
	v_pk_mul_f32 v[4:5], v[4:5], v[6:7]
	s_nop 0
	;;#ASMSTART
	v_pk_mul_f32 v[4:5], v[4:5], v[8:9]
	;;#ASMEND
	s_load_dword s0, s[2:3], 0xc
	buffer_store_dwordx2 v[4:5], v1, s[4:7], 0 offen
	s_waitcnt lgkmcnt(0)
	s_and_b32 s0, s0, 0xffff
	s_lshl_b32 s28, s0, 1
	v_lshl_add_u64 v[2:3], s[28:29], 0, v[2:3]
	v_cmp_le_i64_e32 vcc, s[24:25], v[2:3]
	s_or_b64 s[26:27], vcc, s[26:27]
	s_andn2_b64 exec, exec, s[26:27]
	s_cbranch_execnz .LBB149_8
.LBB149_9:
	s_endpgm
	.section	.rodata,"a",@progbits
	.p2align	6, 0x0
	.amdhsa_kernel _ZN5aiter23act_and_mul_bias_kernelIffsfTnPFfRKT2_EXadL_ZNS_11silu_kernelIfEEfRKT_EELi2EEEvPT0_PS8_PKT1_PS2_il
		.amdhsa_group_segment_fixed_size 0
		.amdhsa_private_segment_fixed_size 0
		.amdhsa_kernarg_size 304
		.amdhsa_user_sgpr_count 2
		.amdhsa_user_sgpr_dispatch_ptr 0
		.amdhsa_user_sgpr_queue_ptr 0
		.amdhsa_user_sgpr_kernarg_segment_ptr 1
		.amdhsa_user_sgpr_dispatch_id 0
		.amdhsa_user_sgpr_kernarg_preload_length 0
		.amdhsa_user_sgpr_kernarg_preload_offset 0
		.amdhsa_user_sgpr_private_segment_size 0
		.amdhsa_uses_dynamic_stack 0
		.amdhsa_enable_private_segment 0
		.amdhsa_system_sgpr_workgroup_id_x 1
		.amdhsa_system_sgpr_workgroup_id_y 0
		.amdhsa_system_sgpr_workgroup_id_z 0
		.amdhsa_system_sgpr_workgroup_info 0
		.amdhsa_system_vgpr_workitem_id 0
		.amdhsa_next_free_vgpr 16
		.amdhsa_next_free_sgpr 34
		.amdhsa_accum_offset 16
		.amdhsa_reserve_vcc 1
		.amdhsa_float_round_mode_32 0
		.amdhsa_float_round_mode_16_64 0
		.amdhsa_float_denorm_mode_32 3
		.amdhsa_float_denorm_mode_16_64 3
		.amdhsa_dx10_clamp 1
		.amdhsa_ieee_mode 1
		.amdhsa_fp16_overflow 0
		.amdhsa_tg_split 0
		.amdhsa_exception_fp_ieee_invalid_op 0
		.amdhsa_exception_fp_denorm_src 0
		.amdhsa_exception_fp_ieee_div_zero 0
		.amdhsa_exception_fp_ieee_overflow 0
		.amdhsa_exception_fp_ieee_underflow 0
		.amdhsa_exception_fp_ieee_inexact 0
		.amdhsa_exception_int_div_zero 0
	.end_amdhsa_kernel
	.section	.text._ZN5aiter23act_and_mul_bias_kernelIffsfTnPFfRKT2_EXadL_ZNS_11silu_kernelIfEEfRKT_EELi2EEEvPT0_PS8_PKT1_PS2_il,"axG",@progbits,_ZN5aiter23act_and_mul_bias_kernelIffsfTnPFfRKT2_EXadL_ZNS_11silu_kernelIfEEfRKT_EELi2EEEvPT0_PS8_PKT1_PS2_il,comdat
.Lfunc_end149:
	.size	_ZN5aiter23act_and_mul_bias_kernelIffsfTnPFfRKT2_EXadL_ZNS_11silu_kernelIfEEfRKT_EELi2EEEvPT0_PS8_PKT1_PS2_il, .Lfunc_end149-_ZN5aiter23act_and_mul_bias_kernelIffsfTnPFfRKT2_EXadL_ZNS_11silu_kernelIfEEfRKT_EELi2EEEvPT0_PS8_PKT1_PS2_il
                                        ; -- End function
	.section	.AMDGPU.csdata,"",@progbits
; Kernel info:
; codeLenInByte = 832
; NumSgprs: 40
; NumVgprs: 16
; NumAgprs: 0
; TotalNumVgprs: 16
; ScratchSize: 0
; MemoryBound: 0
; FloatMode: 240
; IeeeMode: 1
; LDSByteSize: 0 bytes/workgroup (compile time only)
; SGPRBlocks: 4
; VGPRBlocks: 1
; NumSGPRsForWavesPerEU: 40
; NumVGPRsForWavesPerEU: 16
; AccumOffset: 16
; Occupancy: 8
; WaveLimiterHint : 0
; COMPUTE_PGM_RSRC2:SCRATCH_EN: 0
; COMPUTE_PGM_RSRC2:USER_SGPR: 2
; COMPUTE_PGM_RSRC2:TRAP_HANDLER: 0
; COMPUTE_PGM_RSRC2:TGID_X_EN: 1
; COMPUTE_PGM_RSRC2:TGID_Y_EN: 0
; COMPUTE_PGM_RSRC2:TGID_Z_EN: 0
; COMPUTE_PGM_RSRC2:TIDIG_COMP_CNT: 0
; COMPUTE_PGM_RSRC3_GFX90A:ACCUM_OFFSET: 3
; COMPUTE_PGM_RSRC3_GFX90A:TG_SPLIT: 0
	.section	.text._ZN5aiter23act_and_mul_bias_kernelIffsfTnPFfRKT2_EXadL_ZNS_11silu_kernelIfEEfRKT_EELi1EEEvPT0_PS8_PKT1_PS2_il,"axG",@progbits,_ZN5aiter23act_and_mul_bias_kernelIffsfTnPFfRKT2_EXadL_ZNS_11silu_kernelIfEEfRKT_EELi1EEEvPT0_PS8_PKT1_PS2_il,comdat
	.protected	_ZN5aiter23act_and_mul_bias_kernelIffsfTnPFfRKT2_EXadL_ZNS_11silu_kernelIfEEfRKT_EELi1EEEvPT0_PS8_PKT1_PS2_il ; -- Begin function _ZN5aiter23act_and_mul_bias_kernelIffsfTnPFfRKT2_EXadL_ZNS_11silu_kernelIfEEfRKT_EELi1EEEvPT0_PS8_PKT1_PS2_il
	.globl	_ZN5aiter23act_and_mul_bias_kernelIffsfTnPFfRKT2_EXadL_ZNS_11silu_kernelIfEEfRKT_EELi1EEEvPT0_PS8_PKT1_PS2_il
	.p2align	8
	.type	_ZN5aiter23act_and_mul_bias_kernelIffsfTnPFfRKT2_EXadL_ZNS_11silu_kernelIfEEfRKT_EELi1EEEvPT0_PS8_PKT1_PS2_il,@function
_ZN5aiter23act_and_mul_bias_kernelIffsfTnPFfRKT2_EXadL_ZNS_11silu_kernelIfEEfRKT_EELi1EEEvPT0_PS8_PKT1_PS2_il: ; @_ZN5aiter23act_and_mul_bias_kernelIffsfTnPFfRKT2_EXadL_ZNS_11silu_kernelIfEEfRKT_EELi1EEEvPT0_PS8_PKT1_PS2_il
; %bb.0:
	s_load_dword s20, s[0:1], 0x20
	s_load_dwordx2 s[4:5], s[0:1], 0x10
	s_load_dwordx2 s[6:7], s[0:1], 0x28
	s_mov_b32 s3, 0
	s_lshl_b64 s[8:9], s[2:3], 1
	s_waitcnt lgkmcnt(0)
	s_ashr_i32 s21, s20, 31
	s_add_u32 s4, s4, s8
	s_addc_u32 s5, s5, s9
	v_mov_b32_e32 v1, 0
	global_load_ushort v1, v1, s[4:5]
	s_load_dwordx2 s[4:5], s[0:1], 0x0
	s_mul_hi_u32 s3, s20, s2
	v_mov_b64_e32 v[2:3], s[6:7]
	s_mul_i32 s6, s21, s2
	s_add_i32 s9, s3, s6
	s_mul_i32 s8, s20, s2
	s_lshl_b32 s10, s20, 2
	s_lshl_b64 s[8:9], s[8:9], 2
	s_mov_b64 s[12:13], -1
	s_waitcnt vmcnt(0)
	v_readfirstlane_b32 s3, v1
	s_sext_i32_i16 s6, s3
	s_ashr_i32 s7, s6, 31
	s_waitcnt lgkmcnt(0)
	s_add_u32 s8, s4, s8
	s_addc_u32 s3, s5, s9
	s_and_b32 s9, s3, 0xffff
	s_cmp_gt_i32 s6, -1
	v_cmp_lt_i64_e32 vcc, s[6:7], v[2:3]
	s_cselect_b64 s[4:5], -1, 0
	s_and_b64 s[4:5], s[4:5], vcc
	s_and_b64 vcc, exec, s[4:5]
	v_cmp_gt_i32_e64 s[4:5], s20, v0
	s_cbranch_vccnz .LBB150_5
; %bb.1:
	s_and_saveexec_b64 s[12:13], s[4:5]
	s_cbranch_execz .LBB150_4
; %bb.2:
	s_load_dword s3, s[0:1], 0x3c
	v_mov_b32_e32 v1, 0
	s_mov_b32 s5, 0
	v_lshlrev_b32_e32 v4, 2, v0
	s_mov_b64 s[14:15], 0
	s_waitcnt lgkmcnt(0)
	s_and_b32 s4, s3, 0xffff
	s_lshl_b32 s3, s4, 2
	s_mov_b32 s11, 0x20000
	v_mov_b64_e32 v[2:3], v[0:1]
.LBB150_3:                              ; =>This Inner Loop Header: Depth=1
	v_lshl_add_u64 v[2:3], v[2:3], 0, s[4:5]
	v_cmp_le_i64_e32 vcc, s[20:21], v[2:3]
	buffer_store_dword v1, v4, s[8:11], 0 offen
	s_or_b64 s[14:15], vcc, s[14:15]
	v_add_u32_e32 v4, s3, v4
	s_andn2_b64 exec, exec, s[14:15]
	s_cbranch_execnz .LBB150_3
.LBB150_4:
	s_or_b64 exec, exec, s[12:13]
	s_mov_b64 s[12:13], 0
.LBB150_5:
	s_andn2_b64 vcc, exec, s[12:13]
	s_cbranch_vccnz .LBB150_9
; %bb.6:
	v_cmp_gt_i32_e32 vcc, s20, v0
	s_and_saveexec_b64 s[4:5], vcc
	s_cbranch_execz .LBB150_9
; %bb.7:
	s_load_dwordx2 s[12:13], s[0:1], 0x8
	s_load_dwordx2 s[4:5], s[0:1], 0x18
	s_mul_hi_i32 s7, s20, s6
	s_mul_i32 s6, s20, s6
	s_lshl_b64 s[6:7], s[6:7], 3
	s_load_dword s14, s[0:1], 0x3c
	s_waitcnt lgkmcnt(0)
	s_add_u32 s0, s4, s6
	s_addc_u32 s1, s5, s7
	s_lshl_b64 s[6:7], s[20:21], 2
	s_add_u32 s4, s0, s6
	s_addc_u32 s3, s1, s7
	s_and_b32 s5, s3, 0xffff
	s_mul_i32 s3, s2, s21
	s_mul_hi_u32 s15, s2, s20
	s_add_i32 s3, s15, s3
	s_mul_i32 s2, s2, s20
	s_and_b32 s1, s1, 0xffff
	s_lshl_b64 s[2:3], s[2:3], 3
	s_add_u32 s12, s12, s2
	s_addc_u32 s2, s13, s3
	s_add_u32 s16, s12, s6
	s_mov_b32 s11, 0x20000
	s_addc_u32 s3, s2, s7
	s_and_b32 s22, s14, 0xffff
	s_and_b32 s13, s2, 0xffff
	;; [unrolled: 1-line block ×3, first 2 shown]
	s_mov_b32 s23, 0
	v_mov_b32_e32 v1, 0
	v_lshlrev_b32_e32 v2, 2, v0
	s_lshl_b32 s26, s22, 2
	s_mov_b64 s[24:25], 0
	s_mov_b32 s7, s11
	s_mov_b32 s6, s10
	;; [unrolled: 1-line block ×7, first 2 shown]
	v_mov_b32_e32 v3, 0x7f800000
	s_mov_b32 s18, s10
	s_mov_b32 s19, s11
	;; [unrolled: 1-line block ×4, first 2 shown]
.LBB150_8:                              ; =>This Inner Loop Header: Depth=1
	buffer_load_dword v5, v2, s[12:15], 0 offen
	buffer_load_dword v4, v2, s[16:19], 0 offen
	;; [unrolled: 1-line block ×4, first 2 shown]
	v_lshl_add_u64 v[0:1], v[0:1], 0, s[22:23]
	s_waitcnt vmcnt(0)
	v_pk_add_f32 v[4:5], v[4:5], v[6:7]
	s_nop 0
	v_mul_f32_e32 v6, 0xbfb8aa3b, v5
	v_fma_f32 v7, v5, s27, -v6
	v_rndne_f32_e32 v8, v6
	v_fmac_f32_e32 v7, 0xb2a5705f, v5
	v_sub_f32_e32 v6, v6, v8
	v_add_f32_e32 v6, v6, v7
	v_cvt_i32_f32_e32 v8, v8
	v_exp_f32_e32 v6, v6
	v_cmp_nlt_f32_e32 vcc, s28, v5
	v_ldexp_f32 v6, v6, v8
	s_nop 0
	v_cndmask_b32_e32 v6, 0, v6, vcc
	v_cmp_ngt_f32_e32 vcc, s29, v5
	s_nop 1
	v_cndmask_b32_e32 v6, v3, v6, vcc
	v_add_f32_e32 v6, 1.0, v6
	v_rcp_f32_e32 v6, v6
	v_cmp_le_i64_e32 vcc, s[20:21], v[0:1]
	s_or_b64 s[24:25], vcc, s[24:25]
	v_mul_f32_e32 v5, v5, v6
	v_mul_f32_e32 v4, v4, v5
	buffer_store_dword v4, v2, s[8:11], 0 offen
	v_add_u32_e32 v2, s26, v2
	s_andn2_b64 exec, exec, s[24:25]
	s_cbranch_execnz .LBB150_8
.LBB150_9:
	s_endpgm
	.section	.rodata,"a",@progbits
	.p2align	6, 0x0
	.amdhsa_kernel _ZN5aiter23act_and_mul_bias_kernelIffsfTnPFfRKT2_EXadL_ZNS_11silu_kernelIfEEfRKT_EELi1EEEvPT0_PS8_PKT1_PS2_il
		.amdhsa_group_segment_fixed_size 0
		.amdhsa_private_segment_fixed_size 0
		.amdhsa_kernarg_size 304
		.amdhsa_user_sgpr_count 2
		.amdhsa_user_sgpr_dispatch_ptr 0
		.amdhsa_user_sgpr_queue_ptr 0
		.amdhsa_user_sgpr_kernarg_segment_ptr 1
		.amdhsa_user_sgpr_dispatch_id 0
		.amdhsa_user_sgpr_kernarg_preload_length 0
		.amdhsa_user_sgpr_kernarg_preload_offset 0
		.amdhsa_user_sgpr_private_segment_size 0
		.amdhsa_uses_dynamic_stack 0
		.amdhsa_enable_private_segment 0
		.amdhsa_system_sgpr_workgroup_id_x 1
		.amdhsa_system_sgpr_workgroup_id_y 0
		.amdhsa_system_sgpr_workgroup_id_z 0
		.amdhsa_system_sgpr_workgroup_info 0
		.amdhsa_system_vgpr_workitem_id 0
		.amdhsa_next_free_vgpr 9
		.amdhsa_next_free_sgpr 30
		.amdhsa_accum_offset 12
		.amdhsa_reserve_vcc 1
		.amdhsa_float_round_mode_32 0
		.amdhsa_float_round_mode_16_64 0
		.amdhsa_float_denorm_mode_32 3
		.amdhsa_float_denorm_mode_16_64 3
		.amdhsa_dx10_clamp 1
		.amdhsa_ieee_mode 1
		.amdhsa_fp16_overflow 0
		.amdhsa_tg_split 0
		.amdhsa_exception_fp_ieee_invalid_op 0
		.amdhsa_exception_fp_denorm_src 0
		.amdhsa_exception_fp_ieee_div_zero 0
		.amdhsa_exception_fp_ieee_overflow 0
		.amdhsa_exception_fp_ieee_underflow 0
		.amdhsa_exception_fp_ieee_inexact 0
		.amdhsa_exception_int_div_zero 0
	.end_amdhsa_kernel
	.section	.text._ZN5aiter23act_and_mul_bias_kernelIffsfTnPFfRKT2_EXadL_ZNS_11silu_kernelIfEEfRKT_EELi1EEEvPT0_PS8_PKT1_PS2_il,"axG",@progbits,_ZN5aiter23act_and_mul_bias_kernelIffsfTnPFfRKT2_EXadL_ZNS_11silu_kernelIfEEfRKT_EELi1EEEvPT0_PS8_PKT1_PS2_il,comdat
.Lfunc_end150:
	.size	_ZN5aiter23act_and_mul_bias_kernelIffsfTnPFfRKT2_EXadL_ZNS_11silu_kernelIfEEfRKT_EELi1EEEvPT0_PS8_PKT1_PS2_il, .Lfunc_end150-_ZN5aiter23act_and_mul_bias_kernelIffsfTnPFfRKT2_EXadL_ZNS_11silu_kernelIfEEfRKT_EELi1EEEvPT0_PS8_PKT1_PS2_il
                                        ; -- End function
	.section	.AMDGPU.csdata,"",@progbits
; Kernel info:
; codeLenInByte = 700
; NumSgprs: 36
; NumVgprs: 9
; NumAgprs: 0
; TotalNumVgprs: 9
; ScratchSize: 0
; MemoryBound: 0
; FloatMode: 240
; IeeeMode: 1
; LDSByteSize: 0 bytes/workgroup (compile time only)
; SGPRBlocks: 4
; VGPRBlocks: 1
; NumSGPRsForWavesPerEU: 36
; NumVGPRsForWavesPerEU: 9
; AccumOffset: 12
; Occupancy: 8
; WaveLimiterHint : 0
; COMPUTE_PGM_RSRC2:SCRATCH_EN: 0
; COMPUTE_PGM_RSRC2:USER_SGPR: 2
; COMPUTE_PGM_RSRC2:TRAP_HANDLER: 0
; COMPUTE_PGM_RSRC2:TGID_X_EN: 1
; COMPUTE_PGM_RSRC2:TGID_Y_EN: 0
; COMPUTE_PGM_RSRC2:TGID_Z_EN: 0
; COMPUTE_PGM_RSRC2:TIDIG_COMP_CNT: 0
; COMPUTE_PGM_RSRC3_GFX90A:ACCUM_OFFSET: 2
; COMPUTE_PGM_RSRC3_GFX90A:TG_SPLIT: 0
	.section	.text._ZN5aiter23act_and_mul_bias_kernelIDF16_DF16_sfTnPFfRKT2_EXadL_ZNS_11silu_kernelIfEEfRKT_EELi32EEEvPT0_PS8_PKT1_PS2_il,"axG",@progbits,_ZN5aiter23act_and_mul_bias_kernelIDF16_DF16_sfTnPFfRKT2_EXadL_ZNS_11silu_kernelIfEEfRKT_EELi32EEEvPT0_PS8_PKT1_PS2_il,comdat
	.protected	_ZN5aiter23act_and_mul_bias_kernelIDF16_DF16_sfTnPFfRKT2_EXadL_ZNS_11silu_kernelIfEEfRKT_EELi32EEEvPT0_PS8_PKT1_PS2_il ; -- Begin function _ZN5aiter23act_and_mul_bias_kernelIDF16_DF16_sfTnPFfRKT2_EXadL_ZNS_11silu_kernelIfEEfRKT_EELi32EEEvPT0_PS8_PKT1_PS2_il
	.globl	_ZN5aiter23act_and_mul_bias_kernelIDF16_DF16_sfTnPFfRKT2_EXadL_ZNS_11silu_kernelIfEEfRKT_EELi32EEEvPT0_PS8_PKT1_PS2_il
	.p2align	8
	.type	_ZN5aiter23act_and_mul_bias_kernelIDF16_DF16_sfTnPFfRKT2_EXadL_ZNS_11silu_kernelIfEEfRKT_EELi32EEEvPT0_PS8_PKT1_PS2_il,@function
_ZN5aiter23act_and_mul_bias_kernelIDF16_DF16_sfTnPFfRKT2_EXadL_ZNS_11silu_kernelIfEEfRKT_EELi32EEEvPT0_PS8_PKT1_PS2_il: ; @_ZN5aiter23act_and_mul_bias_kernelIDF16_DF16_sfTnPFfRKT2_EXadL_ZNS_11silu_kernelIfEEfRKT_EELi32EEEvPT0_PS8_PKT1_PS2_il
; %bb.0:
	s_load_dword s6, s[0:1], 0x20
	s_load_dwordx2 s[4:5], s[0:1], 0x10
	s_load_dwordx2 s[8:9], s[0:1], 0x28
	s_mov_b32 s3, 0
	s_lshl_b64 s[10:11], s[2:3], 1
	s_waitcnt lgkmcnt(0)
	s_ashr_i32 s7, s6, 31
	s_add_u32 s4, s4, s10
	s_addc_u32 s5, s5, s11
	v_mov_b32_e32 v1, 0
	global_load_ushort v1, v1, s[4:5]
	s_mul_hi_u32 s3, s6, s2
	s_mul_i32 s5, s7, s2
	s_add_i32 s10, s6, 1
	s_add_i32 s5, s3, s5
	s_lshr_b32 s3, s10, 31
	s_load_dwordx2 s[14:15], s[0:1], 0x0
	s_add_i32 s10, s10, s3
	s_lshl_b32 s3, s10, 1
	s_mul_i32 s4, s6, s2
	s_and_b32 s10, s3, -4
	v_mov_b64_e32 v[2:3], s[8:9]
	s_lshl_b64 s[8:9], s[4:5], 1
	s_mov_b64 s[12:13], -1
	v_lshlrev_b32_e32 v4, 5, v0
	s_waitcnt vmcnt(0)
	v_readfirstlane_b32 s3, v1
	s_sext_i32_i16 s4, s3
	s_ashr_i32 s5, s4, 31
	s_waitcnt lgkmcnt(0)
	s_add_u32 s8, s14, s8
	s_addc_u32 s3, s15, s9
	s_and_b32 s9, s3, 0xffff
	s_cmp_gt_i32 s4, -1
	v_cmp_lt_i64_e32 vcc, s[4:5], v[2:3]
	s_cselect_b64 s[14:15], -1, 0
	s_and_b64 s[14:15], s[14:15], vcc
	s_and_b64 vcc, exec, s[14:15]
	s_cbranch_vccnz .LBB151_5
; %bb.1:
	v_cmp_gt_i32_e32 vcc, s6, v4
	s_and_saveexec_b64 s[12:13], vcc
	s_cbranch_execz .LBB151_4
; %bb.2:
	s_load_dword s3, s[0:1], 0x3c
	s_mov_b32 s15, 0
	s_mov_b32 s20, s15
	;; [unrolled: 1-line block ×3, first 2 shown]
	v_mov_b32_e32 v5, 0
	v_lshlrev_b32_e32 v8, 6, v0
	s_waitcnt lgkmcnt(0)
	s_and_b32 s3, s3, 0xffff
	s_mov_b32 s22, s15
	s_mov_b32 s23, s15
	v_mov_b64_e32 v[0:1], s[20:21]
	s_lshl_b32 s14, s3, 5
	s_lshl_b32 s3, s3, 6
	s_mov_b64 s[16:17], 0
	s_mov_b32 s11, 0x20000
	v_mov_b64_e32 v[2:3], s[22:23]
	v_mov_b64_e32 v[6:7], v[4:5]
.LBB151_3:                              ; =>This Inner Loop Header: Depth=1
	v_lshl_add_u64 v[6:7], s[14:15], 0, v[6:7]
	v_cmp_le_i64_e32 vcc, s[6:7], v[6:7]
	buffer_store_dwordx4 v[0:3], v8, s[8:11], 0 offen
	buffer_store_dwordx4 v[0:3], v8, s[8:11], 16 offen
	;; [unrolled: 1-line block ×4, first 2 shown]
	s_or_b64 s[16:17], vcc, s[16:17]
	v_add_u32_e32 v8, s3, v8
	s_andn2_b64 exec, exec, s[16:17]
	s_cbranch_execnz .LBB151_3
.LBB151_4:
	s_or_b64 exec, exec, s[12:13]
	s_mov_b64 s[12:13], 0
.LBB151_5:
	s_andn2_b64 vcc, exec, s[12:13]
	s_cbranch_vccnz .LBB151_9
; %bb.6:
	v_cmp_gt_i32_e32 vcc, s6, v4
	s_and_saveexec_b64 s[12:13], vcc
	s_cbranch_execz .LBB151_9
; %bb.7:
	s_load_dwordx2 s[12:13], s[0:1], 0x18
	s_load_dwordx2 s[18:19], s[0:1], 0x8
	s_mul_hi_i32 s5, s6, s4
	s_mul_i32 s4, s6, s4
	s_lshl_b64 s[4:5], s[4:5], 3
	s_waitcnt lgkmcnt(0)
	s_add_u32 s12, s12, s4
	s_addc_u32 s3, s13, s5
	s_lshl_b64 s[4:5], s[6:7], 2
	s_add_u32 s16, s12, s4
	s_addc_u32 s4, s3, s5
	s_and_b32 s13, s3, 0xffff
	s_and_b32 s17, s4, 0xffff
	s_mul_i32 s3, s2, s7
	s_mul_hi_u32 s4, s2, s6
	s_add_i32 s3, s4, s3
	s_mul_i32 s2, s2, s6
	s_lshl_b32 s14, s6, 2
	s_lshl_b64 s[2:3], s[2:3], 2
	s_add_u32 s20, s18, s2
	s_addc_u32 s4, s19, s3
	s_lshl_b64 s[2:3], s[6:7], 1
	s_add_u32 s24, s20, s2
	s_addc_u32 s2, s4, s3
	s_and_b32 s21, s4, 0xffff
	s_and_b32 s25, s2, 0xffff
	s_mov_b32 s11, 0x20000
	s_add_u32 s28, s0, 48
	s_mov_b32 s15, s11
	v_mov_b32_e32 v5, 0
	s_addc_u32 s29, s1, 0
	s_mov_b64 s[30:31], 0
	s_mov_b32 s22, s10
	s_mov_b32 s23, s11
	;; [unrolled: 1-line block ×3, first 2 shown]
	s_movk_i32 s33, 0x50
	s_movk_i32 s36, 0x60
	;; [unrolled: 1-line block ×3, first 2 shown]
	s_mov_b32 s38, 0xbfb8aa3b
	s_mov_b32 s39, 0x42ce8ed0
	;; [unrolled: 1-line block ×3, first 2 shown]
	v_mov_b32_e32 v76, 0x7f800000
	s_mov_b32 s26, s10
	s_mov_b32 s27, s11
.LBB151_8:                              ; =>This Inner Loop Header: Depth=1
	v_lshlrev_b32_e32 v77, 1, v4
	buffer_load_dwordx4 v[6:9], v77, s[24:27], 0 offen
	buffer_load_dwordx4 v[10:13], v77, s[20:23], 0 offen
	;; [unrolled: 1-line block ×8, first 2 shown]
	s_mov_b32 s18, s14
	s_mov_b32 s19, s15
	v_lshlrev_b32_e32 v82, 2, v4
	buffer_load_dwordx4 v[78:81], v82, s[16:19], 64 offen
	s_waitcnt vmcnt(8)
	v_cvt_f32_f16_e32 v0, v6
	v_cvt_f32_f16_sdwa v1, v6 dst_sel:DWORD dst_unused:UNUSED_PAD src0_sel:WORD_1
	v_cvt_f32_f16_e32 v2, v7
	v_cvt_f32_f16_sdwa v3, v7 dst_sel:DWORD dst_unused:UNUSED_PAD src0_sel:WORD_1
	s_waitcnt vmcnt(7)
	v_cvt_f32_f16_e32 v62, v10
	v_cvt_f32_f16_sdwa v63, v10 dst_sel:DWORD dst_unused:UNUSED_PAD src0_sel:WORD_1
	v_cvt_f32_f16_e32 v64, v11
	s_waitcnt vmcnt(1)
	v_cvt_f32_f16_e32 v42, v66
	v_cvt_f32_f16_sdwa v43, v66 dst_sel:DWORD dst_unused:UNUSED_PAD src0_sel:WORD_1
	v_cvt_f32_f16_e32 v44, v67
	v_cvt_f32_f16_sdwa v45, v67 dst_sel:DWORD dst_unused:UNUSED_PAD src0_sel:WORD_1
	;; [unrolled: 2-line block ×4, first 2 shown]
	buffer_load_dwordx4 v[66:69], v82, s[16:19], 0 offen
	v_cvt_f32_f16_sdwa v65, v11 dst_sel:DWORD dst_unused:UNUSED_PAD src0_sel:WORD_1
	v_cvt_f32_f16_e32 v6, v8
	v_cvt_f32_f16_sdwa v7, v8 dst_sel:DWORD dst_unused:UNUSED_PAD src0_sel:WORD_1
	v_cvt_f32_f16_e32 v8, v9
	;; [unrolled: 2-line block ×24, first 2 shown]
	v_cvt_f32_f16_sdwa v33, v33 dst_sel:DWORD dst_unused:UNUSED_PAD src0_sel:WORD_1
	s_waitcnt vmcnt(0)
	v_pk_add_f32 v[0:1], v[66:67], v[0:1]
	v_pk_add_f32 v[2:3], v[68:69], v[2:3]
	buffer_load_dwordx4 v[66:69], v82, s[12:15], 0 offen
	s_waitcnt vmcnt(0)
	v_pk_add_f32 v[74:75], v[66:67], v[62:63]
	v_pk_add_f32 v[72:73], v[68:69], v[64:65]
	buffer_load_dwordx4 v[62:65], v82, s[16:19], 16 offen
	v_cmp_nlt_f32_e32 vcc, s39, v75
	v_cmp_nlt_f32_e64 s[0:1], s39, v74
	v_cmp_ngt_f32_e64 s[2:3], s40, v75
	v_cmp_ngt_f32_e64 s[4:5], s40, v74
	s_waitcnt vmcnt(0)
	v_pk_add_f32 v[6:7], v[62:63], v[6:7]
	v_pk_add_f32 v[8:9], v[64:65], v[8:9]
	buffer_load_dwordx4 v[62:65], v82, s[12:15], 16 offen
	s_waitcnt vmcnt(0)
	v_pk_add_f32 v[70:71], v[62:63], v[10:11]
	v_pk_add_f32 v[68:69], v[64:65], v[56:57]
	buffer_load_dwordx4 v[62:65], v82, s[16:19], 32 offen
	;; [unrolled: 4-line block ×4, first 2 shown]
	s_waitcnt vmcnt(0)
	v_pk_add_f32 v[16:17], v[58:59], v[16:17]
	buffer_load_dwordx4 v[58:61], v82, s[12:15], 48 offen
	v_pk_add_f32 v[14:15], v[56:57], v[14:15]
	s_waitcnt vmcnt(0)
	v_pk_add_f32 v[58:59], v[58:59], v[18:19]
	v_pk_add_f32 v[62:63], v[60:61], v[46:47]
	;; [unrolled: 1-line block ×4, first 2 shown]
	buffer_load_dwordx4 v[46:49], v82, s[12:15], 64 offen
	s_waitcnt vmcnt(0)
	v_pk_add_f32 v[64:65], v[46:47], v[50:51]
	v_pk_add_f32 v[60:61], v[48:49], v[52:53]
	buffer_load_dwordx4 v[46:49], v82, s[16:19], s33 offen
	s_waitcnt vmcnt(0)
	v_pk_add_f32 v[22:23], v[46:47], v[22:23]
	v_pk_add_f32 v[24:25], v[48:49], v[24:25]
	;; [unrolled: 4-line block ×5, first 2 shown]
	buffer_load_dwordx4 v[38:41], v82, s[16:19], s37 offen
	buffer_load_dwordx4 v[44:47], v82, s[12:15], s37 offen
	s_waitcnt vmcnt(1)
	v_pk_add_f32 v[32:33], v[40:41], v[32:33]
	s_waitcnt vmcnt(0)
	v_pk_add_f32 v[40:41], v[44:45], v[36:37]
	v_mul_f32_e32 v36, 0xbfb8aa3b, v74
	v_pk_add_f32 v[30:31], v[38:39], v[30:31]
	v_fma_f32 v37, v74, s38, -v36
	v_rndne_f32_e32 v38, v36
	v_fmac_f32_e32 v37, 0xb2a5705f, v74
	v_sub_f32_e32 v36, v36, v38
	v_add_f32_e32 v36, v36, v37
	v_mul_f32_e32 v37, 0xbfb8aa3b, v75
	v_cvt_i32_f32_e32 v38, v38
	v_exp_f32_e32 v36, v36
	v_fma_f32 v39, v75, s38, -v37
	v_rndne_f32_e32 v44, v37
	v_fmac_f32_e32 v39, 0xb2a5705f, v75
	v_sub_f32_e32 v37, v37, v44
	v_add_f32_e32 v37, v37, v39
	v_ldexp_f32 v36, v36, v38
	v_cvt_i32_f32_e32 v38, v44
	v_exp_f32_e32 v37, v37
	v_pk_add_f32 v[34:35], v[46:47], v[34:35]
	v_cndmask_b32_e64 v36, 0, v36, s[0:1]
	v_cmp_nlt_f32_e64 s[0:1], s39, v72
	v_ldexp_f32 v37, v37, v38
	v_mul_f32_e32 v38, 0xbfb8aa3b, v72
	v_fma_f32 v39, v72, s38, -v38
	v_rndne_f32_e32 v44, v38
	v_fmac_f32_e32 v39, 0xb2a5705f, v72
	v_sub_f32_e32 v38, v38, v44
	v_add_f32_e32 v38, v38, v39
	v_mul_f32_e32 v39, 0xbfb8aa3b, v73
	v_cvt_i32_f32_e32 v44, v44
	v_exp_f32_e32 v38, v38
	v_fma_f32 v45, v73, s38, -v39
	v_rndne_f32_e32 v46, v39
	v_fmac_f32_e32 v45, 0xb2a5705f, v73
	v_sub_f32_e32 v39, v39, v46
	v_add_f32_e32 v39, v39, v45
	v_ldexp_f32 v38, v38, v44
	v_cvt_i32_f32_e32 v44, v46
	v_exp_f32_e32 v39, v39
	v_cndmask_b32_e32 v37, 0, v37, vcc
	v_cmp_nlt_f32_e32 vcc, s39, v73
	v_cndmask_b32_e64 v36, v76, v36, s[4:5]
	v_ldexp_f32 v39, v39, v44
	v_mul_f32_e32 v44, 0xbfb8aa3b, v70
	v_fma_f32 v45, v70, s38, -v44
	v_rndne_f32_e32 v46, v44
	v_fmac_f32_e32 v45, 0xb2a5705f, v70
	v_sub_f32_e32 v44, v44, v46
	v_add_f32_e32 v44, v44, v45
	v_mul_f32_e32 v45, 0xbfb8aa3b, v71
	v_cvt_i32_f32_e32 v46, v46
	v_exp_f32_e32 v44, v44
	v_fma_f32 v47, v71, s38, -v45
	v_rndne_f32_e32 v50, v45
	v_fmac_f32_e32 v47, 0xb2a5705f, v71
	v_sub_f32_e32 v45, v45, v50
	v_add_f32_e32 v45, v45, v47
	v_ldexp_f32 v44, v44, v46
	v_cvt_i32_f32_e32 v46, v50
	v_exp_f32_e32 v45, v45
	v_cndmask_b32_e64 v37, v76, v37, s[2:3]
	v_cmp_ngt_f32_e64 s[2:3], s40, v73
	v_cmp_ngt_f32_e64 s[4:5], s40, v72
	v_cndmask_b32_e64 v38, 0, v38, s[0:1]
	v_cndmask_b32_e32 v39, 0, v39, vcc
	v_ldexp_f32 v45, v45, v46
	v_cmp_nlt_f32_e32 vcc, s39, v71
	v_cmp_nlt_f32_e64 s[0:1], s39, v70
	v_cndmask_b32_e64 v38, v76, v38, s[4:5]
	v_cndmask_b32_e64 v39, v76, v39, s[2:3]
	v_cmp_ngt_f32_e64 s[2:3], s40, v71
	v_cmp_ngt_f32_e64 s[4:5], s40, v70
	v_cndmask_b32_e64 v44, 0, v44, s[0:1]
	v_cndmask_b32_e32 v45, 0, v45, vcc
	v_cndmask_b32_e64 v44, v76, v44, s[4:5]
	v_cndmask_b32_e64 v45, v76, v45, s[2:3]
	v_add_f32_e32 v44, 1.0, v44
	v_add_f32_e32 v45, 1.0, v45
	v_mul_f32_e32 v46, 0xbfb8aa3b, v68
	v_rcp_f32_e32 v44, v44
	v_rcp_f32_e32 v45, v45
	v_fma_f32 v47, v68, s38, -v46
	v_rndne_f32_e32 v50, v46
	v_fmac_f32_e32 v47, 0xb2a5705f, v68
	v_sub_f32_e32 v46, v46, v50
	v_add_f32_e32 v46, v46, v47
	v_mul_f32_e32 v47, 0xbfb8aa3b, v69
	v_cvt_i32_f32_e32 v50, v50
	v_exp_f32_e32 v46, v46
	v_pk_mul_f32 v[44:45], v[70:71], v[44:45]
	v_fma_f32 v51, v69, s38, -v47
	v_rndne_f32_e32 v70, v47
	v_fmac_f32_e32 v51, 0xb2a5705f, v69
	v_sub_f32_e32 v47, v47, v70
	v_add_f32_e32 v47, v47, v51
	v_ldexp_f32 v46, v46, v50
	v_cvt_i32_f32_e32 v50, v70
	v_exp_f32_e32 v47, v47
	v_cmp_nlt_f32_e32 vcc, s39, v69
	v_cmp_nlt_f32_e64 s[0:1], s39, v68
	v_cmp_ngt_f32_e64 s[2:3], s40, v69
	v_ldexp_f32 v47, v47, v50
	v_cmp_ngt_f32_e64 s[4:5], s40, v68
	v_cndmask_b32_e64 v46, 0, v46, s[0:1]
	v_cndmask_b32_e32 v47, 0, v47, vcc
	v_cndmask_b32_e64 v46, v76, v46, s[4:5]
	v_cndmask_b32_e64 v47, v76, v47, s[2:3]
	v_add_f32_e32 v46, 1.0, v46
	v_add_f32_e32 v47, 1.0, v47
	v_rcp_f32_e32 v46, v46
	v_rcp_f32_e32 v47, v47
	v_mul_f32_e32 v50, 0xbfb8aa3b, v66
	v_fma_f32 v51, v66, s38, -v50
	v_fmac_f32_e32 v51, 0xb2a5705f, v66
	v_pk_mul_f32 v[46:47], v[68:69], v[46:47]
	v_rndne_f32_e32 v68, v50
	v_sub_f32_e32 v50, v50, v68
	v_add_f32_e32 v50, v50, v51
	v_mul_f32_e32 v51, 0xbfb8aa3b, v67
	v_cvt_i32_f32_e32 v68, v68
	v_exp_f32_e32 v50, v50
	v_fma_f32 v69, v67, s38, -v51
	v_rndne_f32_e32 v70, v51
	v_fmac_f32_e32 v69, 0xb2a5705f, v67
	v_sub_f32_e32 v51, v51, v70
	v_add_f32_e32 v51, v51, v69
	v_ldexp_f32 v50, v50, v68
	v_cvt_i32_f32_e32 v68, v70
	v_exp_f32_e32 v51, v51
	v_cmp_nlt_f32_e32 vcc, s39, v67
	v_cmp_nlt_f32_e64 s[0:1], s39, v66
	v_cmp_ngt_f32_e64 s[2:3], s40, v67
	v_ldexp_f32 v51, v51, v68
	v_cmp_ngt_f32_e64 s[4:5], s40, v66
	v_cndmask_b32_e64 v50, 0, v50, s[0:1]
	v_cndmask_b32_e32 v51, 0, v51, vcc
	v_cndmask_b32_e64 v50, v76, v50, s[4:5]
	v_cndmask_b32_e64 v51, v76, v51, s[2:3]
	v_add_f32_e32 v50, 1.0, v50
	v_add_f32_e32 v51, 1.0, v51
	v_rcp_f32_e32 v50, v50
	v_rcp_f32_e32 v51, v51
	v_cmp_nlt_f32_e32 vcc, s39, v55
	v_cmp_nlt_f32_e64 s[0:1], s39, v54
	v_cmp_ngt_f32_e64 s[2:3], s40, v55
	v_pk_mul_f32 v[50:51], v[66:67], v[50:51]
	v_mul_f32_e32 v66, 0xbfb8aa3b, v54
	v_fma_f32 v67, v54, s38, -v66
	v_rndne_f32_e32 v68, v66
	v_fmac_f32_e32 v67, 0xb2a5705f, v54
	v_sub_f32_e32 v66, v66, v68
	v_add_f32_e32 v66, v66, v67
	v_mul_f32_e32 v67, 0xbfb8aa3b, v55
	v_cvt_i32_f32_e32 v68, v68
	v_exp_f32_e32 v66, v66
	v_fma_f32 v69, v55, s38, -v67
	v_rndne_f32_e32 v70, v67
	v_fmac_f32_e32 v69, 0xb2a5705f, v55
	v_sub_f32_e32 v67, v67, v70
	v_add_f32_e32 v67, v67, v69
	v_ldexp_f32 v66, v66, v68
	v_cvt_i32_f32_e32 v68, v70
	v_exp_f32_e32 v67, v67
	v_cmp_ngt_f32_e64 s[4:5], s40, v54
	v_cndmask_b32_e64 v66, 0, v66, s[0:1]
	v_cmp_nlt_f32_e64 s[0:1], s39, v58
	v_ldexp_f32 v67, v67, v68
	v_cndmask_b32_e32 v67, 0, v67, vcc
	v_cndmask_b32_e64 v66, v76, v66, s[4:5]
	v_cndmask_b32_e64 v67, v76, v67, s[2:3]
	v_add_f32_e32 v66, 1.0, v66
	v_add_f32_e32 v67, 1.0, v67
	v_rcp_f32_e32 v66, v66
	v_rcp_f32_e32 v67, v67
	v_cmp_nlt_f32_e32 vcc, s39, v59
	v_cmp_ngt_f32_e64 s[2:3], s40, v59
	v_cmp_ngt_f32_e64 s[4:5], s40, v58
	v_pk_mul_f32 v[54:55], v[54:55], v[66:67]
	v_mul_f32_e32 v66, 0xbfb8aa3b, v58
	v_fma_f32 v67, v58, s38, -v66
	v_rndne_f32_e32 v68, v66
	v_fmac_f32_e32 v67, 0xb2a5705f, v58
	v_sub_f32_e32 v66, v66, v68
	v_add_f32_e32 v66, v66, v67
	v_mul_f32_e32 v67, 0xbfb8aa3b, v59
	v_cvt_i32_f32_e32 v68, v68
	v_exp_f32_e32 v66, v66
	v_fma_f32 v69, v59, s38, -v67
	v_rndne_f32_e32 v70, v67
	v_fmac_f32_e32 v69, 0xb2a5705f, v59
	v_sub_f32_e32 v67, v67, v70
	v_add_f32_e32 v67, v67, v69
	v_ldexp_f32 v66, v66, v68
	v_cvt_i32_f32_e32 v68, v70
	v_exp_f32_e32 v67, v67
	v_cndmask_b32_e64 v66, 0, v66, s[0:1]
	v_cndmask_b32_e64 v66, v76, v66, s[4:5]
	v_add_f32_e32 v66, 1.0, v66
	v_ldexp_f32 v67, v67, v68
	v_cndmask_b32_e32 v67, 0, v67, vcc
	v_cndmask_b32_e64 v67, v76, v67, s[2:3]
	v_add_f32_e32 v67, 1.0, v67
	v_rcp_f32_e32 v66, v66
	v_rcp_f32_e32 v67, v67
	v_cmp_nlt_f32_e32 vcc, s39, v63
	v_cmp_nlt_f32_e64 s[0:1], s39, v62
	v_cmp_ngt_f32_e64 s[2:3], s40, v63
	v_pk_mul_f32 v[58:59], v[58:59], v[66:67]
	v_mul_f32_e32 v66, 0xbfb8aa3b, v62
	v_fma_f32 v67, v62, s38, -v66
	v_rndne_f32_e32 v68, v66
	v_fmac_f32_e32 v67, 0xb2a5705f, v62
	v_sub_f32_e32 v66, v66, v68
	v_add_f32_e32 v66, v66, v67
	v_mul_f32_e32 v67, 0xbfb8aa3b, v63
	v_cvt_i32_f32_e32 v68, v68
	v_exp_f32_e32 v66, v66
	v_fma_f32 v69, v63, s38, -v67
	v_rndne_f32_e32 v70, v67
	v_fmac_f32_e32 v69, 0xb2a5705f, v63
	v_sub_f32_e32 v67, v67, v70
	v_add_f32_e32 v67, v67, v69
	v_ldexp_f32 v66, v66, v68
	v_cvt_i32_f32_e32 v68, v70
	v_exp_f32_e32 v67, v67
	v_cmp_ngt_f32_e64 s[4:5], s40, v62
	v_cndmask_b32_e64 v66, 0, v66, s[0:1]
	v_cmp_nlt_f32_e64 s[0:1], s39, v64
	v_ldexp_f32 v67, v67, v68
	v_cndmask_b32_e32 v67, 0, v67, vcc
	v_cndmask_b32_e64 v66, v76, v66, s[4:5]
	v_cndmask_b32_e64 v67, v76, v67, s[2:3]
	v_add_f32_e32 v66, 1.0, v66
	v_add_f32_e32 v67, 1.0, v67
	v_rcp_f32_e32 v66, v66
	v_rcp_f32_e32 v67, v67
	v_cmp_nlt_f32_e32 vcc, s39, v65
	v_cmp_ngt_f32_e64 s[2:3], s40, v65
	v_cmp_ngt_f32_e64 s[4:5], s40, v64
	v_pk_mul_f32 v[62:63], v[62:63], v[66:67]
	v_mul_f32_e32 v66, 0xbfb8aa3b, v64
	v_fma_f32 v67, v64, s38, -v66
	v_rndne_f32_e32 v68, v66
	v_fmac_f32_e32 v67, 0xb2a5705f, v64
	v_sub_f32_e32 v66, v66, v68
	v_add_f32_e32 v66, v66, v67
	v_mul_f32_e32 v67, 0xbfb8aa3b, v65
	v_cvt_i32_f32_e32 v68, v68
	v_exp_f32_e32 v66, v66
	v_fma_f32 v69, v65, s38, -v67
	v_rndne_f32_e32 v70, v67
	v_fmac_f32_e32 v69, 0xb2a5705f, v65
	v_sub_f32_e32 v67, v67, v70
	v_add_f32_e32 v67, v67, v69
	v_ldexp_f32 v66, v66, v68
	v_cvt_i32_f32_e32 v68, v70
	v_exp_f32_e32 v67, v67
	v_cndmask_b32_e64 v66, 0, v66, s[0:1]
	v_cndmask_b32_e64 v66, v76, v66, s[4:5]
	v_add_f32_e32 v66, 1.0, v66
	v_ldexp_f32 v67, v67, v68
	v_cndmask_b32_e32 v67, 0, v67, vcc
	v_cndmask_b32_e64 v67, v76, v67, s[2:3]
	;; [unrolled: 62-line block ×5, first 2 shown]
	v_add_f32_e32 v67, 1.0, v67
	v_rcp_f32_e32 v66, v66
	v_rcp_f32_e32 v67, v67
	v_cmp_nlt_f32_e32 vcc, s39, v35
	v_cmp_nlt_f32_e64 s[0:1], s39, v34
	v_cmp_ngt_f32_e64 s[2:3], s40, v35
	v_pk_mul_f32 v[40:41], v[40:41], v[66:67]
	v_mul_f32_e32 v66, 0xbfb8aa3b, v34
	v_fma_f32 v67, v34, s38, -v66
	v_rndne_f32_e32 v68, v66
	v_fmac_f32_e32 v67, 0xb2a5705f, v34
	v_sub_f32_e32 v66, v66, v68
	v_add_f32_e32 v66, v66, v67
	v_mul_f32_e32 v67, 0xbfb8aa3b, v35
	v_cvt_i32_f32_e32 v68, v68
	v_exp_f32_e32 v66, v66
	v_fma_f32 v69, v35, s38, -v67
	v_rndne_f32_e32 v70, v67
	v_fmac_f32_e32 v69, 0xb2a5705f, v35
	v_sub_f32_e32 v67, v67, v70
	v_add_f32_e32 v67, v67, v69
	v_ldexp_f32 v66, v66, v68
	v_cvt_i32_f32_e32 v68, v70
	v_exp_f32_e32 v67, v67
	v_cmp_ngt_f32_e64 s[4:5], s40, v34
	v_cndmask_b32_e64 v66, 0, v66, s[0:1]
	v_add_f32_e32 v36, 1.0, v36
	v_ldexp_f32 v67, v67, v68
	v_cndmask_b32_e32 v67, 0, v67, vcc
	v_cndmask_b32_e64 v66, v76, v66, s[4:5]
	v_cndmask_b32_e64 v67, v76, v67, s[2:3]
	v_add_f32_e32 v37, 1.0, v37
	v_add_f32_e32 v38, 1.0, v38
	;; [unrolled: 1-line block ×5, first 2 shown]
	v_rcp_f32_e32 v36, v36
	v_rcp_f32_e32 v37, v37
	;; [unrolled: 1-line block ×6, first 2 shown]
	v_pk_mul_f32 v[36:37], v[74:75], v[36:37]
	v_pk_mul_f32 v[38:39], v[72:73], v[38:39]
	;;#ASMSTART
	v_pk_mul_f32 v[0:1], v[36:37], v[0:1]
	;;#ASMEND
	v_pk_mul_f32 v[34:35], v[34:35], v[66:67]
	;;#ASMSTART
	v_pk_mul_f32 v[2:3], v[38:39], v[2:3]
	;;#ASMEND
	;;#ASMSTART
	v_pk_mul_f32 v[6:7], v[44:45], v[6:7]
	;;#ASMEND
	;; [unrolled: 3-line block ×14, first 2 shown]
	s_nop 0
	;;#ASMSTART
	v_pk_mul_f32 v[32:33], v[34:35], v[32:33]
	;;#ASMEND
	s_load_dword s0, s[28:29], 0xc
	v_cvt_f16_f32_e32 v0, v0
	v_cvt_f16_f32_e32 v34, v1
	;; [unrolled: 1-line block ×32, first 2 shown]
	s_waitcnt lgkmcnt(0)
	s_and_b32 s0, s0, 0xffff
	s_lshl_b32 s34, s0, 5
	v_lshl_add_u64 v[4:5], s[34:35], 0, v[4:5]
	v_cmp_le_i64_e32 vcc, s[6:7], v[4:5]
	v_pack_b32_f16 v1, v1, v2
	v_pack_b32_f16 v3, v3, v8
	;; [unrolled: 1-line block ×13, first 2 shown]
	s_or_b64 s[30:31], vcc, s[30:31]
	v_pack_b32_f16 v11, v19, v20
	v_pack_b32_f16 v13, v23, v24
	;; [unrolled: 1-line block ×3, first 2 shown]
	buffer_store_dwordx4 v[0:3], v77, s[8:11], 0 offen
	buffer_store_dwordx4 v[6:9], v77, s[8:11], 16 offen
	buffer_store_dwordx4 v[10:13], v77, s[8:11], 32 offen
	buffer_store_dwordx4 v[14:17], v77, s[8:11], 48 offen
	s_andn2_b64 exec, exec, s[30:31]
	s_cbranch_execnz .LBB151_8
.LBB151_9:
	s_endpgm
	.section	.rodata,"a",@progbits
	.p2align	6, 0x0
	.amdhsa_kernel _ZN5aiter23act_and_mul_bias_kernelIDF16_DF16_sfTnPFfRKT2_EXadL_ZNS_11silu_kernelIfEEfRKT_EELi32EEEvPT0_PS8_PKT1_PS2_il
		.amdhsa_group_segment_fixed_size 0
		.amdhsa_private_segment_fixed_size 0
		.amdhsa_kernarg_size 304
		.amdhsa_user_sgpr_count 2
		.amdhsa_user_sgpr_dispatch_ptr 0
		.amdhsa_user_sgpr_queue_ptr 0
		.amdhsa_user_sgpr_kernarg_segment_ptr 1
		.amdhsa_user_sgpr_dispatch_id 0
		.amdhsa_user_sgpr_kernarg_preload_length 0
		.amdhsa_user_sgpr_kernarg_preload_offset 0
		.amdhsa_user_sgpr_private_segment_size 0
		.amdhsa_uses_dynamic_stack 0
		.amdhsa_enable_private_segment 0
		.amdhsa_system_sgpr_workgroup_id_x 1
		.amdhsa_system_sgpr_workgroup_id_y 0
		.amdhsa_system_sgpr_workgroup_id_z 0
		.amdhsa_system_sgpr_workgroup_info 0
		.amdhsa_system_vgpr_workitem_id 0
		.amdhsa_next_free_vgpr 83
		.amdhsa_next_free_sgpr 41
		.amdhsa_accum_offset 84
		.amdhsa_reserve_vcc 1
		.amdhsa_float_round_mode_32 0
		.amdhsa_float_round_mode_16_64 0
		.amdhsa_float_denorm_mode_32 3
		.amdhsa_float_denorm_mode_16_64 3
		.amdhsa_dx10_clamp 1
		.amdhsa_ieee_mode 1
		.amdhsa_fp16_overflow 0
		.amdhsa_tg_split 0
		.amdhsa_exception_fp_ieee_invalid_op 0
		.amdhsa_exception_fp_denorm_src 0
		.amdhsa_exception_fp_ieee_div_zero 0
		.amdhsa_exception_fp_ieee_overflow 0
		.amdhsa_exception_fp_ieee_underflow 0
		.amdhsa_exception_fp_ieee_inexact 0
		.amdhsa_exception_int_div_zero 0
	.end_amdhsa_kernel
	.section	.text._ZN5aiter23act_and_mul_bias_kernelIDF16_DF16_sfTnPFfRKT2_EXadL_ZNS_11silu_kernelIfEEfRKT_EELi32EEEvPT0_PS8_PKT1_PS2_il,"axG",@progbits,_ZN5aiter23act_and_mul_bias_kernelIDF16_DF16_sfTnPFfRKT2_EXadL_ZNS_11silu_kernelIfEEfRKT_EELi32EEEvPT0_PS8_PKT1_PS2_il,comdat
.Lfunc_end151:
	.size	_ZN5aiter23act_and_mul_bias_kernelIDF16_DF16_sfTnPFfRKT2_EXadL_ZNS_11silu_kernelIfEEfRKT_EELi32EEEvPT0_PS8_PKT1_PS2_il, .Lfunc_end151-_ZN5aiter23act_and_mul_bias_kernelIDF16_DF16_sfTnPFfRKT2_EXadL_ZNS_11silu_kernelIfEEfRKT_EELi32EEEvPT0_PS8_PKT1_PS2_il
                                        ; -- End function
	.section	.AMDGPU.csdata,"",@progbits
; Kernel info:
; codeLenInByte = 4916
; NumSgprs: 47
; NumVgprs: 83
; NumAgprs: 0
; TotalNumVgprs: 83
; ScratchSize: 0
; MemoryBound: 0
; FloatMode: 240
; IeeeMode: 1
; LDSByteSize: 0 bytes/workgroup (compile time only)
; SGPRBlocks: 5
; VGPRBlocks: 10
; NumSGPRsForWavesPerEU: 47
; NumVGPRsForWavesPerEU: 83
; AccumOffset: 84
; Occupancy: 5
; WaveLimiterHint : 0
; COMPUTE_PGM_RSRC2:SCRATCH_EN: 0
; COMPUTE_PGM_RSRC2:USER_SGPR: 2
; COMPUTE_PGM_RSRC2:TRAP_HANDLER: 0
; COMPUTE_PGM_RSRC2:TGID_X_EN: 1
; COMPUTE_PGM_RSRC2:TGID_Y_EN: 0
; COMPUTE_PGM_RSRC2:TGID_Z_EN: 0
; COMPUTE_PGM_RSRC2:TIDIG_COMP_CNT: 0
; COMPUTE_PGM_RSRC3_GFX90A:ACCUM_OFFSET: 20
; COMPUTE_PGM_RSRC3_GFX90A:TG_SPLIT: 0
	.section	.text._ZN5aiter23act_and_mul_bias_kernelIDF16_DF16_sfTnPFfRKT2_EXadL_ZNS_11silu_kernelIfEEfRKT_EELi16EEEvPT0_PS8_PKT1_PS2_il,"axG",@progbits,_ZN5aiter23act_and_mul_bias_kernelIDF16_DF16_sfTnPFfRKT2_EXadL_ZNS_11silu_kernelIfEEfRKT_EELi16EEEvPT0_PS8_PKT1_PS2_il,comdat
	.protected	_ZN5aiter23act_and_mul_bias_kernelIDF16_DF16_sfTnPFfRKT2_EXadL_ZNS_11silu_kernelIfEEfRKT_EELi16EEEvPT0_PS8_PKT1_PS2_il ; -- Begin function _ZN5aiter23act_and_mul_bias_kernelIDF16_DF16_sfTnPFfRKT2_EXadL_ZNS_11silu_kernelIfEEfRKT_EELi16EEEvPT0_PS8_PKT1_PS2_il
	.globl	_ZN5aiter23act_and_mul_bias_kernelIDF16_DF16_sfTnPFfRKT2_EXadL_ZNS_11silu_kernelIfEEfRKT_EELi16EEEvPT0_PS8_PKT1_PS2_il
	.p2align	8
	.type	_ZN5aiter23act_and_mul_bias_kernelIDF16_DF16_sfTnPFfRKT2_EXadL_ZNS_11silu_kernelIfEEfRKT_EELi16EEEvPT0_PS8_PKT1_PS2_il,@function
_ZN5aiter23act_and_mul_bias_kernelIDF16_DF16_sfTnPFfRKT2_EXadL_ZNS_11silu_kernelIfEEfRKT_EELi16EEEvPT0_PS8_PKT1_PS2_il: ; @_ZN5aiter23act_and_mul_bias_kernelIDF16_DF16_sfTnPFfRKT2_EXadL_ZNS_11silu_kernelIfEEfRKT_EELi16EEEvPT0_PS8_PKT1_PS2_il
; %bb.0:
	s_load_dword s24, s[0:1], 0x20
	s_load_dwordx2 s[4:5], s[0:1], 0x10
	s_load_dwordx2 s[6:7], s[0:1], 0x28
	s_mov_b32 s3, 0
	s_lshl_b64 s[8:9], s[2:3], 1
	s_waitcnt lgkmcnt(0)
	s_ashr_i32 s25, s24, 31
	s_add_u32 s4, s4, s8
	s_addc_u32 s5, s5, s9
	v_mov_b32_e32 v1, 0
	global_load_ushort v1, v1, s[4:5]
	s_mul_hi_u32 s3, s24, s2
	v_mov_b64_e32 v[2:3], s[6:7]
	s_mul_i32 s6, s25, s2
	s_add_i32 s7, s24, 1
	s_add_i32 s9, s3, s6
	s_lshr_b32 s3, s7, 31
	s_load_dwordx2 s[4:5], s[0:1], 0x0
	s_add_i32 s7, s7, s3
	s_lshl_b32 s3, s7, 1
	s_mul_i32 s8, s24, s2
	s_and_b32 s6, s3, -4
	s_lshl_b64 s[12:13], s[8:9], 1
	s_mov_b64 s[10:11], -1
	v_lshlrev_b32_e32 v44, 4, v0
	s_waitcnt vmcnt(0)
	v_readfirstlane_b32 s3, v1
	s_sext_i32_i16 s8, s3
	s_ashr_i32 s9, s8, 31
	s_waitcnt lgkmcnt(0)
	s_add_u32 s4, s4, s12
	s_addc_u32 s3, s5, s13
	s_and_b32 s5, s3, 0xffff
	s_cmp_gt_i32 s8, -1
	v_cmp_lt_i64_e32 vcc, s[8:9], v[2:3]
	s_cselect_b64 s[12:13], -1, 0
	s_and_b64 s[12:13], s[12:13], vcc
	s_and_b64 vcc, exec, s[12:13]
	s_cbranch_vccnz .LBB152_5
; %bb.1:
	v_cmp_gt_i32_e32 vcc, s24, v44
	s_and_saveexec_b64 s[10:11], vcc
	s_cbranch_execz .LBB152_4
; %bb.2:
	s_load_dword s3, s[0:1], 0x3c
	s_mov_b32 s13, 0
	s_mov_b32 s16, s13
	;; [unrolled: 1-line block ×3, first 2 shown]
	v_mov_b32_e32 v45, 0
	v_lshlrev_b32_e32 v6, 5, v0
	s_waitcnt lgkmcnt(0)
	s_and_b32 s3, s3, 0xffff
	s_mov_b32 s18, s13
	s_mov_b32 s19, s13
	v_mov_b64_e32 v[0:1], s[16:17]
	s_lshl_b32 s12, s3, 4
	s_lshl_b32 s3, s3, 5
	s_mov_b64 s[14:15], 0
	s_mov_b32 s7, 0x20000
	v_mov_b64_e32 v[2:3], s[18:19]
	v_mov_b64_e32 v[4:5], v[44:45]
.LBB152_3:                              ; =>This Inner Loop Header: Depth=1
	v_lshl_add_u64 v[4:5], s[12:13], 0, v[4:5]
	v_cmp_le_i64_e32 vcc, s[24:25], v[4:5]
	buffer_store_dwordx4 v[0:3], v6, s[4:7], 0 offen
	buffer_store_dwordx4 v[0:3], v6, s[4:7], 16 offen
	s_or_b64 s[14:15], vcc, s[14:15]
	v_add_u32_e32 v6, s3, v6
	s_andn2_b64 exec, exec, s[14:15]
	s_cbranch_execnz .LBB152_3
.LBB152_4:
	s_or_b64 exec, exec, s[10:11]
	s_mov_b64 s[10:11], 0
.LBB152_5:
	s_andn2_b64 vcc, exec, s[10:11]
	s_cbranch_vccnz .LBB152_9
; %bb.6:
	v_cmp_gt_i32_e32 vcc, s24, v44
	s_and_saveexec_b64 s[10:11], vcc
	s_cbranch_execz .LBB152_9
; %bb.7:
	s_load_dwordx2 s[10:11], s[0:1], 0x18
	s_load_dwordx2 s[14:15], s[0:1], 0x8
	s_mul_hi_i32 s9, s24, s8
	s_mul_i32 s8, s24, s8
	s_lshl_b64 s[8:9], s[8:9], 3
	s_waitcnt lgkmcnt(0)
	s_add_u32 s8, s10, s8
	s_addc_u32 s3, s11, s9
	s_lshl_b64 s[10:11], s[24:25], 2
	s_add_u32 s12, s8, s10
	s_addc_u32 s13, s3, s11
	s_and_b32 s9, s3, 0xffff
	s_mul_i32 s3, s2, s25
	s_mul_hi_u32 s16, s2, s24
	s_add_i32 s3, s16, s3
	s_mul_i32 s2, s2, s24
	s_lshl_b32 s10, s24, 2
	s_and_b32 s13, s13, 0xffff
	s_lshl_b64 s[2:3], s[2:3], 2
	s_add_u32 s16, s14, s2
	s_addc_u32 s14, s15, s3
	s_lshl_b64 s[2:3], s[24:25], 1
	s_add_u32 s20, s16, s2
	s_addc_u32 s2, s14, s3
	s_and_b32 s17, s14, 0xffff
	s_and_b32 s21, s2, 0xffff
	s_mov_b32 s7, 0x20000
	s_add_u32 s0, s0, 48
	s_mov_b32 s11, s7
	v_mov_b32_e32 v45, 0
	s_addc_u32 s1, s1, 0
	s_mov_b64 s[2:3], 0
	s_mov_b32 s18, s6
	s_mov_b32 s19, s7
	;; [unrolled: 1-line block ×6, first 2 shown]
	v_mov_b32_e32 v46, 0x7f800000
	s_mov_b32 s22, s6
	s_mov_b32 s23, s7
.LBB152_8:                              ; =>This Inner Loop Header: Depth=1
	v_lshlrev_b32_e32 v47, 1, v44
	buffer_load_dwordx4 v[24:27], v47, s[16:19], 0 offen
	buffer_load_dwordx4 v[4:7], v47, s[16:19], 16 offen
	;; [unrolled: 1-line block ×4, first 2 shown]
	v_lshlrev_b32_e32 v52, 2, v44
	s_mov_b32 s14, s10
	s_mov_b32 s15, s11
	buffer_load_dwordx4 v[40:43], v52, s[8:11], 0 offen
	buffer_load_dwordx4 v[28:31], v52, s[8:11], 16 offen
	;; [unrolled: 1-line block ×8, first 2 shown]
	s_waitcnt vmcnt(9)
	v_cvt_f32_f16_e32 v52, v32
	v_cvt_f32_f16_sdwa v53, v32 dst_sel:DWORD dst_unused:UNUSED_PAD src0_sel:WORD_1
	s_waitcnt vmcnt(3)
	v_pk_add_f32 v[48:49], v[48:49], v[52:53]
	v_cvt_f32_f16_e32 v52, v24
	v_cvt_f32_f16_sdwa v53, v24 dst_sel:DWORD dst_unused:UNUSED_PAD src0_sel:WORD_1
	v_pk_add_f32 v[40:41], v[40:41], v[52:53]
	s_nop 0
	v_mul_f32_e32 v24, 0xbfb8aa3b, v40
	v_fma_f32 v32, v40, s28, -v24
	v_rndne_f32_e32 v52, v24
	v_fmac_f32_e32 v32, 0xb2a5705f, v40
	v_sub_f32_e32 v24, v24, v52
	v_add_f32_e32 v24, v24, v32
	v_exp_f32_e32 v24, v24
	v_cvt_i32_f32_e32 v32, v52
	v_cmp_nlt_f32_e32 vcc, s29, v40
	v_ldexp_f32 v24, v24, v32
	s_nop 0
	v_cndmask_b32_e32 v24, 0, v24, vcc
	v_cmp_ngt_f32_e32 vcc, s30, v40
	s_nop 1
	v_cndmask_b32_e32 v24, v46, v24, vcc
	v_add_f32_e32 v24, 1.0, v24
	v_rcp_f32_e32 v52, v24
	v_mul_f32_e32 v24, 0xbfb8aa3b, v41
	v_fma_f32 v32, v41, s28, -v24
	v_rndne_f32_e32 v53, v24
	v_fmac_f32_e32 v32, 0xb2a5705f, v41
	v_sub_f32_e32 v24, v24, v53
	v_add_f32_e32 v24, v24, v32
	v_exp_f32_e32 v24, v24
	v_cvt_i32_f32_e32 v32, v53
	v_cmp_nlt_f32_e32 vcc, s29, v41
	v_ldexp_f32 v24, v24, v32
	s_nop 0
	v_cndmask_b32_e32 v24, 0, v24, vcc
	v_cmp_ngt_f32_e32 vcc, s30, v41
	s_nop 1
	v_cndmask_b32_e32 v24, v46, v24, vcc
	v_add_f32_e32 v24, 1.0, v24
	v_rcp_f32_e32 v53, v24
	s_nop 0
	v_pk_mul_f32 v[40:41], v[40:41], v[52:53]
	s_nop 0
	;;#ASMSTART
	v_pk_mul_f32 v[40:41], v[40:41], v[48:49]
	;;#ASMEND
	v_cvt_f32_f16_e32 v48, v25
	v_cvt_f32_f16_sdwa v49, v25 dst_sel:DWORD dst_unused:UNUSED_PAD src0_sel:WORD_1
	v_cvt_f16_f32_e32 v24, v40
	v_cvt_f16_f32_e32 v32, v41
	v_cvt_f32_f16_e32 v40, v33
	v_pk_add_f32 v[42:43], v[42:43], v[48:49]
	v_cvt_f32_f16_sdwa v41, v33 dst_sel:DWORD dst_unused:UNUSED_PAD src0_sel:WORD_1
	v_mul_f32_e32 v25, 0xbfb8aa3b, v42
	v_fma_f32 v33, v42, s28, -v25
	v_rndne_f32_e32 v48, v25
	v_fmac_f32_e32 v33, 0xb2a5705f, v42
	v_sub_f32_e32 v25, v25, v48
	v_add_f32_e32 v25, v25, v33
	v_exp_f32_e32 v25, v25
	v_cvt_i32_f32_e32 v33, v48
	v_cmp_nlt_f32_e32 vcc, s29, v42
	v_pk_add_f32 v[40:41], v[50:51], v[40:41]
	v_ldexp_f32 v25, v25, v33
	v_cndmask_b32_e32 v25, 0, v25, vcc
	v_cmp_ngt_f32_e32 vcc, s30, v42
	s_nop 1
	v_cndmask_b32_e32 v25, v46, v25, vcc
	v_add_f32_e32 v25, 1.0, v25
	v_rcp_f32_e32 v48, v25
	v_mul_f32_e32 v25, 0xbfb8aa3b, v43
	v_fma_f32 v33, v43, s28, -v25
	v_rndne_f32_e32 v49, v25
	v_fmac_f32_e32 v33, 0xb2a5705f, v43
	v_sub_f32_e32 v25, v25, v49
	v_add_f32_e32 v25, v25, v33
	v_exp_f32_e32 v25, v25
	v_cvt_i32_f32_e32 v33, v49
	v_cmp_nlt_f32_e32 vcc, s29, v43
	v_ldexp_f32 v25, v25, v33
	s_nop 0
	v_cndmask_b32_e32 v25, 0, v25, vcc
	v_cmp_ngt_f32_e32 vcc, s30, v43
	s_nop 1
	v_cndmask_b32_e32 v25, v46, v25, vcc
	v_add_f32_e32 v25, 1.0, v25
	v_rcp_f32_e32 v49, v25
	s_nop 0
	v_pk_mul_f32 v[42:43], v[42:43], v[48:49]
	s_nop 0
	;;#ASMSTART
	v_pk_mul_f32 v[40:41], v[42:43], v[40:41]
	;;#ASMEND
	s_nop 0
	v_cvt_f16_f32_e32 v25, v40
	v_cvt_f16_f32_e32 v33, v41
	v_cvt_f32_f16_e32 v40, v34
	v_cvt_f32_f16_sdwa v41, v34 dst_sel:DWORD dst_unused:UNUSED_PAD src0_sel:WORD_1
	s_waitcnt vmcnt(2)
	v_pk_add_f32 v[36:37], v[36:37], v[40:41]
	v_cvt_f32_f16_e32 v40, v26
	v_cvt_f32_f16_sdwa v41, v26 dst_sel:DWORD dst_unused:UNUSED_PAD src0_sel:WORD_1
	v_pk_add_f32 v[28:29], v[28:29], v[40:41]
	s_nop 0
	v_mul_f32_e32 v26, 0xbfb8aa3b, v28
	v_fma_f32 v34, v28, s28, -v26
	v_rndne_f32_e32 v40, v26
	v_fmac_f32_e32 v34, 0xb2a5705f, v28
	v_sub_f32_e32 v26, v26, v40
	v_add_f32_e32 v26, v26, v34
	v_exp_f32_e32 v26, v26
	v_cvt_i32_f32_e32 v34, v40
	v_cmp_nlt_f32_e32 vcc, s29, v28
	v_ldexp_f32 v26, v26, v34
	s_nop 0
	v_cndmask_b32_e32 v26, 0, v26, vcc
	v_cmp_ngt_f32_e32 vcc, s30, v28
	s_nop 1
	v_cndmask_b32_e32 v26, v46, v26, vcc
	v_add_f32_e32 v26, 1.0, v26
	v_rcp_f32_e32 v40, v26
	v_mul_f32_e32 v26, 0xbfb8aa3b, v29
	v_fma_f32 v34, v29, s28, -v26
	v_rndne_f32_e32 v41, v26
	v_fmac_f32_e32 v34, 0xb2a5705f, v29
	v_sub_f32_e32 v26, v26, v41
	v_add_f32_e32 v26, v26, v34
	v_exp_f32_e32 v26, v26
	v_cvt_i32_f32_e32 v34, v41
	v_cmp_nlt_f32_e32 vcc, s29, v29
	v_ldexp_f32 v26, v26, v34
	s_nop 0
	v_cndmask_b32_e32 v26, 0, v26, vcc
	v_cmp_ngt_f32_e32 vcc, s30, v29
	v_cvt_f32_f16_e32 v34, v35
	v_cvt_f32_f16_sdwa v35, v35 dst_sel:DWORD dst_unused:UNUSED_PAD src0_sel:WORD_1
	v_cndmask_b32_e32 v26, v46, v26, vcc
	v_add_f32_e32 v26, 1.0, v26
	v_rcp_f32_e32 v41, v26
	v_pk_add_f32 v[34:35], v[38:39], v[34:35]
	v_pk_mul_f32 v[28:29], v[28:29], v[40:41]
	s_nop 0
	;;#ASMSTART
	v_pk_mul_f32 v[28:29], v[28:29], v[36:37]
	;;#ASMEND
	v_cvt_f32_f16_e32 v36, v27
	v_cvt_f32_f16_sdwa v37, v27 dst_sel:DWORD dst_unused:UNUSED_PAD src0_sel:WORD_1
	v_cvt_f16_f32_e32 v26, v28
	v_cvt_f16_f32_e32 v28, v29
	v_pk_add_f32 v[30:31], v[30:31], v[36:37]
	s_nop 0
	v_mul_f32_e32 v27, 0xbfb8aa3b, v30
	v_fma_f32 v29, v30, s28, -v27
	v_rndne_f32_e32 v36, v27
	v_fmac_f32_e32 v29, 0xb2a5705f, v30
	v_sub_f32_e32 v27, v27, v36
	v_add_f32_e32 v27, v27, v29
	v_exp_f32_e32 v27, v27
	v_cvt_i32_f32_e32 v29, v36
	v_cmp_nlt_f32_e32 vcc, s29, v30
	v_ldexp_f32 v27, v27, v29
	s_nop 0
	v_cndmask_b32_e32 v27, 0, v27, vcc
	v_cmp_ngt_f32_e32 vcc, s30, v30
	s_nop 1
	v_cndmask_b32_e32 v27, v46, v27, vcc
	v_add_f32_e32 v27, 1.0, v27
	v_rcp_f32_e32 v36, v27
	v_mul_f32_e32 v27, 0xbfb8aa3b, v31
	v_fma_f32 v29, v31, s28, -v27
	v_rndne_f32_e32 v37, v27
	v_fmac_f32_e32 v29, 0xb2a5705f, v31
	v_sub_f32_e32 v27, v27, v37
	v_add_f32_e32 v27, v27, v29
	v_exp_f32_e32 v27, v27
	v_cvt_i32_f32_e32 v29, v37
	v_cmp_nlt_f32_e32 vcc, s29, v31
	v_ldexp_f32 v27, v27, v29
	s_nop 0
	v_cndmask_b32_e32 v27, 0, v27, vcc
	v_cmp_ngt_f32_e32 vcc, s30, v31
	s_nop 1
	v_cndmask_b32_e32 v27, v46, v27, vcc
	v_add_f32_e32 v27, 1.0, v27
	v_rcp_f32_e32 v37, v27
	s_nop 0
	v_pk_mul_f32 v[30:31], v[30:31], v[36:37]
	s_nop 0
	;;#ASMSTART
	v_pk_mul_f32 v[30:31], v[30:31], v[34:35]
	;;#ASMEND
	s_nop 0
	v_cvt_f16_f32_e32 v27, v30
	v_cvt_f16_f32_e32 v29, v31
	v_cvt_f32_f16_e32 v30, v8
	v_cvt_f32_f16_sdwa v31, v8 dst_sel:DWORD dst_unused:UNUSED_PAD src0_sel:WORD_1
	s_waitcnt vmcnt(1)
	v_pk_add_f32 v[20:21], v[20:21], v[30:31]
	v_cvt_f32_f16_e32 v30, v4
	v_cvt_f32_f16_sdwa v31, v4 dst_sel:DWORD dst_unused:UNUSED_PAD src0_sel:WORD_1
	v_pk_add_f32 v[16:17], v[16:17], v[30:31]
	s_nop 0
	v_mul_f32_e32 v4, 0xbfb8aa3b, v16
	v_fma_f32 v8, v16, s28, -v4
	v_rndne_f32_e32 v30, v4
	v_fmac_f32_e32 v8, 0xb2a5705f, v16
	v_sub_f32_e32 v4, v4, v30
	v_add_f32_e32 v4, v4, v8
	v_exp_f32_e32 v4, v4
	v_cvt_i32_f32_e32 v8, v30
	v_cmp_nlt_f32_e32 vcc, s29, v16
	v_ldexp_f32 v4, v4, v8
	s_nop 0
	v_cndmask_b32_e32 v4, 0, v4, vcc
	v_cmp_ngt_f32_e32 vcc, s30, v16
	s_nop 1
	v_cndmask_b32_e32 v4, v46, v4, vcc
	v_add_f32_e32 v4, 1.0, v4
	v_rcp_f32_e32 v30, v4
	v_mul_f32_e32 v4, 0xbfb8aa3b, v17
	v_fma_f32 v8, v17, s28, -v4
	v_rndne_f32_e32 v31, v4
	v_fmac_f32_e32 v8, 0xb2a5705f, v17
	v_sub_f32_e32 v4, v4, v31
	v_add_f32_e32 v4, v4, v8
	v_exp_f32_e32 v4, v4
	v_cvt_i32_f32_e32 v8, v31
	v_cmp_nlt_f32_e32 vcc, s29, v17
	v_ldexp_f32 v4, v4, v8
	s_nop 0
	v_cndmask_b32_e32 v4, 0, v4, vcc
	v_cmp_ngt_f32_e32 vcc, s30, v17
	s_nop 1
	v_cndmask_b32_e32 v4, v46, v4, vcc
	v_add_f32_e32 v4, 1.0, v4
	v_rcp_f32_e32 v31, v4
	v_cvt_f32_f16_e32 v4, v5
	v_cvt_f32_f16_sdwa v5, v5 dst_sel:DWORD dst_unused:UNUSED_PAD src0_sel:WORD_1
	v_pk_mul_f32 v[16:17], v[16:17], v[30:31]
	s_nop 0
	;;#ASMSTART
	v_pk_mul_f32 v[16:17], v[16:17], v[20:21]
	;;#ASMEND
	v_pk_add_f32 v[4:5], v[18:19], v[4:5]
	v_cvt_f32_f16_e32 v20, v9
	v_cvt_f32_f16_sdwa v21, v9 dst_sel:DWORD dst_unused:UNUSED_PAD src0_sel:WORD_1
	v_mul_f32_e32 v9, 0xbfb8aa3b, v4
	v_cvt_f16_f32_e32 v8, v16
	v_cvt_f16_f32_e32 v16, v17
	v_fma_f32 v17, v4, s28, -v9
	v_rndne_f32_e32 v18, v9
	v_fmac_f32_e32 v17, 0xb2a5705f, v4
	v_sub_f32_e32 v9, v9, v18
	v_add_f32_e32 v9, v9, v17
	v_exp_f32_e32 v9, v9
	v_cvt_i32_f32_e32 v17, v18
	v_cmp_nlt_f32_e32 vcc, s29, v4
	v_pk_add_f32 v[20:21], v[22:23], v[20:21]
	v_ldexp_f32 v9, v9, v17
	v_cndmask_b32_e32 v9, 0, v9, vcc
	v_cmp_ngt_f32_e32 vcc, s30, v4
	s_nop 1
	v_cndmask_b32_e32 v9, v46, v9, vcc
	v_add_f32_e32 v9, 1.0, v9
	v_rcp_f32_e32 v18, v9
	v_mul_f32_e32 v9, 0xbfb8aa3b, v5
	v_fma_f32 v17, v5, s28, -v9
	v_rndne_f32_e32 v19, v9
	v_fmac_f32_e32 v17, 0xb2a5705f, v5
	v_sub_f32_e32 v9, v9, v19
	v_add_f32_e32 v9, v9, v17
	v_exp_f32_e32 v9, v9
	v_cvt_i32_f32_e32 v17, v19
	v_cmp_nlt_f32_e32 vcc, s29, v5
	v_ldexp_f32 v9, v9, v17
	s_nop 0
	v_cndmask_b32_e32 v9, 0, v9, vcc
	v_cmp_ngt_f32_e32 vcc, s30, v5
	s_nop 1
	v_cndmask_b32_e32 v9, v46, v9, vcc
	v_add_f32_e32 v9, 1.0, v9
	v_rcp_f32_e32 v19, v9
	s_nop 0
	v_pk_mul_f32 v[4:5], v[4:5], v[18:19]
	s_nop 0
	;;#ASMSTART
	v_pk_mul_f32 v[4:5], v[4:5], v[20:21]
	;;#ASMEND
	s_nop 0
	v_cvt_f16_f32_e32 v9, v4
	v_cvt_f16_f32_e32 v17, v5
	v_cvt_f32_f16_e32 v4, v10
	v_cvt_f32_f16_sdwa v5, v10 dst_sel:DWORD dst_unused:UNUSED_PAD src0_sel:WORD_1
	s_waitcnt vmcnt(0)
	v_pk_add_f32 v[4:5], v[12:13], v[4:5]
	v_cvt_f32_f16_e32 v12, v6
	v_cvt_f32_f16_sdwa v13, v6 dst_sel:DWORD dst_unused:UNUSED_PAD src0_sel:WORD_1
	v_pk_add_f32 v[0:1], v[0:1], v[12:13]
	s_nop 0
	v_mul_f32_e32 v6, 0xbfb8aa3b, v0
	v_fma_f32 v10, v0, s28, -v6
	v_rndne_f32_e32 v12, v6
	v_fmac_f32_e32 v10, 0xb2a5705f, v0
	v_sub_f32_e32 v6, v6, v12
	v_add_f32_e32 v6, v6, v10
	v_exp_f32_e32 v6, v6
	v_cvt_i32_f32_e32 v10, v12
	v_cmp_nlt_f32_e32 vcc, s29, v0
	v_ldexp_f32 v6, v6, v10
	s_nop 0
	v_cndmask_b32_e32 v6, 0, v6, vcc
	v_cmp_ngt_f32_e32 vcc, s30, v0
	s_nop 1
	v_cndmask_b32_e32 v6, v46, v6, vcc
	v_add_f32_e32 v6, 1.0, v6
	v_rcp_f32_e32 v12, v6
	v_mul_f32_e32 v6, 0xbfb8aa3b, v1
	v_fma_f32 v10, v1, s28, -v6
	v_rndne_f32_e32 v13, v6
	v_fmac_f32_e32 v10, 0xb2a5705f, v1
	v_sub_f32_e32 v6, v6, v13
	v_add_f32_e32 v6, v6, v10
	v_exp_f32_e32 v6, v6
	v_cvt_i32_f32_e32 v10, v13
	v_cmp_nlt_f32_e32 vcc, s29, v1
	v_ldexp_f32 v6, v6, v10
	s_nop 0
	v_cndmask_b32_e32 v6, 0, v6, vcc
	v_cmp_ngt_f32_e32 vcc, s30, v1
	s_nop 1
	v_cndmask_b32_e32 v6, v46, v6, vcc
	v_add_f32_e32 v6, 1.0, v6
	v_rcp_f32_e32 v13, v6
	s_nop 0
	v_pk_mul_f32 v[0:1], v[0:1], v[12:13]
	s_nop 0
	;;#ASMSTART
	v_pk_mul_f32 v[0:1], v[0:1], v[4:5]
	;;#ASMEND
	v_cvt_f32_f16_e32 v4, v7
	v_cvt_f32_f16_sdwa v5, v7 dst_sel:DWORD dst_unused:UNUSED_PAD src0_sel:WORD_1
	v_cvt_f16_f32_e32 v6, v0
	v_cvt_f16_f32_e32 v10, v1
	v_cvt_f32_f16_e32 v0, v11
	v_pk_add_f32 v[2:3], v[2:3], v[4:5]
	v_cvt_f32_f16_sdwa v1, v11 dst_sel:DWORD dst_unused:UNUSED_PAD src0_sel:WORD_1
	v_mul_f32_e32 v4, 0xbfb8aa3b, v2
	v_fma_f32 v5, v2, s28, -v4
	v_rndne_f32_e32 v7, v4
	v_fmac_f32_e32 v5, 0xb2a5705f, v2
	v_sub_f32_e32 v4, v4, v7
	v_add_f32_e32 v4, v4, v5
	v_exp_f32_e32 v4, v4
	v_cvt_i32_f32_e32 v5, v7
	v_cmp_nlt_f32_e32 vcc, s29, v2
	v_pk_add_f32 v[0:1], v[14:15], v[0:1]
	v_ldexp_f32 v4, v4, v5
	v_mul_f32_e32 v5, 0xbfb8aa3b, v3
	v_fma_f32 v7, v3, s28, -v5
	v_rndne_f32_e32 v11, v5
	v_fmac_f32_e32 v7, 0xb2a5705f, v3
	v_sub_f32_e32 v5, v5, v11
	v_add_f32_e32 v5, v5, v7
	v_exp_f32_e32 v5, v5
	v_cvt_i32_f32_e32 v7, v11
	v_cndmask_b32_e32 v4, 0, v4, vcc
	v_cmp_ngt_f32_e32 vcc, s30, v2
	v_ldexp_f32 v5, v5, v7
	s_nop 0
	v_cndmask_b32_e32 v4, v46, v4, vcc
	v_cmp_nlt_f32_e32 vcc, s29, v3
	v_add_f32_e32 v4, 1.0, v4
	v_rcp_f32_e32 v4, v4
	v_cndmask_b32_e32 v5, 0, v5, vcc
	v_cmp_ngt_f32_e32 vcc, s30, v3
	s_nop 1
	v_cndmask_b32_e32 v5, v46, v5, vcc
	v_add_f32_e32 v5, 1.0, v5
	v_rcp_f32_e32 v5, v5
	s_nop 0
	v_pk_mul_f32 v[2:3], v[2:3], v[4:5]
	s_nop 0
	;;#ASMSTART
	v_pk_mul_f32 v[0:1], v[2:3], v[0:1]
	;;#ASMEND
	s_load_dword s14, s[0:1], 0xc
	v_cvt_f16_f32_e32 v4, v0
	v_cvt_f16_f32_e32 v5, v1
	v_pack_b32_f16 v1, v25, v33
	v_pack_b32_f16 v3, v27, v29
	s_waitcnt lgkmcnt(0)
	s_and_b32 s14, s14, 0xffff
	s_lshl_b32 s26, s14, 4
	v_lshl_add_u64 v[44:45], s[26:27], 0, v[44:45]
	v_pack_b32_f16 v0, v24, v32
	v_pack_b32_f16 v2, v26, v28
	v_cmp_le_i64_e32 vcc, s[24:25], v[44:45]
	buffer_store_dwordx4 v[0:3], v47, s[4:7], 0 offen
	s_or_b64 s[2:3], vcc, s[2:3]
	s_nop 0
	v_pack_b32_f16 v1, v9, v17
	v_pack_b32_f16 v3, v4, v5
	;; [unrolled: 1-line block ×4, first 2 shown]
	buffer_store_dwordx4 v[0:3], v47, s[4:7], 16 offen
	s_andn2_b64 exec, exec, s[2:3]
	s_cbranch_execnz .LBB152_8
.LBB152_9:
	s_endpgm
	.section	.rodata,"a",@progbits
	.p2align	6, 0x0
	.amdhsa_kernel _ZN5aiter23act_and_mul_bias_kernelIDF16_DF16_sfTnPFfRKT2_EXadL_ZNS_11silu_kernelIfEEfRKT_EELi16EEEvPT0_PS8_PKT1_PS2_il
		.amdhsa_group_segment_fixed_size 0
		.amdhsa_private_segment_fixed_size 0
		.amdhsa_kernarg_size 304
		.amdhsa_user_sgpr_count 2
		.amdhsa_user_sgpr_dispatch_ptr 0
		.amdhsa_user_sgpr_queue_ptr 0
		.amdhsa_user_sgpr_kernarg_segment_ptr 1
		.amdhsa_user_sgpr_dispatch_id 0
		.amdhsa_user_sgpr_kernarg_preload_length 0
		.amdhsa_user_sgpr_kernarg_preload_offset 0
		.amdhsa_user_sgpr_private_segment_size 0
		.amdhsa_uses_dynamic_stack 0
		.amdhsa_enable_private_segment 0
		.amdhsa_system_sgpr_workgroup_id_x 1
		.amdhsa_system_sgpr_workgroup_id_y 0
		.amdhsa_system_sgpr_workgroup_id_z 0
		.amdhsa_system_sgpr_workgroup_info 0
		.amdhsa_system_vgpr_workitem_id 0
		.amdhsa_next_free_vgpr 54
		.amdhsa_next_free_sgpr 31
		.amdhsa_accum_offset 56
		.amdhsa_reserve_vcc 1
		.amdhsa_float_round_mode_32 0
		.amdhsa_float_round_mode_16_64 0
		.amdhsa_float_denorm_mode_32 3
		.amdhsa_float_denorm_mode_16_64 3
		.amdhsa_dx10_clamp 1
		.amdhsa_ieee_mode 1
		.amdhsa_fp16_overflow 0
		.amdhsa_tg_split 0
		.amdhsa_exception_fp_ieee_invalid_op 0
		.amdhsa_exception_fp_denorm_src 0
		.amdhsa_exception_fp_ieee_div_zero 0
		.amdhsa_exception_fp_ieee_overflow 0
		.amdhsa_exception_fp_ieee_underflow 0
		.amdhsa_exception_fp_ieee_inexact 0
		.amdhsa_exception_int_div_zero 0
	.end_amdhsa_kernel
	.section	.text._ZN5aiter23act_and_mul_bias_kernelIDF16_DF16_sfTnPFfRKT2_EXadL_ZNS_11silu_kernelIfEEfRKT_EELi16EEEvPT0_PS8_PKT1_PS2_il,"axG",@progbits,_ZN5aiter23act_and_mul_bias_kernelIDF16_DF16_sfTnPFfRKT2_EXadL_ZNS_11silu_kernelIfEEfRKT_EELi16EEEvPT0_PS8_PKT1_PS2_il,comdat
.Lfunc_end152:
	.size	_ZN5aiter23act_and_mul_bias_kernelIDF16_DF16_sfTnPFfRKT2_EXadL_ZNS_11silu_kernelIfEEfRKT_EELi16EEEvPT0_PS8_PKT1_PS2_il, .Lfunc_end152-_ZN5aiter23act_and_mul_bias_kernelIDF16_DF16_sfTnPFfRKT2_EXadL_ZNS_11silu_kernelIfEEfRKT_EELi16EEEvPT0_PS8_PKT1_PS2_il
                                        ; -- End function
	.section	.AMDGPU.csdata,"",@progbits
; Kernel info:
; codeLenInByte = 2744
; NumSgprs: 37
; NumVgprs: 54
; NumAgprs: 0
; TotalNumVgprs: 54
; ScratchSize: 0
; MemoryBound: 0
; FloatMode: 240
; IeeeMode: 1
; LDSByteSize: 0 bytes/workgroup (compile time only)
; SGPRBlocks: 4
; VGPRBlocks: 6
; NumSGPRsForWavesPerEU: 37
; NumVGPRsForWavesPerEU: 54
; AccumOffset: 56
; Occupancy: 8
; WaveLimiterHint : 0
; COMPUTE_PGM_RSRC2:SCRATCH_EN: 0
; COMPUTE_PGM_RSRC2:USER_SGPR: 2
; COMPUTE_PGM_RSRC2:TRAP_HANDLER: 0
; COMPUTE_PGM_RSRC2:TGID_X_EN: 1
; COMPUTE_PGM_RSRC2:TGID_Y_EN: 0
; COMPUTE_PGM_RSRC2:TGID_Z_EN: 0
; COMPUTE_PGM_RSRC2:TIDIG_COMP_CNT: 0
; COMPUTE_PGM_RSRC3_GFX90A:ACCUM_OFFSET: 13
; COMPUTE_PGM_RSRC3_GFX90A:TG_SPLIT: 0
	.section	.text._ZN5aiter23act_and_mul_bias_kernelIDF16_DF16_sfTnPFfRKT2_EXadL_ZNS_11silu_kernelIfEEfRKT_EELi8EEEvPT0_PS8_PKT1_PS2_il,"axG",@progbits,_ZN5aiter23act_and_mul_bias_kernelIDF16_DF16_sfTnPFfRKT2_EXadL_ZNS_11silu_kernelIfEEfRKT_EELi8EEEvPT0_PS8_PKT1_PS2_il,comdat
	.protected	_ZN5aiter23act_and_mul_bias_kernelIDF16_DF16_sfTnPFfRKT2_EXadL_ZNS_11silu_kernelIfEEfRKT_EELi8EEEvPT0_PS8_PKT1_PS2_il ; -- Begin function _ZN5aiter23act_and_mul_bias_kernelIDF16_DF16_sfTnPFfRKT2_EXadL_ZNS_11silu_kernelIfEEfRKT_EELi8EEEvPT0_PS8_PKT1_PS2_il
	.globl	_ZN5aiter23act_and_mul_bias_kernelIDF16_DF16_sfTnPFfRKT2_EXadL_ZNS_11silu_kernelIfEEfRKT_EELi8EEEvPT0_PS8_PKT1_PS2_il
	.p2align	8
	.type	_ZN5aiter23act_and_mul_bias_kernelIDF16_DF16_sfTnPFfRKT2_EXadL_ZNS_11silu_kernelIfEEfRKT_EELi8EEEvPT0_PS8_PKT1_PS2_il,@function
_ZN5aiter23act_and_mul_bias_kernelIDF16_DF16_sfTnPFfRKT2_EXadL_ZNS_11silu_kernelIfEEfRKT_EELi8EEEvPT0_PS8_PKT1_PS2_il: ; @_ZN5aiter23act_and_mul_bias_kernelIDF16_DF16_sfTnPFfRKT2_EXadL_ZNS_11silu_kernelIfEEfRKT_EELi8EEEvPT0_PS8_PKT1_PS2_il
; %bb.0:
	s_load_dword s14, s[0:1], 0x20
	s_load_dwordx2 s[4:5], s[0:1], 0x10
	s_load_dwordx2 s[8:9], s[0:1], 0x28
	s_mov_b32 s3, 0
	s_lshl_b64 s[6:7], s[2:3], 1
	s_waitcnt lgkmcnt(0)
	s_ashr_i32 s15, s14, 31
	s_add_u32 s4, s4, s6
	s_addc_u32 s5, s5, s7
	v_mov_b32_e32 v1, 0
	global_load_ushort v1, v1, s[4:5]
	s_mul_hi_u32 s3, s14, s2
	s_mul_i32 s5, s15, s2
	s_add_i32 s12, s14, 1
	s_add_i32 s5, s3, s5
	s_lshr_b32 s3, s12, 31
	s_load_dwordx2 s[10:11], s[0:1], 0x0
	s_add_i32 s12, s12, s3
	s_lshl_b32 s3, s12, 1
	s_mul_i32 s4, s14, s2
	s_and_b32 s18, s3, -4
	v_mov_b64_e32 v[2:3], s[8:9]
	s_lshl_b64 s[8:9], s[4:5], 1
	s_mov_b64 s[6:7], -1
	v_lshlrev_b32_e32 v24, 3, v0
	s_waitcnt vmcnt(0)
	v_readfirstlane_b32 s3, v1
	s_sext_i32_i16 s4, s3
	s_ashr_i32 s5, s4, 31
	s_waitcnt lgkmcnt(0)
	s_add_u32 s16, s10, s8
	s_addc_u32 s3, s11, s9
	s_and_b32 s17, s3, 0xffff
	s_cmp_gt_i32 s4, -1
	v_cmp_lt_i64_e32 vcc, s[4:5], v[2:3]
	s_cselect_b64 s[8:9], -1, 0
	s_and_b64 s[8:9], s[8:9], vcc
	s_and_b64 vcc, exec, s[8:9]
	s_cbranch_vccnz .LBB153_5
; %bb.1:
	v_cmp_gt_i32_e32 vcc, s14, v24
	s_and_saveexec_b64 s[6:7], vcc
	s_cbranch_execz .LBB153_4
; %bb.2:
	s_load_dword s3, s[0:1], 0x3c
	v_mov_b32_e32 v25, 0
	s_mov_b32 s9, 0
	v_lshlrev_b32_e32 v6, 4, v0
	s_mov_b64 s[10:11], 0
	s_waitcnt lgkmcnt(0)
	s_and_b32 s3, s3, 0xffff
	s_lshl_b32 s8, s3, 3
	s_lshl_b32 s3, s3, 4
	s_mov_b32 s19, 0x20000
	v_mov_b32_e32 v0, v25
	v_mov_b32_e32 v1, v25
	;; [unrolled: 1-line block ×4, first 2 shown]
	v_mov_b64_e32 v[4:5], v[24:25]
.LBB153_3:                              ; =>This Inner Loop Header: Depth=1
	v_lshl_add_u64 v[4:5], s[8:9], 0, v[4:5]
	v_cmp_le_i64_e32 vcc, s[14:15], v[4:5]
	buffer_store_dwordx4 v[0:3], v6, s[16:19], 0 offen
	s_or_b64 s[10:11], vcc, s[10:11]
	v_add_u32_e32 v6, s3, v6
	s_andn2_b64 exec, exec, s[10:11]
	s_cbranch_execnz .LBB153_3
.LBB153_4:
	s_or_b64 exec, exec, s[6:7]
	s_mov_b64 s[6:7], 0
.LBB153_5:
	s_andn2_b64 vcc, exec, s[6:7]
	s_cbranch_vccnz .LBB153_9
; %bb.6:
	v_cmp_gt_i32_e32 vcc, s14, v24
	s_and_saveexec_b64 s[6:7], vcc
	s_cbranch_execz .LBB153_9
; %bb.7:
	s_load_dwordx2 s[6:7], s[0:1], 0x18
	s_load_dwordx2 s[8:9], s[0:1], 0x8
	s_mul_hi_i32 s5, s14, s4
	s_mul_i32 s4, s14, s4
	s_lshl_b64 s[4:5], s[4:5], 3
	s_waitcnt lgkmcnt(0)
	s_add_u32 s20, s6, s4
	s_addc_u32 s3, s7, s5
	s_lshl_b64 s[4:5], s[14:15], 2
	s_add_u32 s24, s20, s4
	s_addc_u32 s4, s3, s5
	s_and_b32 s21, s3, 0xffff
	s_and_b32 s25, s4, 0xffff
	s_mul_i32 s3, s2, s15
	s_mul_hi_u32 s4, s2, s14
	s_add_i32 s3, s4, s3
	s_mul_i32 s2, s2, s14
	s_lshl_b32 s22, s14, 2
	s_lshl_b64 s[2:3], s[2:3], 2
	s_add_u32 s28, s8, s2
	s_addc_u32 s4, s9, s3
	s_lshl_b64 s[2:3], s[14:15], 1
	s_add_u32 s36, s28, s2
	s_addc_u32 s2, s4, s3
	s_and_b32 s29, s4, 0xffff
	s_and_b32 s37, s2, 0xffff
	s_mov_b32 s19, 0x20000
	s_add_u32 s34, s0, 48
	s_mov_b32 s23, s19
	v_mov_b32_e32 v25, 0
	s_addc_u32 s35, s1, 0
	s_mov_b64 s[40:41], 0
	s_mov_b32 s30, s18
	s_mov_b32 s31, s19
	;; [unrolled: 1-line block ×6, first 2 shown]
	v_mov_b32_e32 v30, 0x7f800000
	s_mov_b32 s38, s18
	s_mov_b32 s39, s19
.LBB153_8:                              ; =>This Inner Loop Header: Depth=1
	v_lshlrev_b32_e32 v31, 1, v24
	v_lshlrev_b32_e32 v26, 2, v24
	s_mov_b32 s26, s22
	s_mov_b32 s27, s23
	buffer_load_dwordx4 v[20:23], v31, s[36:39], 0 offen
	buffer_load_dwordx4 v[16:19], v31, s[28:31], 0 offen
	;; [unrolled: 1-line block ×6, first 2 shown]
	s_waitcnt vmcnt(5)
	v_cvt_f32_f16_e32 v26, v20
	v_cvt_f32_f16_sdwa v27, v20 dst_sel:DWORD dst_unused:UNUSED_PAD src0_sel:WORD_1
	s_waitcnt vmcnt(4)
	v_cvt_f32_f16_e32 v28, v16
	v_cvt_f32_f16_sdwa v29, v16 dst_sel:DWORD dst_unused:UNUSED_PAD src0_sel:WORD_1
	v_cvt_f32_f16_e32 v20, v21
	v_cvt_f32_f16_sdwa v21, v21 dst_sel:DWORD dst_unused:UNUSED_PAD src0_sel:WORD_1
	;; [unrolled: 2-line block ×7, first 2 shown]
	s_waitcnt vmcnt(2)
	v_pk_add_f32 v[16:17], v[4:5], v[28:29]
	v_pk_add_f32 v[4:5], v[10:11], v[20:21]
	;; [unrolled: 1-line block ×3, first 2 shown]
	s_waitcnt vmcnt(1)
	v_pk_add_f32 v[6:7], v[12:13], v[34:35]
	s_waitcnt vmcnt(0)
	v_pk_add_f32 v[12:13], v[0:1], v[36:37]
	v_pk_add_f32 v[2:3], v[2:3], v[18:19]
	;; [unrolled: 1-line block ×3, first 2 shown]
	v_mul_f32_e32 v14, 0xbfb8aa3b, v16
	v_mul_f32_e32 v15, 0xbfb8aa3b, v17
	;; [unrolled: 1-line block ×8, first 2 shown]
	v_pk_add_f32 v[8:9], v[8:9], v[26:27]
	v_fma_f32 v26, v16, s33, -v14
	v_rndne_f32_e32 v27, v14
	v_fma_f32 v28, v17, s33, -v15
	v_rndne_f32_e32 v29, v15
	;; [unrolled: 2-line block ×8, first 2 shown]
	v_fmac_f32_e32 v26, 0xb2a5705f, v16
	v_sub_f32_e32 v14, v14, v27
	v_fmac_f32_e32 v28, 0xb2a5705f, v17
	v_sub_f32_e32 v15, v15, v29
	;; [unrolled: 2-line block ×8, first 2 shown]
	v_add_f32_e32 v14, v14, v26
	v_add_f32_e32 v15, v15, v28
	;; [unrolled: 1-line block ×8, first 2 shown]
	v_cvt_i32_f32_e32 v27, v27
	v_cvt_i32_f32_e32 v29, v29
	;; [unrolled: 1-line block ×8, first 2 shown]
	v_exp_f32_e32 v14, v14
	v_exp_f32_e32 v15, v15
	;; [unrolled: 1-line block ×8, first 2 shown]
	v_ldexp_f32 v14, v14, v27
	v_ldexp_f32 v15, v15, v29
	v_cmp_nlt_f32_e32 vcc, s44, v17
	v_ldexp_f32 v18, v18, v33
	v_cmp_nlt_f32_e64 s[0:1], s44, v10
	v_ldexp_f32 v19, v19, v35
	v_cmp_nlt_f32_e64 s[2:3], s44, v11
	;; [unrolled: 2-line block ×6, first 2 shown]
	v_cmp_nlt_f32_e64 s[12:13], s44, v16
	v_cndmask_b32_e32 v15, 0, v15, vcc
	v_cmp_ngt_f32_e32 vcc, s45, v17
	v_cndmask_b32_e64 v14, 0, v14, s[12:13]
	v_cndmask_b32_e64 v18, 0, v18, s[0:1]
	v_cmp_ngt_f32_e64 s[0:1], s45, v10
	v_cndmask_b32_e64 v19, 0, v19, s[2:3]
	v_cmp_ngt_f32_e64 s[2:3], s45, v11
	;; [unrolled: 2-line block ×6, first 2 shown]
	v_cmp_ngt_f32_e64 s[12:13], s45, v16
	v_cndmask_b32_e32 v15, v30, v15, vcc
	v_cndmask_b32_e64 v18, v30, v18, s[0:1]
	v_cndmask_b32_e64 v14, v30, v14, s[12:13]
	;; [unrolled: 1-line block ×7, first 2 shown]
	v_add_f32_e32 v14, 1.0, v14
	v_add_f32_e32 v15, 1.0, v15
	;; [unrolled: 1-line block ×8, first 2 shown]
	v_rcp_f32_e32 v14, v14
	v_rcp_f32_e32 v15, v15
	;; [unrolled: 1-line block ×8, first 2 shown]
	v_pk_mul_f32 v[14:15], v[16:17], v[14:15]
	v_pk_mul_f32 v[10:11], v[10:11], v[18:19]
	;; [unrolled: 1-line block ×4, first 2 shown]
	;;#ASMSTART
	v_pk_mul_f32 v[8:9], v[14:15], v[8:9]
	;;#ASMEND
	;;#ASMSTART
	v_pk_mul_f32 v[4:5], v[10:11], v[4:5]
	;;#ASMEND
	;; [unrolled: 3-line block ×3, first 2 shown]
	s_nop 0
	;;#ASMSTART
	v_pk_mul_f32 v[0:1], v[2:3], v[0:1]
	;;#ASMEND
	s_load_dword s0, s[34:35], 0xc
	v_cvt_f16_f32_e32 v2, v8
	v_cvt_f16_f32_e32 v8, v9
	;; [unrolled: 1-line block ×8, first 2 shown]
	s_waitcnt lgkmcnt(0)
	s_and_b32 s0, s0, 0xffff
	s_lshl_b32 s42, s0, 3
	v_lshl_add_u64 v[24:25], s[42:43], 0, v[24:25]
	v_cmp_le_i64_e32 vcc, s[14:15], v[24:25]
	v_pack_b32_f16 v1, v3, v4
	v_pack_b32_f16 v3, v0, v5
	;; [unrolled: 1-line block ×4, first 2 shown]
	s_or_b64 s[40:41], vcc, s[40:41]
	buffer_store_dwordx4 v[0:3], v31, s[16:19], 0 offen
	s_andn2_b64 exec, exec, s[40:41]
	s_cbranch_execnz .LBB153_8
.LBB153_9:
	s_endpgm
	.section	.rodata,"a",@progbits
	.p2align	6, 0x0
	.amdhsa_kernel _ZN5aiter23act_and_mul_bias_kernelIDF16_DF16_sfTnPFfRKT2_EXadL_ZNS_11silu_kernelIfEEfRKT_EELi8EEEvPT0_PS8_PKT1_PS2_il
		.amdhsa_group_segment_fixed_size 0
		.amdhsa_private_segment_fixed_size 0
		.amdhsa_kernarg_size 304
		.amdhsa_user_sgpr_count 2
		.amdhsa_user_sgpr_dispatch_ptr 0
		.amdhsa_user_sgpr_queue_ptr 0
		.amdhsa_user_sgpr_kernarg_segment_ptr 1
		.amdhsa_user_sgpr_dispatch_id 0
		.amdhsa_user_sgpr_kernarg_preload_length 0
		.amdhsa_user_sgpr_kernarg_preload_offset 0
		.amdhsa_user_sgpr_private_segment_size 0
		.amdhsa_uses_dynamic_stack 0
		.amdhsa_enable_private_segment 0
		.amdhsa_system_sgpr_workgroup_id_x 1
		.amdhsa_system_sgpr_workgroup_id_y 0
		.amdhsa_system_sgpr_workgroup_id_z 0
		.amdhsa_system_sgpr_workgroup_info 0
		.amdhsa_system_vgpr_workitem_id 0
		.amdhsa_next_free_vgpr 44
		.amdhsa_next_free_sgpr 46
		.amdhsa_accum_offset 44
		.amdhsa_reserve_vcc 1
		.amdhsa_float_round_mode_32 0
		.amdhsa_float_round_mode_16_64 0
		.amdhsa_float_denorm_mode_32 3
		.amdhsa_float_denorm_mode_16_64 3
		.amdhsa_dx10_clamp 1
		.amdhsa_ieee_mode 1
		.amdhsa_fp16_overflow 0
		.amdhsa_tg_split 0
		.amdhsa_exception_fp_ieee_invalid_op 0
		.amdhsa_exception_fp_denorm_src 0
		.amdhsa_exception_fp_ieee_div_zero 0
		.amdhsa_exception_fp_ieee_overflow 0
		.amdhsa_exception_fp_ieee_underflow 0
		.amdhsa_exception_fp_ieee_inexact 0
		.amdhsa_exception_int_div_zero 0
	.end_amdhsa_kernel
	.section	.text._ZN5aiter23act_and_mul_bias_kernelIDF16_DF16_sfTnPFfRKT2_EXadL_ZNS_11silu_kernelIfEEfRKT_EELi8EEEvPT0_PS8_PKT1_PS2_il,"axG",@progbits,_ZN5aiter23act_and_mul_bias_kernelIDF16_DF16_sfTnPFfRKT2_EXadL_ZNS_11silu_kernelIfEEfRKT_EELi8EEEvPT0_PS8_PKT1_PS2_il,comdat
.Lfunc_end153:
	.size	_ZN5aiter23act_and_mul_bias_kernelIDF16_DF16_sfTnPFfRKT2_EXadL_ZNS_11silu_kernelIfEEfRKT_EELi8EEEvPT0_PS8_PKT1_PS2_il, .Lfunc_end153-_ZN5aiter23act_and_mul_bias_kernelIDF16_DF16_sfTnPFfRKT2_EXadL_ZNS_11silu_kernelIfEEfRKT_EELi8EEEvPT0_PS8_PKT1_PS2_il
                                        ; -- End function
	.section	.AMDGPU.csdata,"",@progbits
; Kernel info:
; codeLenInByte = 1692
; NumSgprs: 52
; NumVgprs: 44
; NumAgprs: 0
; TotalNumVgprs: 44
; ScratchSize: 0
; MemoryBound: 0
; FloatMode: 240
; IeeeMode: 1
; LDSByteSize: 0 bytes/workgroup (compile time only)
; SGPRBlocks: 6
; VGPRBlocks: 5
; NumSGPRsForWavesPerEU: 52
; NumVGPRsForWavesPerEU: 44
; AccumOffset: 44
; Occupancy: 8
; WaveLimiterHint : 0
; COMPUTE_PGM_RSRC2:SCRATCH_EN: 0
; COMPUTE_PGM_RSRC2:USER_SGPR: 2
; COMPUTE_PGM_RSRC2:TRAP_HANDLER: 0
; COMPUTE_PGM_RSRC2:TGID_X_EN: 1
; COMPUTE_PGM_RSRC2:TGID_Y_EN: 0
; COMPUTE_PGM_RSRC2:TGID_Z_EN: 0
; COMPUTE_PGM_RSRC2:TIDIG_COMP_CNT: 0
; COMPUTE_PGM_RSRC3_GFX90A:ACCUM_OFFSET: 10
; COMPUTE_PGM_RSRC3_GFX90A:TG_SPLIT: 0
	.section	.text._ZN5aiter23act_and_mul_bias_kernelIDF16_DF16_sfTnPFfRKT2_EXadL_ZNS_11silu_kernelIfEEfRKT_EELi4EEEvPT0_PS8_PKT1_PS2_il,"axG",@progbits,_ZN5aiter23act_and_mul_bias_kernelIDF16_DF16_sfTnPFfRKT2_EXadL_ZNS_11silu_kernelIfEEfRKT_EELi4EEEvPT0_PS8_PKT1_PS2_il,comdat
	.protected	_ZN5aiter23act_and_mul_bias_kernelIDF16_DF16_sfTnPFfRKT2_EXadL_ZNS_11silu_kernelIfEEfRKT_EELi4EEEvPT0_PS8_PKT1_PS2_il ; -- Begin function _ZN5aiter23act_and_mul_bias_kernelIDF16_DF16_sfTnPFfRKT2_EXadL_ZNS_11silu_kernelIfEEfRKT_EELi4EEEvPT0_PS8_PKT1_PS2_il
	.globl	_ZN5aiter23act_and_mul_bias_kernelIDF16_DF16_sfTnPFfRKT2_EXadL_ZNS_11silu_kernelIfEEfRKT_EELi4EEEvPT0_PS8_PKT1_PS2_il
	.p2align	8
	.type	_ZN5aiter23act_and_mul_bias_kernelIDF16_DF16_sfTnPFfRKT2_EXadL_ZNS_11silu_kernelIfEEfRKT_EELi4EEEvPT0_PS8_PKT1_PS2_il,@function
_ZN5aiter23act_and_mul_bias_kernelIDF16_DF16_sfTnPFfRKT2_EXadL_ZNS_11silu_kernelIfEEfRKT_EELi4EEEvPT0_PS8_PKT1_PS2_il: ; @_ZN5aiter23act_and_mul_bias_kernelIDF16_DF16_sfTnPFfRKT2_EXadL_ZNS_11silu_kernelIfEEfRKT_EELi4EEEvPT0_PS8_PKT1_PS2_il
; %bb.0:
	s_load_dword s6, s[0:1], 0x20
	s_load_dwordx2 s[4:5], s[0:1], 0x10
	s_load_dwordx2 s[8:9], s[0:1], 0x28
	s_mov_b32 s3, 0
	s_lshl_b64 s[10:11], s[2:3], 1
	s_waitcnt lgkmcnt(0)
	s_ashr_i32 s7, s6, 31
	s_add_u32 s4, s4, s10
	s_addc_u32 s5, s5, s11
	v_mov_b32_e32 v1, 0
	global_load_ushort v1, v1, s[4:5]
	s_mul_hi_u32 s3, s6, s2
	s_mul_i32 s5, s7, s2
	s_add_i32 s10, s6, 1
	s_add_i32 s5, s3, s5
	s_lshr_b32 s3, s10, 31
	s_load_dwordx2 s[14:15], s[0:1], 0x0
	s_add_i32 s10, s10, s3
	s_lshl_b32 s3, s10, 1
	s_mul_i32 s4, s6, s2
	s_and_b32 s10, s3, -4
	v_mov_b64_e32 v[2:3], s[8:9]
	s_lshl_b64 s[8:9], s[4:5], 1
	s_mov_b64 s[12:13], -1
	s_waitcnt vmcnt(0)
	v_readfirstlane_b32 s3, v1
	s_sext_i32_i16 s4, s3
	s_ashr_i32 s5, s4, 31
	s_waitcnt lgkmcnt(0)
	s_add_u32 s8, s14, s8
	s_addc_u32 s3, s15, s9
	s_and_b32 s9, s3, 0xffff
	s_cmp_gt_i32 s4, -1
	v_cmp_lt_i64_e32 vcc, s[4:5], v[2:3]
	s_cselect_b64 s[14:15], -1, 0
	s_and_b64 s[14:15], s[14:15], vcc
	s_and_b64 vcc, exec, s[14:15]
	v_lshlrev_b32_e32 v2, 2, v0
	s_cbranch_vccnz .LBB154_5
; %bb.1:
	v_cmp_gt_i32_e32 vcc, s6, v2
	s_and_saveexec_b64 s[12:13], vcc
	s_cbranch_execz .LBB154_4
; %bb.2:
	s_load_dword s3, s[0:1], 0x3c
	v_mov_b32_e32 v3, 0
	s_mov_b32 s15, 0
	v_lshlrev_b32_e32 v6, 3, v0
	s_mov_b64 s[16:17], 0
	s_waitcnt lgkmcnt(0)
	s_and_b32 s3, s3, 0xffff
	s_lshl_b32 s14, s3, 2
	s_lshl_b32 s3, s3, 3
	s_mov_b32 s11, 0x20000
	v_mov_b32_e32 v0, v3
	v_mov_b32_e32 v1, v3
	v_mov_b64_e32 v[4:5], v[2:3]
.LBB154_3:                              ; =>This Inner Loop Header: Depth=1
	v_lshl_add_u64 v[4:5], s[14:15], 0, v[4:5]
	v_cmp_le_i64_e32 vcc, s[6:7], v[4:5]
	buffer_store_dwordx2 v[0:1], v6, s[8:11], 0 offen
	s_or_b64 s[16:17], vcc, s[16:17]
	v_add_u32_e32 v6, s3, v6
	s_andn2_b64 exec, exec, s[16:17]
	s_cbranch_execnz .LBB154_3
.LBB154_4:
	s_or_b64 exec, exec, s[12:13]
	s_mov_b64 s[12:13], 0
.LBB154_5:
	s_andn2_b64 vcc, exec, s[12:13]
	s_cbranch_vccnz .LBB154_9
; %bb.6:
	v_cmp_gt_i32_e32 vcc, s6, v2
	s_and_saveexec_b64 s[12:13], vcc
	s_cbranch_execz .LBB154_9
; %bb.7:
	s_load_dwordx2 s[12:13], s[0:1], 0x18
	s_load_dwordx2 s[18:19], s[0:1], 0x8
	s_mul_hi_i32 s5, s6, s4
	s_mul_i32 s4, s6, s4
	s_lshl_b64 s[4:5], s[4:5], 3
	s_waitcnt lgkmcnt(0)
	s_add_u32 s12, s12, s4
	s_addc_u32 s3, s13, s5
	s_lshl_b64 s[4:5], s[6:7], 2
	s_add_u32 s16, s12, s4
	s_addc_u32 s4, s3, s5
	s_and_b32 s13, s3, 0xffff
	s_and_b32 s17, s4, 0xffff
	s_mul_i32 s3, s2, s7
	s_mul_hi_u32 s4, s2, s6
	s_add_i32 s3, s4, s3
	s_mul_i32 s2, s2, s6
	s_lshl_b32 s14, s6, 2
	s_lshl_b64 s[2:3], s[2:3], 2
	s_add_u32 s20, s18, s2
	s_addc_u32 s4, s19, s3
	s_lshl_b64 s[2:3], s[6:7], 1
	s_add_u32 s24, s20, s2
	s_addc_u32 s2, s4, s3
	s_and_b32 s21, s4, 0xffff
	s_and_b32 s25, s2, 0xffff
	s_mov_b32 s11, 0x20000
	s_add_u32 s28, s0, 48
	s_mov_b32 s15, s11
	v_mov_b32_e32 v3, 0
	s_addc_u32 s29, s1, 0
	s_mov_b64 s[30:31], 0
	s_mov_b32 s22, s10
	s_mov_b32 s23, s11
	;; [unrolled: 1-line block ×6, first 2 shown]
	v_mov_b32_e32 v0, 0x7f800000
	s_mov_b32 s26, s10
	s_mov_b32 s27, s11
.LBB154_8:                              ; =>This Inner Loop Header: Depth=1
	v_lshlrev_b32_e32 v1, 1, v2
	v_lshlrev_b32_e32 v16, 2, v2
	s_mov_b32 s18, s14
	s_mov_b32 s19, s15
	buffer_load_dwordx2 v[12:13], v1, s[24:27], 0 offen
	buffer_load_dwordx2 v[14:15], v1, s[20:23], 0 offen
	buffer_load_dwordx4 v[4:7], v16, s[12:15], 0 offen
	buffer_load_dwordx4 v[8:11], v16, s[16:19], 0 offen
	s_waitcnt vmcnt(3)
	v_cvt_f32_f16_e32 v16, v12
	s_waitcnt vmcnt(2)
	v_cvt_f32_f16_e32 v18, v14
	v_cvt_f32_f16_sdwa v19, v14 dst_sel:DWORD dst_unused:UNUSED_PAD src0_sel:WORD_1
	v_cvt_f32_f16_e32 v14, v15
	v_cvt_f32_f16_sdwa v15, v15 dst_sel:DWORD dst_unused:UNUSED_PAD src0_sel:WORD_1
	v_cvt_f32_f16_sdwa v17, v12 dst_sel:DWORD dst_unused:UNUSED_PAD src0_sel:WORD_1
	v_cvt_f32_f16_e32 v12, v13
	v_cvt_f32_f16_sdwa v13, v13 dst_sel:DWORD dst_unused:UNUSED_PAD src0_sel:WORD_1
	s_waitcnt vmcnt(1)
	v_pk_add_f32 v[4:5], v[4:5], v[18:19]
	v_pk_add_f32 v[6:7], v[6:7], v[14:15]
	s_waitcnt vmcnt(0)
	v_pk_add_f32 v[8:9], v[8:9], v[16:17]
	v_pk_add_f32 v[10:11], v[10:11], v[12:13]
	v_mul_f32_e32 v12, 0xbfb8aa3b, v4
	v_mul_f32_e32 v13, 0xbfb8aa3b, v5
	;; [unrolled: 1-line block ×4, first 2 shown]
	v_fma_f32 v16, v4, s33, -v12
	v_rndne_f32_e32 v17, v12
	v_fma_f32 v18, v5, s33, -v13
	v_rndne_f32_e32 v19, v13
	;; [unrolled: 2-line block ×4, first 2 shown]
	v_fmac_f32_e32 v16, 0xb2a5705f, v4
	v_sub_f32_e32 v12, v12, v17
	v_fmac_f32_e32 v18, 0xb2a5705f, v5
	v_sub_f32_e32 v13, v13, v19
	;; [unrolled: 2-line block ×4, first 2 shown]
	v_add_f32_e32 v12, v12, v16
	v_add_f32_e32 v13, v13, v18
	;; [unrolled: 1-line block ×4, first 2 shown]
	v_cvt_i32_f32_e32 v17, v17
	v_cvt_i32_f32_e32 v19, v19
	;; [unrolled: 1-line block ×4, first 2 shown]
	v_exp_f32_e32 v12, v12
	v_exp_f32_e32 v13, v13
	;; [unrolled: 1-line block ×4, first 2 shown]
	v_ldexp_f32 v12, v12, v17
	v_ldexp_f32 v13, v13, v19
	v_cmp_nlt_f32_e32 vcc, s36, v5
	v_ldexp_f32 v14, v14, v21
	v_cmp_nlt_f32_e64 s[0:1], s36, v6
	v_ldexp_f32 v15, v15, v23
	v_cmp_nlt_f32_e64 s[2:3], s36, v7
	v_cmp_nlt_f32_e64 s[4:5], s36, v4
	v_cndmask_b32_e32 v13, 0, v13, vcc
	v_cmp_ngt_f32_e32 vcc, s37, v5
	v_cndmask_b32_e64 v12, 0, v12, s[4:5]
	v_cndmask_b32_e64 v14, 0, v14, s[0:1]
	v_cmp_ngt_f32_e64 s[0:1], s37, v6
	v_cndmask_b32_e64 v15, 0, v15, s[2:3]
	v_cmp_ngt_f32_e64 s[2:3], s37, v7
	v_cmp_ngt_f32_e64 s[4:5], s37, v4
	v_cndmask_b32_e32 v13, v0, v13, vcc
	v_cndmask_b32_e64 v14, v0, v14, s[0:1]
	v_cndmask_b32_e64 v12, v0, v12, s[4:5]
	;; [unrolled: 1-line block ×3, first 2 shown]
	v_add_f32_e32 v12, 1.0, v12
	v_add_f32_e32 v13, 1.0, v13
	;; [unrolled: 1-line block ×4, first 2 shown]
	v_rcp_f32_e32 v12, v12
	v_rcp_f32_e32 v13, v13
	;; [unrolled: 1-line block ×4, first 2 shown]
	v_pk_mul_f32 v[4:5], v[4:5], v[12:13]
	s_nop 0
	;;#ASMSTART
	v_pk_mul_f32 v[4:5], v[4:5], v[8:9]
	;;#ASMEND
	v_pk_mul_f32 v[6:7], v[6:7], v[14:15]
	v_cvt_f16_f32_e32 v4, v4
	;;#ASMSTART
	v_pk_mul_f32 v[6:7], v[6:7], v[10:11]
	;;#ASMEND
	s_load_dword s0, s[28:29], 0xc
	v_cvt_f16_f32_e32 v6, v6
	v_cvt_f16_f32_e32 v7, v7
	v_cvt_f16_f32_e32 v8, v5
	s_waitcnt lgkmcnt(0)
	s_and_b32 s0, s0, 0xffff
	s_lshl_b32 s34, s0, 2
	v_lshl_add_u64 v[2:3], s[34:35], 0, v[2:3]
	v_cmp_le_i64_e32 vcc, s[6:7], v[2:3]
	v_pack_b32_f16 v5, v6, v7
	v_pack_b32_f16 v4, v4, v8
	s_or_b64 s[30:31], vcc, s[30:31]
	buffer_store_dwordx2 v[4:5], v1, s[8:11], 0 offen
	s_andn2_b64 exec, exec, s[30:31]
	s_cbranch_execnz .LBB154_8
.LBB154_9:
	s_endpgm
	.section	.rodata,"a",@progbits
	.p2align	6, 0x0
	.amdhsa_kernel _ZN5aiter23act_and_mul_bias_kernelIDF16_DF16_sfTnPFfRKT2_EXadL_ZNS_11silu_kernelIfEEfRKT_EELi4EEEvPT0_PS8_PKT1_PS2_il
		.amdhsa_group_segment_fixed_size 0
		.amdhsa_private_segment_fixed_size 0
		.amdhsa_kernarg_size 304
		.amdhsa_user_sgpr_count 2
		.amdhsa_user_sgpr_dispatch_ptr 0
		.amdhsa_user_sgpr_queue_ptr 0
		.amdhsa_user_sgpr_kernarg_segment_ptr 1
		.amdhsa_user_sgpr_dispatch_id 0
		.amdhsa_user_sgpr_kernarg_preload_length 0
		.amdhsa_user_sgpr_kernarg_preload_offset 0
		.amdhsa_user_sgpr_private_segment_size 0
		.amdhsa_uses_dynamic_stack 0
		.amdhsa_enable_private_segment 0
		.amdhsa_system_sgpr_workgroup_id_x 1
		.amdhsa_system_sgpr_workgroup_id_y 0
		.amdhsa_system_sgpr_workgroup_id_z 0
		.amdhsa_system_sgpr_workgroup_info 0
		.amdhsa_system_vgpr_workitem_id 0
		.amdhsa_next_free_vgpr 24
		.amdhsa_next_free_sgpr 38
		.amdhsa_accum_offset 24
		.amdhsa_reserve_vcc 1
		.amdhsa_float_round_mode_32 0
		.amdhsa_float_round_mode_16_64 0
		.amdhsa_float_denorm_mode_32 3
		.amdhsa_float_denorm_mode_16_64 3
		.amdhsa_dx10_clamp 1
		.amdhsa_ieee_mode 1
		.amdhsa_fp16_overflow 0
		.amdhsa_tg_split 0
		.amdhsa_exception_fp_ieee_invalid_op 0
		.amdhsa_exception_fp_denorm_src 0
		.amdhsa_exception_fp_ieee_div_zero 0
		.amdhsa_exception_fp_ieee_overflow 0
		.amdhsa_exception_fp_ieee_underflow 0
		.amdhsa_exception_fp_ieee_inexact 0
		.amdhsa_exception_int_div_zero 0
	.end_amdhsa_kernel
	.section	.text._ZN5aiter23act_and_mul_bias_kernelIDF16_DF16_sfTnPFfRKT2_EXadL_ZNS_11silu_kernelIfEEfRKT_EELi4EEEvPT0_PS8_PKT1_PS2_il,"axG",@progbits,_ZN5aiter23act_and_mul_bias_kernelIDF16_DF16_sfTnPFfRKT2_EXadL_ZNS_11silu_kernelIfEEfRKT_EELi4EEEvPT0_PS8_PKT1_PS2_il,comdat
.Lfunc_end154:
	.size	_ZN5aiter23act_and_mul_bias_kernelIDF16_DF16_sfTnPFfRKT2_EXadL_ZNS_11silu_kernelIfEEfRKT_EELi4EEEvPT0_PS8_PKT1_PS2_il, .Lfunc_end154-_ZN5aiter23act_and_mul_bias_kernelIDF16_DF16_sfTnPFfRKT2_EXadL_ZNS_11silu_kernelIfEEfRKT_EELi4EEEvPT0_PS8_PKT1_PS2_il
                                        ; -- End function
	.section	.AMDGPU.csdata,"",@progbits
; Kernel info:
; codeLenInByte = 1152
; NumSgprs: 44
; NumVgprs: 24
; NumAgprs: 0
; TotalNumVgprs: 24
; ScratchSize: 0
; MemoryBound: 0
; FloatMode: 240
; IeeeMode: 1
; LDSByteSize: 0 bytes/workgroup (compile time only)
; SGPRBlocks: 5
; VGPRBlocks: 2
; NumSGPRsForWavesPerEU: 44
; NumVGPRsForWavesPerEU: 24
; AccumOffset: 24
; Occupancy: 8
; WaveLimiterHint : 0
; COMPUTE_PGM_RSRC2:SCRATCH_EN: 0
; COMPUTE_PGM_RSRC2:USER_SGPR: 2
; COMPUTE_PGM_RSRC2:TRAP_HANDLER: 0
; COMPUTE_PGM_RSRC2:TGID_X_EN: 1
; COMPUTE_PGM_RSRC2:TGID_Y_EN: 0
; COMPUTE_PGM_RSRC2:TGID_Z_EN: 0
; COMPUTE_PGM_RSRC2:TIDIG_COMP_CNT: 0
; COMPUTE_PGM_RSRC3_GFX90A:ACCUM_OFFSET: 5
; COMPUTE_PGM_RSRC3_GFX90A:TG_SPLIT: 0
	.section	.text._ZN5aiter23act_and_mul_bias_kernelIDF16_DF16_sfTnPFfRKT2_EXadL_ZNS_11silu_kernelIfEEfRKT_EELi2EEEvPT0_PS8_PKT1_PS2_il,"axG",@progbits,_ZN5aiter23act_and_mul_bias_kernelIDF16_DF16_sfTnPFfRKT2_EXadL_ZNS_11silu_kernelIfEEfRKT_EELi2EEEvPT0_PS8_PKT1_PS2_il,comdat
	.protected	_ZN5aiter23act_and_mul_bias_kernelIDF16_DF16_sfTnPFfRKT2_EXadL_ZNS_11silu_kernelIfEEfRKT_EELi2EEEvPT0_PS8_PKT1_PS2_il ; -- Begin function _ZN5aiter23act_and_mul_bias_kernelIDF16_DF16_sfTnPFfRKT2_EXadL_ZNS_11silu_kernelIfEEfRKT_EELi2EEEvPT0_PS8_PKT1_PS2_il
	.globl	_ZN5aiter23act_and_mul_bias_kernelIDF16_DF16_sfTnPFfRKT2_EXadL_ZNS_11silu_kernelIfEEfRKT_EELi2EEEvPT0_PS8_PKT1_PS2_il
	.p2align	8
	.type	_ZN5aiter23act_and_mul_bias_kernelIDF16_DF16_sfTnPFfRKT2_EXadL_ZNS_11silu_kernelIfEEfRKT_EELi2EEEvPT0_PS8_PKT1_PS2_il,@function
_ZN5aiter23act_and_mul_bias_kernelIDF16_DF16_sfTnPFfRKT2_EXadL_ZNS_11silu_kernelIfEEfRKT_EELi2EEEvPT0_PS8_PKT1_PS2_il: ; @_ZN5aiter23act_and_mul_bias_kernelIDF16_DF16_sfTnPFfRKT2_EXadL_ZNS_11silu_kernelIfEEfRKT_EELi2EEEvPT0_PS8_PKT1_PS2_il
; %bb.0:
	s_load_dword s24, s[0:1], 0x20
	s_load_dwordx2 s[4:5], s[0:1], 0x10
	s_load_dwordx2 s[6:7], s[0:1], 0x28
	s_mov_b32 s3, 0
	s_lshl_b64 s[8:9], s[2:3], 1
	s_waitcnt lgkmcnt(0)
	s_ashr_i32 s25, s24, 31
	s_add_u32 s4, s4, s8
	s_addc_u32 s5, s5, s9
	v_mov_b32_e32 v1, 0
	global_load_ushort v1, v1, s[4:5]
	s_mul_hi_u32 s3, s24, s2
	v_mov_b64_e32 v[2:3], s[6:7]
	s_mul_i32 s6, s25, s2
	s_add_i32 s7, s24, 1
	s_add_i32 s9, s3, s6
	s_lshr_b32 s3, s7, 31
	s_load_dwordx2 s[4:5], s[0:1], 0x0
	s_add_i32 s7, s7, s3
	s_lshl_b32 s3, s7, 1
	s_mul_i32 s8, s24, s2
	s_and_b32 s6, s3, -4
	s_lshl_b64 s[12:13], s[8:9], 1
	s_mov_b64 s[10:11], -1
	s_waitcnt vmcnt(0)
	v_readfirstlane_b32 s3, v1
	s_sext_i32_i16 s8, s3
	s_ashr_i32 s9, s8, 31
	s_waitcnt lgkmcnt(0)
	s_add_u32 s4, s4, s12
	s_addc_u32 s3, s5, s13
	s_and_b32 s5, s3, 0xffff
	s_cmp_gt_i32 s8, -1
	v_cmp_lt_i64_e32 vcc, s[8:9], v[2:3]
	s_cselect_b64 s[12:13], -1, 0
	s_and_b64 s[12:13], s[12:13], vcc
	s_and_b64 vcc, exec, s[12:13]
	v_lshlrev_b32_e32 v2, 1, v0
	s_cbranch_vccnz .LBB155_5
; %bb.1:
	v_cmp_gt_i32_e32 vcc, s24, v2
	s_and_saveexec_b64 s[10:11], vcc
	s_cbranch_execz .LBB155_4
; %bb.2:
	s_load_dword s3, s[0:1], 0x3c
	v_mov_b32_e32 v3, 0
	s_mov_b32 s13, 0
	v_lshlrev_b32_e32 v4, 2, v0
	s_mov_b64 s[14:15], 0
	s_waitcnt lgkmcnt(0)
	s_and_b32 s3, s3, 0xffff
	s_lshl_b32 s12, s3, 1
	s_lshl_b32 s3, s3, 2
	s_mov_b32 s7, 0x20000
	v_mov_b64_e32 v[0:1], v[2:3]
.LBB155_3:                              ; =>This Inner Loop Header: Depth=1
	v_lshl_add_u64 v[0:1], s[12:13], 0, v[0:1]
	v_cmp_le_i64_e32 vcc, s[24:25], v[0:1]
	buffer_store_dword v3, v4, s[4:7], 0 offen
	s_or_b64 s[14:15], vcc, s[14:15]
	v_add_u32_e32 v4, s3, v4
	s_andn2_b64 exec, exec, s[14:15]
	s_cbranch_execnz .LBB155_3
.LBB155_4:
	s_or_b64 exec, exec, s[10:11]
	s_mov_b64 s[10:11], 0
.LBB155_5:
	s_andn2_b64 vcc, exec, s[10:11]
	s_cbranch_vccnz .LBB155_9
; %bb.6:
	v_cmp_gt_i32_e32 vcc, s24, v2
	s_and_saveexec_b64 s[10:11], vcc
	s_cbranch_execz .LBB155_9
; %bb.7:
	s_load_dwordx2 s[10:11], s[0:1], 0x18
	s_load_dwordx2 s[14:15], s[0:1], 0x8
	s_mul_hi_i32 s9, s24, s8
	s_mul_i32 s8, s24, s8
	s_lshl_b64 s[8:9], s[8:9], 3
	s_waitcnt lgkmcnt(0)
	s_add_u32 s8, s10, s8
	s_addc_u32 s3, s11, s9
	s_lshl_b64 s[10:11], s[24:25], 2
	s_add_u32 s12, s8, s10
	s_addc_u32 s13, s3, s11
	s_and_b32 s9, s3, 0xffff
	s_mul_i32 s3, s2, s25
	s_mul_hi_u32 s16, s2, s24
	s_add_i32 s3, s16, s3
	s_mul_i32 s2, s2, s24
	s_lshl_b32 s10, s24, 2
	s_and_b32 s13, s13, 0xffff
	s_lshl_b64 s[2:3], s[2:3], 2
	s_add_u32 s16, s14, s2
	s_addc_u32 s14, s15, s3
	s_lshl_b64 s[2:3], s[24:25], 1
	s_add_u32 s20, s16, s2
	s_addc_u32 s2, s14, s3
	s_and_b32 s17, s14, 0xffff
	s_and_b32 s21, s2, 0xffff
	s_mov_b32 s7, 0x20000
	s_add_u32 s2, s0, 48
	s_mov_b32 s11, s7
	v_mov_b32_e32 v3, 0
	s_addc_u32 s3, s1, 0
	s_mov_b64 s[26:27], 0
	s_mov_b32 s18, s6
	s_mov_b32 s19, s7
	;; [unrolled: 1-line block ×6, first 2 shown]
	v_mov_b32_e32 v0, 0x7f800000
	s_mov_b32 s22, s6
	s_mov_b32 s23, s7
.LBB155_8:                              ; =>This Inner Loop Header: Depth=1
	v_lshlrev_b32_e32 v1, 1, v2
	v_lshlrev_b32_e32 v8, 2, v2
	s_mov_b32 s14, s10
	s_mov_b32 s15, s11
	buffer_load_dword v9, v1, s[20:23], 0 offen
	buffer_load_dword v11, v1, s[16:19], 0 offen
	buffer_load_dwordx2 v[4:5], v8, s[8:11], 0 offen
	buffer_load_dwordx2 v[6:7], v8, s[12:15], 0 offen
	s_waitcnt vmcnt(3)
	v_cvt_f32_f16_e32 v8, v9
	s_waitcnt vmcnt(2)
	v_cvt_f32_f16_e32 v10, v11
	v_cvt_f32_f16_sdwa v11, v11 dst_sel:DWORD dst_unused:UNUSED_PAD src0_sel:WORD_1
	v_cvt_f32_f16_sdwa v9, v9 dst_sel:DWORD dst_unused:UNUSED_PAD src0_sel:WORD_1
	s_waitcnt vmcnt(1)
	v_pk_add_f32 v[4:5], v[4:5], v[10:11]
	s_waitcnt vmcnt(0)
	v_pk_add_f32 v[6:7], v[6:7], v[8:9]
	v_mul_f32_e32 v8, 0xbfb8aa3b, v5
	v_mul_f32_e32 v9, 0xbfb8aa3b, v4
	v_fma_f32 v10, v5, s30, -v8
	v_rndne_f32_e32 v11, v8
	v_fma_f32 v12, v4, s30, -v9
	v_rndne_f32_e32 v13, v9
	v_fmac_f32_e32 v10, 0xb2a5705f, v5
	v_sub_f32_e32 v8, v8, v11
	v_fmac_f32_e32 v12, 0xb2a5705f, v4
	v_sub_f32_e32 v9, v9, v13
	v_add_f32_e32 v8, v8, v10
	v_add_f32_e32 v9, v9, v12
	v_cvt_i32_f32_e32 v11, v11
	v_cvt_i32_f32_e32 v13, v13
	v_exp_f32_e32 v8, v8
	v_exp_f32_e32 v9, v9
	v_cmp_nlt_f32_e32 vcc, s31, v4
	v_cmp_nlt_f32_e64 s[0:1], s31, v5
	v_ldexp_f32 v8, v8, v11
	v_ldexp_f32 v9, v9, v13
	v_cndmask_b32_e64 v8, 0, v8, s[0:1]
	v_cndmask_b32_e32 v9, 0, v9, vcc
	v_cmp_ngt_f32_e32 vcc, s33, v4
	v_cmp_ngt_f32_e64 s[0:1], s33, v5
	s_nop 0
	v_cndmask_b32_e32 v9, v0, v9, vcc
	v_cndmask_b32_e64 v8, v0, v8, s[0:1]
	v_add_f32_e32 v8, 1.0, v8
	v_add_f32_e32 v10, 1.0, v9
	v_rcp_f32_e32 v9, v8
	v_rcp_f32_e32 v8, v10
	s_nop 0
	v_pk_mul_f32 v[4:5], v[4:5], v[8:9]
	s_nop 0
	;;#ASMSTART
	v_pk_mul_f32 v[4:5], v[4:5], v[6:7]
	;;#ASMEND
	s_load_dword s0, s[2:3], 0xc
	v_cvt_f16_f32_e32 v4, v4
	v_cvt_f16_f32_e32 v5, v5
	s_waitcnt lgkmcnt(0)
	s_and_b32 s0, s0, 0xffff
	s_lshl_b32 s28, s0, 1
	v_lshl_add_u64 v[2:3], s[28:29], 0, v[2:3]
	v_cmp_le_i64_e32 vcc, s[24:25], v[2:3]
	v_pack_b32_f16 v4, v4, v5
	s_or_b64 s[26:27], vcc, s[26:27]
	buffer_store_dword v4, v1, s[4:7], 0 offen
	s_andn2_b64 exec, exec, s[26:27]
	s_cbranch_execnz .LBB155_8
.LBB155_9:
	s_endpgm
	.section	.rodata,"a",@progbits
	.p2align	6, 0x0
	.amdhsa_kernel _ZN5aiter23act_and_mul_bias_kernelIDF16_DF16_sfTnPFfRKT2_EXadL_ZNS_11silu_kernelIfEEfRKT_EELi2EEEvPT0_PS8_PKT1_PS2_il
		.amdhsa_group_segment_fixed_size 0
		.amdhsa_private_segment_fixed_size 0
		.amdhsa_kernarg_size 304
		.amdhsa_user_sgpr_count 2
		.amdhsa_user_sgpr_dispatch_ptr 0
		.amdhsa_user_sgpr_queue_ptr 0
		.amdhsa_user_sgpr_kernarg_segment_ptr 1
		.amdhsa_user_sgpr_dispatch_id 0
		.amdhsa_user_sgpr_kernarg_preload_length 0
		.amdhsa_user_sgpr_kernarg_preload_offset 0
		.amdhsa_user_sgpr_private_segment_size 0
		.amdhsa_uses_dynamic_stack 0
		.amdhsa_enable_private_segment 0
		.amdhsa_system_sgpr_workgroup_id_x 1
		.amdhsa_system_sgpr_workgroup_id_y 0
		.amdhsa_system_sgpr_workgroup_id_z 0
		.amdhsa_system_sgpr_workgroup_info 0
		.amdhsa_system_vgpr_workitem_id 0
		.amdhsa_next_free_vgpr 14
		.amdhsa_next_free_sgpr 34
		.amdhsa_accum_offset 16
		.amdhsa_reserve_vcc 1
		.amdhsa_float_round_mode_32 0
		.amdhsa_float_round_mode_16_64 0
		.amdhsa_float_denorm_mode_32 3
		.amdhsa_float_denorm_mode_16_64 3
		.amdhsa_dx10_clamp 1
		.amdhsa_ieee_mode 1
		.amdhsa_fp16_overflow 0
		.amdhsa_tg_split 0
		.amdhsa_exception_fp_ieee_invalid_op 0
		.amdhsa_exception_fp_denorm_src 0
		.amdhsa_exception_fp_ieee_div_zero 0
		.amdhsa_exception_fp_ieee_overflow 0
		.amdhsa_exception_fp_ieee_underflow 0
		.amdhsa_exception_fp_ieee_inexact 0
		.amdhsa_exception_int_div_zero 0
	.end_amdhsa_kernel
	.section	.text._ZN5aiter23act_and_mul_bias_kernelIDF16_DF16_sfTnPFfRKT2_EXadL_ZNS_11silu_kernelIfEEfRKT_EELi2EEEvPT0_PS8_PKT1_PS2_il,"axG",@progbits,_ZN5aiter23act_and_mul_bias_kernelIDF16_DF16_sfTnPFfRKT2_EXadL_ZNS_11silu_kernelIfEEfRKT_EELi2EEEvPT0_PS8_PKT1_PS2_il,comdat
.Lfunc_end155:
	.size	_ZN5aiter23act_and_mul_bias_kernelIDF16_DF16_sfTnPFfRKT2_EXadL_ZNS_11silu_kernelIfEEfRKT_EELi2EEEvPT0_PS8_PKT1_PS2_il, .Lfunc_end155-_ZN5aiter23act_and_mul_bias_kernelIDF16_DF16_sfTnPFfRKT2_EXadL_ZNS_11silu_kernelIfEEfRKT_EELi2EEEvPT0_PS8_PKT1_PS2_il
                                        ; -- End function
	.section	.AMDGPU.csdata,"",@progbits
; Kernel info:
; codeLenInByte = 896
; NumSgprs: 40
; NumVgprs: 14
; NumAgprs: 0
; TotalNumVgprs: 14
; ScratchSize: 0
; MemoryBound: 0
; FloatMode: 240
; IeeeMode: 1
; LDSByteSize: 0 bytes/workgroup (compile time only)
; SGPRBlocks: 4
; VGPRBlocks: 1
; NumSGPRsForWavesPerEU: 40
; NumVGPRsForWavesPerEU: 14
; AccumOffset: 16
; Occupancy: 8
; WaveLimiterHint : 0
; COMPUTE_PGM_RSRC2:SCRATCH_EN: 0
; COMPUTE_PGM_RSRC2:USER_SGPR: 2
; COMPUTE_PGM_RSRC2:TRAP_HANDLER: 0
; COMPUTE_PGM_RSRC2:TGID_X_EN: 1
; COMPUTE_PGM_RSRC2:TGID_Y_EN: 0
; COMPUTE_PGM_RSRC2:TGID_Z_EN: 0
; COMPUTE_PGM_RSRC2:TIDIG_COMP_CNT: 0
; COMPUTE_PGM_RSRC3_GFX90A:ACCUM_OFFSET: 3
; COMPUTE_PGM_RSRC3_GFX90A:TG_SPLIT: 0
	.section	.text._ZN5aiter23act_and_mul_bias_kernelIDF16_DF16_sfTnPFfRKT2_EXadL_ZNS_11silu_kernelIfEEfRKT_EELi1EEEvPT0_PS8_PKT1_PS2_il,"axG",@progbits,_ZN5aiter23act_and_mul_bias_kernelIDF16_DF16_sfTnPFfRKT2_EXadL_ZNS_11silu_kernelIfEEfRKT_EELi1EEEvPT0_PS8_PKT1_PS2_il,comdat
	.protected	_ZN5aiter23act_and_mul_bias_kernelIDF16_DF16_sfTnPFfRKT2_EXadL_ZNS_11silu_kernelIfEEfRKT_EELi1EEEvPT0_PS8_PKT1_PS2_il ; -- Begin function _ZN5aiter23act_and_mul_bias_kernelIDF16_DF16_sfTnPFfRKT2_EXadL_ZNS_11silu_kernelIfEEfRKT_EELi1EEEvPT0_PS8_PKT1_PS2_il
	.globl	_ZN5aiter23act_and_mul_bias_kernelIDF16_DF16_sfTnPFfRKT2_EXadL_ZNS_11silu_kernelIfEEfRKT_EELi1EEEvPT0_PS8_PKT1_PS2_il
	.p2align	8
	.type	_ZN5aiter23act_and_mul_bias_kernelIDF16_DF16_sfTnPFfRKT2_EXadL_ZNS_11silu_kernelIfEEfRKT_EELi1EEEvPT0_PS8_PKT1_PS2_il,@function
_ZN5aiter23act_and_mul_bias_kernelIDF16_DF16_sfTnPFfRKT2_EXadL_ZNS_11silu_kernelIfEEfRKT_EELi1EEEvPT0_PS8_PKT1_PS2_il: ; @_ZN5aiter23act_and_mul_bias_kernelIDF16_DF16_sfTnPFfRKT2_EXadL_ZNS_11silu_kernelIfEEfRKT_EELi1EEEvPT0_PS8_PKT1_PS2_il
; %bb.0:
	s_load_dword s20, s[0:1], 0x20
	s_load_dwordx2 s[4:5], s[0:1], 0x10
	s_load_dwordx2 s[6:7], s[0:1], 0x28
	s_mov_b32 s3, 0
	s_lshl_b64 s[8:9], s[2:3], 1
	s_waitcnt lgkmcnt(0)
	s_ashr_i32 s21, s20, 31
	s_add_u32 s4, s4, s8
	s_addc_u32 s5, s5, s9
	v_mov_b32_e32 v1, 0
	global_load_ushort v1, v1, s[4:5]
	s_mul_hi_u32 s3, s20, s2
	v_mov_b64_e32 v[2:3], s[6:7]
	s_mul_i32 s6, s21, s2
	s_add_i32 s7, s20, 1
	s_add_i32 s9, s3, s6
	s_lshr_b32 s3, s7, 31
	s_load_dwordx2 s[4:5], s[0:1], 0x0
	s_add_i32 s7, s7, s3
	s_lshl_b32 s3, s7, 1
	s_and_b32 s10, s3, -4
	s_mul_i32 s8, s20, s2
	s_lshl_b64 s[8:9], s[8:9], 1
	s_mov_b64 s[12:13], -1
	s_waitcnt vmcnt(0)
	v_readfirstlane_b32 s3, v1
	s_sext_i32_i16 s6, s3
	s_ashr_i32 s7, s6, 31
	s_waitcnt lgkmcnt(0)
	s_add_u32 s8, s4, s8
	s_addc_u32 s3, s5, s9
	s_and_b32 s9, s3, 0xffff
	s_cmp_gt_i32 s6, -1
	v_cmp_lt_i64_e32 vcc, s[6:7], v[2:3]
	s_cselect_b64 s[4:5], -1, 0
	s_and_b64 s[4:5], s[4:5], vcc
	s_and_b64 vcc, exec, s[4:5]
	v_cmp_gt_i32_e64 s[4:5], s20, v0
	s_cbranch_vccnz .LBB156_5
; %bb.1:
	s_and_saveexec_b64 s[12:13], s[4:5]
	s_cbranch_execz .LBB156_4
; %bb.2:
	s_load_dword s3, s[0:1], 0x3c
	v_mov_b32_e32 v1, 0
	s_mov_b32 s5, 0
	v_lshlrev_b32_e32 v4, 1, v0
	s_mov_b64 s[14:15], 0
	s_waitcnt lgkmcnt(0)
	s_and_b32 s4, s3, 0xffff
	s_lshl_b32 s3, s4, 1
	s_mov_b32 s11, 0x20000
	v_mov_b64_e32 v[2:3], v[0:1]
.LBB156_3:                              ; =>This Inner Loop Header: Depth=1
	v_lshl_add_u64 v[2:3], v[2:3], 0, s[4:5]
	v_cmp_le_i64_e32 vcc, s[20:21], v[2:3]
	buffer_store_short v1, v4, s[8:11], 0 offen
	s_or_b64 s[14:15], vcc, s[14:15]
	v_add_u32_e32 v4, s3, v4
	s_andn2_b64 exec, exec, s[14:15]
	s_cbranch_execnz .LBB156_3
.LBB156_4:
	s_or_b64 exec, exec, s[12:13]
	s_mov_b64 s[12:13], 0
.LBB156_5:
	s_andn2_b64 vcc, exec, s[12:13]
	s_cbranch_vccnz .LBB156_9
; %bb.6:
	v_cmp_gt_i32_e32 vcc, s20, v0
	s_and_saveexec_b64 s[4:5], vcc
	s_cbranch_execz .LBB156_9
; %bb.7:
	s_load_dwordx2 s[12:13], s[0:1], 0x8
	s_load_dwordx2 s[4:5], s[0:1], 0x18
	s_mul_hi_i32 s7, s20, s6
	s_mul_i32 s6, s20, s6
	s_lshl_b64 s[6:7], s[6:7], 3
	s_load_dword s14, s[0:1], 0x3c
	s_waitcnt lgkmcnt(0)
	s_add_u32 s4, s4, s6
	s_addc_u32 s3, s5, s7
	s_lshl_b64 s[0:1], s[20:21], 2
	s_add_u32 s0, s4, s0
	s_addc_u32 s1, s3, s1
	s_and_b32 s5, s3, 0xffff
	s_mul_i32 s3, s2, s21
	s_mul_hi_u32 s15, s2, s20
	s_add_i32 s3, s15, s3
	s_mul_i32 s2, s2, s20
	s_lshl_b32 s6, s20, 2
	s_and_b32 s1, s1, 0xffff
	s_lshl_b64 s[2:3], s[2:3], 2
	s_add_u32 s12, s12, s2
	s_addc_u32 s13, s13, s3
	s_lshl_b64 s[2:3], s[20:21], 1
	s_add_u32 s16, s12, s2
	s_mov_b32 s11, 0x20000
	s_addc_u32 s2, s13, s3
	s_and_b32 s22, s14, 0xffff
	s_mov_b32 s7, s11
	s_and_b32 s13, s13, 0xffff
	s_and_b32 s17, s2, 0xffff
	s_mov_b32 s23, 0
	v_mov_b32_e32 v1, 0
	v_lshlrev_b32_e32 v2, 2, v0
	s_lshl_b32 s26, s22, 2
	v_lshlrev_b32_e32 v3, 1, v0
	s_lshl_b32 s27, s22, 1
	s_mov_b64 s[24:25], 0
	s_mov_b32 s14, s10
	s_mov_b32 s15, s11
	;; [unrolled: 1-line block ×5, first 2 shown]
	v_mov_b32_e32 v4, 0x7f800000
	s_mov_b32 s18, s10
	s_mov_b32 s19, s11
.LBB156_8:                              ; =>This Inner Loop Header: Depth=1
	buffer_load_ushort v5, v3, s[12:15], 0 offen
	buffer_load_ushort v8, v3, s[16:19], 0 offen
	s_mov_b32 s2, s6
	s_mov_b32 s3, s7
	buffer_load_dword v7, v2, s[4:7], 0 offen
	buffer_load_dword v6, v2, s[0:3], 0 offen
	v_lshl_add_u64 v[0:1], v[0:1], 0, s[22:23]
	v_add_u32_e32 v2, s26, v2
	s_waitcnt vmcnt(3)
	v_cvt_f32_f16_e32 v9, v5
	s_waitcnt vmcnt(2)
	v_cvt_f32_f16_e32 v8, v8
	s_waitcnt vmcnt(0)
	v_pk_add_f32 v[6:7], v[8:9], v[6:7]
	s_nop 0
	v_mul_f32_e32 v5, 0xbfb8aa3b, v7
	v_fma_f32 v8, v7, s28, -v5
	v_rndne_f32_e32 v9, v5
	v_fmac_f32_e32 v8, 0xb2a5705f, v7
	v_sub_f32_e32 v5, v5, v9
	v_add_f32_e32 v5, v5, v8
	v_cvt_i32_f32_e32 v9, v9
	v_exp_f32_e32 v5, v5
	v_cmp_nlt_f32_e32 vcc, s29, v7
	v_ldexp_f32 v5, v5, v9
	s_nop 0
	v_cndmask_b32_e32 v5, 0, v5, vcc
	v_cmp_ngt_f32_e32 vcc, s30, v7
	s_nop 1
	v_cndmask_b32_e32 v5, v4, v5, vcc
	v_add_f32_e32 v5, 1.0, v5
	v_rcp_f32_e32 v5, v5
	v_cmp_le_i64_e32 vcc, s[20:21], v[0:1]
	s_or_b64 s[24:25], vcc, s[24:25]
	v_mul_f32_e32 v5, v7, v5
	v_fma_mixlo_f16 v5, v6, v5, 0
	buffer_store_short v5, v3, s[8:11], 0 offen
	v_add_u32_e32 v3, s27, v3
	s_andn2_b64 exec, exec, s[24:25]
	s_cbranch_execnz .LBB156_8
.LBB156_9:
	s_endpgm
	.section	.rodata,"a",@progbits
	.p2align	6, 0x0
	.amdhsa_kernel _ZN5aiter23act_and_mul_bias_kernelIDF16_DF16_sfTnPFfRKT2_EXadL_ZNS_11silu_kernelIfEEfRKT_EELi1EEEvPT0_PS8_PKT1_PS2_il
		.amdhsa_group_segment_fixed_size 0
		.amdhsa_private_segment_fixed_size 0
		.amdhsa_kernarg_size 304
		.amdhsa_user_sgpr_count 2
		.amdhsa_user_sgpr_dispatch_ptr 0
		.amdhsa_user_sgpr_queue_ptr 0
		.amdhsa_user_sgpr_kernarg_segment_ptr 1
		.amdhsa_user_sgpr_dispatch_id 0
		.amdhsa_user_sgpr_kernarg_preload_length 0
		.amdhsa_user_sgpr_kernarg_preload_offset 0
		.amdhsa_user_sgpr_private_segment_size 0
		.amdhsa_uses_dynamic_stack 0
		.amdhsa_enable_private_segment 0
		.amdhsa_system_sgpr_workgroup_id_x 1
		.amdhsa_system_sgpr_workgroup_id_y 0
		.amdhsa_system_sgpr_workgroup_id_z 0
		.amdhsa_system_sgpr_workgroup_info 0
		.amdhsa_system_vgpr_workitem_id 0
		.amdhsa_next_free_vgpr 10
		.amdhsa_next_free_sgpr 31
		.amdhsa_accum_offset 12
		.amdhsa_reserve_vcc 1
		.amdhsa_float_round_mode_32 0
		.amdhsa_float_round_mode_16_64 0
		.amdhsa_float_denorm_mode_32 3
		.amdhsa_float_denorm_mode_16_64 3
		.amdhsa_dx10_clamp 1
		.amdhsa_ieee_mode 1
		.amdhsa_fp16_overflow 0
		.amdhsa_tg_split 0
		.amdhsa_exception_fp_ieee_invalid_op 0
		.amdhsa_exception_fp_denorm_src 0
		.amdhsa_exception_fp_ieee_div_zero 0
		.amdhsa_exception_fp_ieee_overflow 0
		.amdhsa_exception_fp_ieee_underflow 0
		.amdhsa_exception_fp_ieee_inexact 0
		.amdhsa_exception_int_div_zero 0
	.end_amdhsa_kernel
	.section	.text._ZN5aiter23act_and_mul_bias_kernelIDF16_DF16_sfTnPFfRKT2_EXadL_ZNS_11silu_kernelIfEEfRKT_EELi1EEEvPT0_PS8_PKT1_PS2_il,"axG",@progbits,_ZN5aiter23act_and_mul_bias_kernelIDF16_DF16_sfTnPFfRKT2_EXadL_ZNS_11silu_kernelIfEEfRKT_EELi1EEEvPT0_PS8_PKT1_PS2_il,comdat
.Lfunc_end156:
	.size	_ZN5aiter23act_and_mul_bias_kernelIDF16_DF16_sfTnPFfRKT2_EXadL_ZNS_11silu_kernelIfEEfRKT_EELi1EEEvPT0_PS8_PKT1_PS2_il, .Lfunc_end156-_ZN5aiter23act_and_mul_bias_kernelIDF16_DF16_sfTnPFfRKT2_EXadL_ZNS_11silu_kernelIfEEfRKT_EELi1EEEvPT0_PS8_PKT1_PS2_il
                                        ; -- End function
	.section	.AMDGPU.csdata,"",@progbits
; Kernel info:
; codeLenInByte = 752
; NumSgprs: 37
; NumVgprs: 10
; NumAgprs: 0
; TotalNumVgprs: 10
; ScratchSize: 0
; MemoryBound: 0
; FloatMode: 240
; IeeeMode: 1
; LDSByteSize: 0 bytes/workgroup (compile time only)
; SGPRBlocks: 4
; VGPRBlocks: 1
; NumSGPRsForWavesPerEU: 37
; NumVGPRsForWavesPerEU: 10
; AccumOffset: 12
; Occupancy: 8
; WaveLimiterHint : 0
; COMPUTE_PGM_RSRC2:SCRATCH_EN: 0
; COMPUTE_PGM_RSRC2:USER_SGPR: 2
; COMPUTE_PGM_RSRC2:TRAP_HANDLER: 0
; COMPUTE_PGM_RSRC2:TGID_X_EN: 1
; COMPUTE_PGM_RSRC2:TGID_Y_EN: 0
; COMPUTE_PGM_RSRC2:TGID_Z_EN: 0
; COMPUTE_PGM_RSRC2:TIDIG_COMP_CNT: 0
; COMPUTE_PGM_RSRC3_GFX90A:ACCUM_OFFSET: 2
; COMPUTE_PGM_RSRC3_GFX90A:TG_SPLIT: 0
	.section	.text._ZN5aiter23act_and_mul_bias_kernelIttsfTnPFfRKT2_EXadL_ZNS_11silu_kernelIfEEfRKT_EELi32EEEvPT0_PS8_PKT1_PS2_il,"axG",@progbits,_ZN5aiter23act_and_mul_bias_kernelIttsfTnPFfRKT2_EXadL_ZNS_11silu_kernelIfEEfRKT_EELi32EEEvPT0_PS8_PKT1_PS2_il,comdat
	.protected	_ZN5aiter23act_and_mul_bias_kernelIttsfTnPFfRKT2_EXadL_ZNS_11silu_kernelIfEEfRKT_EELi32EEEvPT0_PS8_PKT1_PS2_il ; -- Begin function _ZN5aiter23act_and_mul_bias_kernelIttsfTnPFfRKT2_EXadL_ZNS_11silu_kernelIfEEfRKT_EELi32EEEvPT0_PS8_PKT1_PS2_il
	.globl	_ZN5aiter23act_and_mul_bias_kernelIttsfTnPFfRKT2_EXadL_ZNS_11silu_kernelIfEEfRKT_EELi32EEEvPT0_PS8_PKT1_PS2_il
	.p2align	8
	.type	_ZN5aiter23act_and_mul_bias_kernelIttsfTnPFfRKT2_EXadL_ZNS_11silu_kernelIfEEfRKT_EELi32EEEvPT0_PS8_PKT1_PS2_il,@function
_ZN5aiter23act_and_mul_bias_kernelIttsfTnPFfRKT2_EXadL_ZNS_11silu_kernelIfEEfRKT_EELi32EEEvPT0_PS8_PKT1_PS2_il: ; @_ZN5aiter23act_and_mul_bias_kernelIttsfTnPFfRKT2_EXadL_ZNS_11silu_kernelIfEEfRKT_EELi32EEEvPT0_PS8_PKT1_PS2_il
; %bb.0:
	s_load_dword s6, s[0:1], 0x20
	s_load_dwordx2 s[4:5], s[0:1], 0x10
	s_load_dwordx2 s[8:9], s[0:1], 0x28
	s_mov_b32 s3, 0
	s_lshl_b64 s[10:11], s[2:3], 1
	s_waitcnt lgkmcnt(0)
	s_ashr_i32 s7, s6, 31
	s_add_u32 s4, s4, s10
	s_addc_u32 s5, s5, s11
	v_mov_b32_e32 v1, 0
	global_load_ushort v1, v1, s[4:5]
	s_mul_hi_u32 s3, s6, s2
	s_mul_i32 s5, s7, s2
	s_add_i32 s10, s6, 1
	s_add_i32 s5, s3, s5
	s_lshr_b32 s3, s10, 31
	s_load_dwordx2 s[14:15], s[0:1], 0x0
	s_add_i32 s10, s10, s3
	s_lshl_b32 s3, s10, 1
	s_mul_i32 s4, s6, s2
	s_and_b32 s10, s3, -4
	v_mov_b64_e32 v[2:3], s[8:9]
	s_lshl_b64 s[8:9], s[4:5], 1
	s_mov_b64 s[12:13], -1
	v_lshlrev_b32_e32 v4, 5, v0
	s_waitcnt vmcnt(0)
	v_readfirstlane_b32 s3, v1
	s_sext_i32_i16 s4, s3
	s_ashr_i32 s5, s4, 31
	s_waitcnt lgkmcnt(0)
	s_add_u32 s8, s14, s8
	s_addc_u32 s3, s15, s9
	s_and_b32 s9, s3, 0xffff
	s_cmp_gt_i32 s4, -1
	v_cmp_lt_i64_e32 vcc, s[4:5], v[2:3]
	s_cselect_b64 s[14:15], -1, 0
	s_and_b64 s[14:15], s[14:15], vcc
	s_and_b64 vcc, exec, s[14:15]
	s_cbranch_vccnz .LBB157_5
; %bb.1:
	v_cmp_gt_i32_e32 vcc, s6, v4
	s_and_saveexec_b64 s[12:13], vcc
	s_cbranch_execz .LBB157_4
; %bb.2:
	s_load_dword s3, s[0:1], 0x3c
	s_mov_b32 s15, 0
	s_mov_b32 s20, s15
	;; [unrolled: 1-line block ×3, first 2 shown]
	v_mov_b32_e32 v5, 0
	v_lshlrev_b32_e32 v8, 6, v0
	s_waitcnt lgkmcnt(0)
	s_and_b32 s3, s3, 0xffff
	s_mov_b32 s22, s15
	s_mov_b32 s23, s15
	v_mov_b64_e32 v[0:1], s[20:21]
	s_lshl_b32 s14, s3, 5
	s_lshl_b32 s3, s3, 6
	s_mov_b64 s[16:17], 0
	s_mov_b32 s11, 0x20000
	v_mov_b64_e32 v[2:3], s[22:23]
	v_mov_b64_e32 v[6:7], v[4:5]
.LBB157_3:                              ; =>This Inner Loop Header: Depth=1
	v_lshl_add_u64 v[6:7], s[14:15], 0, v[6:7]
	v_cmp_le_i64_e32 vcc, s[6:7], v[6:7]
	buffer_store_dwordx4 v[0:3], v8, s[8:11], 0 offen
	buffer_store_dwordx4 v[0:3], v8, s[8:11], 16 offen
	;; [unrolled: 1-line block ×4, first 2 shown]
	s_or_b64 s[16:17], vcc, s[16:17]
	v_add_u32_e32 v8, s3, v8
	s_andn2_b64 exec, exec, s[16:17]
	s_cbranch_execnz .LBB157_3
.LBB157_4:
	s_or_b64 exec, exec, s[12:13]
	s_mov_b64 s[12:13], 0
.LBB157_5:
	s_andn2_b64 vcc, exec, s[12:13]
	s_cbranch_vccnz .LBB157_9
; %bb.6:
	v_cmp_gt_i32_e32 vcc, s6, v4
	s_and_saveexec_b64 s[12:13], vcc
	s_cbranch_execz .LBB157_9
; %bb.7:
	s_load_dwordx2 s[12:13], s[0:1], 0x18
	s_load_dwordx2 s[18:19], s[0:1], 0x8
	s_mul_hi_i32 s5, s6, s4
	s_mul_i32 s4, s6, s4
	s_lshl_b64 s[4:5], s[4:5], 3
	s_waitcnt lgkmcnt(0)
	s_add_u32 s12, s12, s4
	s_addc_u32 s3, s13, s5
	s_lshl_b64 s[4:5], s[6:7], 2
	s_add_u32 s16, s12, s4
	s_addc_u32 s4, s3, s5
	s_and_b32 s13, s3, 0xffff
	s_and_b32 s17, s4, 0xffff
	s_mul_i32 s3, s2, s7
	s_mul_hi_u32 s4, s2, s6
	s_add_i32 s3, s4, s3
	s_mul_i32 s2, s2, s6
	s_lshl_b32 s14, s6, 2
	s_lshl_b64 s[2:3], s[2:3], 2
	s_add_u32 s20, s18, s2
	s_addc_u32 s4, s19, s3
	s_lshl_b64 s[2:3], s[6:7], 1
	s_add_u32 s24, s20, s2
	s_addc_u32 s2, s4, s3
	s_and_b32 s21, s4, 0xffff
	s_and_b32 s25, s2, 0xffff
	s_mov_b32 s11, 0x20000
	s_add_u32 s28, s0, 48
	s_mov_b32 s15, s11
	v_mov_b32_e32 v5, 0
	s_addc_u32 s29, s1, 0
	s_mov_b64 s[30:31], 0
	s_mov_b32 s22, s10
	s_mov_b32 s23, s11
	;; [unrolled: 1-line block ×3, first 2 shown]
	s_movk_i32 s33, 0x50
	s_movk_i32 s36, 0x60
	;; [unrolled: 1-line block ×3, first 2 shown]
	s_mov_b32 s38, 0xbfb8aa3b
	s_mov_b32 s39, 0x42ce8ed0
	;; [unrolled: 1-line block ×3, first 2 shown]
	v_mov_b32_e32 v76, 0x7f800000
	s_mov_b32 s41, 0x7060302
	s_mov_b32 s26, s10
	;; [unrolled: 1-line block ×3, first 2 shown]
.LBB157_8:                              ; =>This Inner Loop Header: Depth=1
	v_lshlrev_b32_e32 v77, 1, v4
	buffer_load_dwordx4 v[10:13], v77, s[24:27], 0 offen
	buffer_load_dwordx4 v[14:17], v77, s[20:23], 0 offen
	;; [unrolled: 1-line block ×8, first 2 shown]
	s_mov_b32 s18, s14
	s_mov_b32 s19, s15
	v_lshlrev_b32_e32 v82, 2, v4
	buffer_load_dwordx4 v[78:81], v82, s[16:19], 64 offen
	s_waitcnt vmcnt(8)
	v_and_b32_e32 v1, 0xffff0000, v10
	v_lshlrev_b32_e32 v0, 16, v10
	s_waitcnt vmcnt(7)
	v_and_b32_e32 v63, 0xffff0000, v14
	v_lshlrev_b32_e32 v62, 16, v14
	v_and_b32_e32 v3, 0xffff0000, v11
	v_lshlrev_b32_e32 v2, 16, v11
	v_and_b32_e32 v65, 0xffff0000, v15
	v_lshlrev_b32_e32 v64, 16, v15
	v_and_b32_e32 v7, 0xffff0000, v12
	v_lshlrev_b32_e32 v6, 16, v12
	v_and_b32_e32 v11, 0xffff0000, v16
	v_lshlrev_b32_e32 v10, 16, v16
	v_and_b32_e32 v9, 0xffff0000, v13
	v_lshlrev_b32_e32 v8, 16, v13
	v_and_b32_e32 v57, 0xffff0000, v17
	v_lshlrev_b32_e32 v56, 16, v17
	s_waitcnt vmcnt(6)
	v_and_b32_e32 v13, 0xffff0000, v18
	v_lshlrev_b32_e32 v12, 16, v18
	s_waitcnt vmcnt(5)
	v_and_b32_e32 v55, 0xffff0000, v22
	v_lshlrev_b32_e32 v54, 16, v22
	v_and_b32_e32 v61, 0xffff0000, v19
	v_lshlrev_b32_e32 v60, 16, v19
	;; [unrolled: 2-line block ×7, first 2 shown]
	s_waitcnt vmcnt(4)
	v_and_b32_e32 v21, 0xffff0000, v26
	v_lshlrev_b32_e32 v20, 16, v26
	v_and_b32_e32 v49, 0xffff0000, v27
	v_lshlrev_b32_e32 v48, 16, v27
	v_and_b32_e32 v23, 0xffff0000, v28
	v_lshlrev_b32_e32 v22, 16, v28
	v_and_b32_e32 v25, 0xffff0000, v29
	v_lshlrev_b32_e32 v24, 16, v29
	s_waitcnt vmcnt(3)
	v_and_b32_e32 v51, 0xffff0000, v30
	v_lshlrev_b32_e32 v50, 16, v30
	v_and_b32_e32 v53, 0xffff0000, v31
	v_lshlrev_b32_e32 v52, 16, v31
	v_and_b32_e32 v27, 0xffff0000, v32
	v_lshlrev_b32_e32 v26, 16, v32
	v_and_b32_e32 v39, 0xffff0000, v33
	v_lshlrev_b32_e32 v38, 16, v33
	;; [unrolled: 9-line block ×4, first 2 shown]
	buffer_load_dwordx4 v[66:69], v82, s[16:19], 0 offen
	s_waitcnt vmcnt(0)
	v_pk_add_f32 v[0:1], v[66:67], v[0:1]
	v_pk_add_f32 v[2:3], v[68:69], v[2:3]
	buffer_load_dwordx4 v[66:69], v82, s[12:15], 0 offen
	s_waitcnt vmcnt(0)
	v_pk_add_f32 v[74:75], v[66:67], v[62:63]
	v_pk_add_f32 v[72:73], v[68:69], v[64:65]
	buffer_load_dwordx4 v[62:65], v82, s[16:19], 16 offen
	v_cmp_nlt_f32_e32 vcc, s39, v75
	v_cmp_nlt_f32_e64 s[0:1], s39, v74
	v_cmp_ngt_f32_e64 s[2:3], s40, v75
	v_cmp_ngt_f32_e64 s[4:5], s40, v74
	s_waitcnt vmcnt(0)
	v_pk_add_f32 v[6:7], v[62:63], v[6:7]
	v_pk_add_f32 v[8:9], v[64:65], v[8:9]
	buffer_load_dwordx4 v[62:65], v82, s[12:15], 16 offen
	s_waitcnt vmcnt(0)
	v_pk_add_f32 v[70:71], v[62:63], v[10:11]
	v_pk_add_f32 v[68:69], v[64:65], v[56:57]
	buffer_load_dwordx4 v[62:65], v82, s[16:19], 32 offen
	;; [unrolled: 4-line block ×4, first 2 shown]
	s_waitcnt vmcnt(0)
	v_pk_add_f32 v[16:17], v[58:59], v[16:17]
	buffer_load_dwordx4 v[58:61], v82, s[12:15], 48 offen
	v_pk_add_f32 v[14:15], v[56:57], v[14:15]
	s_waitcnt vmcnt(0)
	v_pk_add_f32 v[58:59], v[58:59], v[18:19]
	v_pk_add_f32 v[62:63], v[60:61], v[46:47]
	;; [unrolled: 1-line block ×4, first 2 shown]
	buffer_load_dwordx4 v[46:49], v82, s[12:15], 64 offen
	s_waitcnt vmcnt(0)
	v_pk_add_f32 v[64:65], v[46:47], v[50:51]
	v_pk_add_f32 v[60:61], v[48:49], v[52:53]
	buffer_load_dwordx4 v[46:49], v82, s[16:19], s33 offen
	s_waitcnt vmcnt(0)
	v_pk_add_f32 v[22:23], v[46:47], v[22:23]
	v_pk_add_f32 v[24:25], v[48:49], v[24:25]
	;; [unrolled: 4-line block ×5, first 2 shown]
	buffer_load_dwordx4 v[38:41], v82, s[16:19], s37 offen
	buffer_load_dwordx4 v[44:47], v82, s[12:15], s37 offen
	s_waitcnt vmcnt(1)
	v_pk_add_f32 v[32:33], v[40:41], v[32:33]
	s_waitcnt vmcnt(0)
	v_pk_add_f32 v[40:41], v[44:45], v[36:37]
	v_mul_f32_e32 v36, 0xbfb8aa3b, v74
	v_pk_add_f32 v[30:31], v[38:39], v[30:31]
	v_fma_f32 v37, v74, s38, -v36
	v_rndne_f32_e32 v38, v36
	v_fmac_f32_e32 v37, 0xb2a5705f, v74
	v_sub_f32_e32 v36, v36, v38
	v_add_f32_e32 v36, v36, v37
	v_mul_f32_e32 v37, 0xbfb8aa3b, v75
	v_cvt_i32_f32_e32 v38, v38
	v_exp_f32_e32 v36, v36
	v_fma_f32 v39, v75, s38, -v37
	v_rndne_f32_e32 v44, v37
	v_fmac_f32_e32 v39, 0xb2a5705f, v75
	v_sub_f32_e32 v37, v37, v44
	v_add_f32_e32 v37, v37, v39
	v_ldexp_f32 v36, v36, v38
	v_cvt_i32_f32_e32 v38, v44
	v_exp_f32_e32 v37, v37
	v_pk_add_f32 v[34:35], v[46:47], v[34:35]
	v_cndmask_b32_e64 v36, 0, v36, s[0:1]
	v_cmp_nlt_f32_e64 s[0:1], s39, v72
	v_ldexp_f32 v37, v37, v38
	v_mul_f32_e32 v38, 0xbfb8aa3b, v72
	v_fma_f32 v39, v72, s38, -v38
	v_rndne_f32_e32 v44, v38
	v_fmac_f32_e32 v39, 0xb2a5705f, v72
	v_sub_f32_e32 v38, v38, v44
	v_add_f32_e32 v38, v38, v39
	v_mul_f32_e32 v39, 0xbfb8aa3b, v73
	v_cvt_i32_f32_e32 v44, v44
	v_exp_f32_e32 v38, v38
	v_fma_f32 v45, v73, s38, -v39
	v_rndne_f32_e32 v46, v39
	v_fmac_f32_e32 v45, 0xb2a5705f, v73
	v_sub_f32_e32 v39, v39, v46
	v_add_f32_e32 v39, v39, v45
	v_ldexp_f32 v38, v38, v44
	v_cvt_i32_f32_e32 v44, v46
	v_exp_f32_e32 v39, v39
	v_cndmask_b32_e32 v37, 0, v37, vcc
	v_cmp_nlt_f32_e32 vcc, s39, v73
	v_cndmask_b32_e64 v36, v76, v36, s[4:5]
	v_ldexp_f32 v39, v39, v44
	v_mul_f32_e32 v44, 0xbfb8aa3b, v70
	v_fma_f32 v45, v70, s38, -v44
	v_rndne_f32_e32 v46, v44
	v_fmac_f32_e32 v45, 0xb2a5705f, v70
	v_sub_f32_e32 v44, v44, v46
	v_add_f32_e32 v44, v44, v45
	v_mul_f32_e32 v45, 0xbfb8aa3b, v71
	v_cvt_i32_f32_e32 v46, v46
	v_exp_f32_e32 v44, v44
	v_fma_f32 v47, v71, s38, -v45
	v_rndne_f32_e32 v50, v45
	v_fmac_f32_e32 v47, 0xb2a5705f, v71
	v_sub_f32_e32 v45, v45, v50
	v_add_f32_e32 v45, v45, v47
	v_ldexp_f32 v44, v44, v46
	v_cvt_i32_f32_e32 v46, v50
	v_exp_f32_e32 v45, v45
	v_cndmask_b32_e64 v37, v76, v37, s[2:3]
	v_cmp_ngt_f32_e64 s[2:3], s40, v73
	v_cmp_ngt_f32_e64 s[4:5], s40, v72
	v_cndmask_b32_e64 v38, 0, v38, s[0:1]
	v_cndmask_b32_e32 v39, 0, v39, vcc
	v_ldexp_f32 v45, v45, v46
	v_cmp_nlt_f32_e32 vcc, s39, v71
	v_cmp_nlt_f32_e64 s[0:1], s39, v70
	v_cndmask_b32_e64 v38, v76, v38, s[4:5]
	v_cndmask_b32_e64 v39, v76, v39, s[2:3]
	v_cmp_ngt_f32_e64 s[2:3], s40, v71
	v_cmp_ngt_f32_e64 s[4:5], s40, v70
	v_cndmask_b32_e64 v44, 0, v44, s[0:1]
	v_cndmask_b32_e32 v45, 0, v45, vcc
	v_cndmask_b32_e64 v44, v76, v44, s[4:5]
	v_cndmask_b32_e64 v45, v76, v45, s[2:3]
	v_add_f32_e32 v44, 1.0, v44
	v_add_f32_e32 v45, 1.0, v45
	v_mul_f32_e32 v46, 0xbfb8aa3b, v68
	v_rcp_f32_e32 v44, v44
	v_rcp_f32_e32 v45, v45
	v_fma_f32 v47, v68, s38, -v46
	v_rndne_f32_e32 v50, v46
	v_fmac_f32_e32 v47, 0xb2a5705f, v68
	v_sub_f32_e32 v46, v46, v50
	v_add_f32_e32 v46, v46, v47
	v_mul_f32_e32 v47, 0xbfb8aa3b, v69
	v_cvt_i32_f32_e32 v50, v50
	v_exp_f32_e32 v46, v46
	v_pk_mul_f32 v[44:45], v[70:71], v[44:45]
	v_fma_f32 v51, v69, s38, -v47
	v_rndne_f32_e32 v70, v47
	v_fmac_f32_e32 v51, 0xb2a5705f, v69
	v_sub_f32_e32 v47, v47, v70
	v_add_f32_e32 v47, v47, v51
	v_ldexp_f32 v46, v46, v50
	v_cvt_i32_f32_e32 v50, v70
	v_exp_f32_e32 v47, v47
	v_cmp_nlt_f32_e32 vcc, s39, v69
	v_cmp_nlt_f32_e64 s[0:1], s39, v68
	v_cmp_ngt_f32_e64 s[2:3], s40, v69
	v_ldexp_f32 v47, v47, v50
	v_cmp_ngt_f32_e64 s[4:5], s40, v68
	v_cndmask_b32_e64 v46, 0, v46, s[0:1]
	v_cndmask_b32_e32 v47, 0, v47, vcc
	v_cndmask_b32_e64 v46, v76, v46, s[4:5]
	v_cndmask_b32_e64 v47, v76, v47, s[2:3]
	v_add_f32_e32 v46, 1.0, v46
	v_add_f32_e32 v47, 1.0, v47
	v_rcp_f32_e32 v46, v46
	v_rcp_f32_e32 v47, v47
	v_mul_f32_e32 v50, 0xbfb8aa3b, v66
	v_fma_f32 v51, v66, s38, -v50
	v_fmac_f32_e32 v51, 0xb2a5705f, v66
	v_pk_mul_f32 v[46:47], v[68:69], v[46:47]
	v_rndne_f32_e32 v68, v50
	v_sub_f32_e32 v50, v50, v68
	v_add_f32_e32 v50, v50, v51
	v_mul_f32_e32 v51, 0xbfb8aa3b, v67
	v_cvt_i32_f32_e32 v68, v68
	v_exp_f32_e32 v50, v50
	v_fma_f32 v69, v67, s38, -v51
	v_rndne_f32_e32 v70, v51
	v_fmac_f32_e32 v69, 0xb2a5705f, v67
	v_sub_f32_e32 v51, v51, v70
	v_add_f32_e32 v51, v51, v69
	v_ldexp_f32 v50, v50, v68
	v_cvt_i32_f32_e32 v68, v70
	v_exp_f32_e32 v51, v51
	v_cmp_nlt_f32_e32 vcc, s39, v67
	v_cmp_nlt_f32_e64 s[0:1], s39, v66
	v_cmp_ngt_f32_e64 s[2:3], s40, v67
	v_ldexp_f32 v51, v51, v68
	v_cmp_ngt_f32_e64 s[4:5], s40, v66
	v_cndmask_b32_e64 v50, 0, v50, s[0:1]
	v_cndmask_b32_e32 v51, 0, v51, vcc
	v_cndmask_b32_e64 v50, v76, v50, s[4:5]
	v_cndmask_b32_e64 v51, v76, v51, s[2:3]
	v_add_f32_e32 v50, 1.0, v50
	v_add_f32_e32 v51, 1.0, v51
	v_rcp_f32_e32 v50, v50
	v_rcp_f32_e32 v51, v51
	v_cmp_nlt_f32_e32 vcc, s39, v55
	v_cmp_nlt_f32_e64 s[0:1], s39, v54
	v_cmp_ngt_f32_e64 s[2:3], s40, v55
	v_pk_mul_f32 v[50:51], v[66:67], v[50:51]
	v_mul_f32_e32 v66, 0xbfb8aa3b, v54
	v_fma_f32 v67, v54, s38, -v66
	v_rndne_f32_e32 v68, v66
	v_fmac_f32_e32 v67, 0xb2a5705f, v54
	v_sub_f32_e32 v66, v66, v68
	v_add_f32_e32 v66, v66, v67
	v_mul_f32_e32 v67, 0xbfb8aa3b, v55
	v_cvt_i32_f32_e32 v68, v68
	v_exp_f32_e32 v66, v66
	v_fma_f32 v69, v55, s38, -v67
	v_rndne_f32_e32 v70, v67
	v_fmac_f32_e32 v69, 0xb2a5705f, v55
	v_sub_f32_e32 v67, v67, v70
	v_add_f32_e32 v67, v67, v69
	v_ldexp_f32 v66, v66, v68
	v_cvt_i32_f32_e32 v68, v70
	v_exp_f32_e32 v67, v67
	v_cmp_ngt_f32_e64 s[4:5], s40, v54
	v_cndmask_b32_e64 v66, 0, v66, s[0:1]
	v_cmp_nlt_f32_e64 s[0:1], s39, v58
	v_ldexp_f32 v67, v67, v68
	v_cndmask_b32_e32 v67, 0, v67, vcc
	v_cndmask_b32_e64 v66, v76, v66, s[4:5]
	v_cndmask_b32_e64 v67, v76, v67, s[2:3]
	v_add_f32_e32 v66, 1.0, v66
	v_add_f32_e32 v67, 1.0, v67
	v_rcp_f32_e32 v66, v66
	v_rcp_f32_e32 v67, v67
	v_cmp_nlt_f32_e32 vcc, s39, v59
	v_cmp_ngt_f32_e64 s[2:3], s40, v59
	v_cmp_ngt_f32_e64 s[4:5], s40, v58
	v_pk_mul_f32 v[54:55], v[54:55], v[66:67]
	v_mul_f32_e32 v66, 0xbfb8aa3b, v58
	v_fma_f32 v67, v58, s38, -v66
	v_rndne_f32_e32 v68, v66
	v_fmac_f32_e32 v67, 0xb2a5705f, v58
	v_sub_f32_e32 v66, v66, v68
	v_add_f32_e32 v66, v66, v67
	v_mul_f32_e32 v67, 0xbfb8aa3b, v59
	v_cvt_i32_f32_e32 v68, v68
	v_exp_f32_e32 v66, v66
	v_fma_f32 v69, v59, s38, -v67
	v_rndne_f32_e32 v70, v67
	v_fmac_f32_e32 v69, 0xb2a5705f, v59
	v_sub_f32_e32 v67, v67, v70
	v_add_f32_e32 v67, v67, v69
	v_ldexp_f32 v66, v66, v68
	v_cvt_i32_f32_e32 v68, v70
	v_exp_f32_e32 v67, v67
	v_cndmask_b32_e64 v66, 0, v66, s[0:1]
	v_cndmask_b32_e64 v66, v76, v66, s[4:5]
	v_add_f32_e32 v66, 1.0, v66
	v_ldexp_f32 v67, v67, v68
	v_cndmask_b32_e32 v67, 0, v67, vcc
	v_cndmask_b32_e64 v67, v76, v67, s[2:3]
	v_add_f32_e32 v67, 1.0, v67
	v_rcp_f32_e32 v66, v66
	v_rcp_f32_e32 v67, v67
	v_cmp_nlt_f32_e32 vcc, s39, v63
	v_cmp_nlt_f32_e64 s[0:1], s39, v62
	v_cmp_ngt_f32_e64 s[2:3], s40, v63
	v_pk_mul_f32 v[58:59], v[58:59], v[66:67]
	v_mul_f32_e32 v66, 0xbfb8aa3b, v62
	v_fma_f32 v67, v62, s38, -v66
	v_rndne_f32_e32 v68, v66
	v_fmac_f32_e32 v67, 0xb2a5705f, v62
	v_sub_f32_e32 v66, v66, v68
	v_add_f32_e32 v66, v66, v67
	v_mul_f32_e32 v67, 0xbfb8aa3b, v63
	v_cvt_i32_f32_e32 v68, v68
	v_exp_f32_e32 v66, v66
	v_fma_f32 v69, v63, s38, -v67
	v_rndne_f32_e32 v70, v67
	v_fmac_f32_e32 v69, 0xb2a5705f, v63
	v_sub_f32_e32 v67, v67, v70
	v_add_f32_e32 v67, v67, v69
	v_ldexp_f32 v66, v66, v68
	v_cvt_i32_f32_e32 v68, v70
	v_exp_f32_e32 v67, v67
	v_cmp_ngt_f32_e64 s[4:5], s40, v62
	v_cndmask_b32_e64 v66, 0, v66, s[0:1]
	v_cmp_nlt_f32_e64 s[0:1], s39, v64
	v_ldexp_f32 v67, v67, v68
	v_cndmask_b32_e32 v67, 0, v67, vcc
	v_cndmask_b32_e64 v66, v76, v66, s[4:5]
	v_cndmask_b32_e64 v67, v76, v67, s[2:3]
	v_add_f32_e32 v66, 1.0, v66
	v_add_f32_e32 v67, 1.0, v67
	v_rcp_f32_e32 v66, v66
	v_rcp_f32_e32 v67, v67
	v_cmp_nlt_f32_e32 vcc, s39, v65
	v_cmp_ngt_f32_e64 s[2:3], s40, v65
	v_cmp_ngt_f32_e64 s[4:5], s40, v64
	v_pk_mul_f32 v[62:63], v[62:63], v[66:67]
	v_mul_f32_e32 v66, 0xbfb8aa3b, v64
	v_fma_f32 v67, v64, s38, -v66
	v_rndne_f32_e32 v68, v66
	v_fmac_f32_e32 v67, 0xb2a5705f, v64
	v_sub_f32_e32 v66, v66, v68
	v_add_f32_e32 v66, v66, v67
	v_mul_f32_e32 v67, 0xbfb8aa3b, v65
	v_cvt_i32_f32_e32 v68, v68
	v_exp_f32_e32 v66, v66
	v_fma_f32 v69, v65, s38, -v67
	v_rndne_f32_e32 v70, v67
	v_fmac_f32_e32 v69, 0xb2a5705f, v65
	v_sub_f32_e32 v67, v67, v70
	v_add_f32_e32 v67, v67, v69
	v_ldexp_f32 v66, v66, v68
	v_cvt_i32_f32_e32 v68, v70
	v_exp_f32_e32 v67, v67
	v_cndmask_b32_e64 v66, 0, v66, s[0:1]
	v_cndmask_b32_e64 v66, v76, v66, s[4:5]
	v_add_f32_e32 v66, 1.0, v66
	v_ldexp_f32 v67, v67, v68
	v_cndmask_b32_e32 v67, 0, v67, vcc
	v_cndmask_b32_e64 v67, v76, v67, s[2:3]
	;; [unrolled: 62-line block ×5, first 2 shown]
	v_add_f32_e32 v67, 1.0, v67
	v_rcp_f32_e32 v66, v66
	v_rcp_f32_e32 v67, v67
	v_cmp_nlt_f32_e32 vcc, s39, v35
	v_cmp_nlt_f32_e64 s[0:1], s39, v34
	v_cmp_ngt_f32_e64 s[2:3], s40, v35
	v_pk_mul_f32 v[40:41], v[40:41], v[66:67]
	v_mul_f32_e32 v66, 0xbfb8aa3b, v34
	v_fma_f32 v67, v34, s38, -v66
	v_rndne_f32_e32 v68, v66
	v_fmac_f32_e32 v67, 0xb2a5705f, v34
	v_sub_f32_e32 v66, v66, v68
	v_add_f32_e32 v66, v66, v67
	v_mul_f32_e32 v67, 0xbfb8aa3b, v35
	v_cvt_i32_f32_e32 v68, v68
	v_exp_f32_e32 v66, v66
	v_fma_f32 v69, v35, s38, -v67
	v_rndne_f32_e32 v70, v67
	v_fmac_f32_e32 v69, 0xb2a5705f, v35
	v_sub_f32_e32 v67, v67, v70
	v_add_f32_e32 v67, v67, v69
	v_ldexp_f32 v66, v66, v68
	v_cvt_i32_f32_e32 v68, v70
	v_exp_f32_e32 v67, v67
	v_cmp_ngt_f32_e64 s[4:5], s40, v34
	v_cndmask_b32_e64 v66, 0, v66, s[0:1]
	v_add_f32_e32 v36, 1.0, v36
	v_ldexp_f32 v67, v67, v68
	v_cndmask_b32_e32 v67, 0, v67, vcc
	v_add_f32_e32 v37, 1.0, v37
	v_cndmask_b32_e64 v66, v76, v66, s[4:5]
	v_cndmask_b32_e64 v67, v76, v67, s[2:3]
	v_rcp_f32_e32 v36, v36
	v_rcp_f32_e32 v37, v37
	v_add_f32_e32 v38, 1.0, v38
	v_add_f32_e32 v39, 1.0, v39
	v_add_f32_e32 v66, 1.0, v66
	v_add_f32_e32 v67, 1.0, v67
	v_rcp_f32_e32 v38, v38
	v_rcp_f32_e32 v39, v39
	v_rcp_f32_e32 v66, v66
	v_rcp_f32_e32 v67, v67
	v_pk_mul_f32 v[36:37], v[74:75], v[36:37]
	v_pk_mul_f32 v[38:39], v[72:73], v[38:39]
	;;#ASMSTART
	v_pk_mul_f32 v[36:37], v[36:37], v[0:1]
	;;#ASMEND
	v_pk_mul_f32 v[34:35], v[34:35], v[66:67]
	;;#ASMSTART
	v_pk_mul_f32 v[0:1], v[38:39], v[2:3]
	;;#ASMEND
	;;#ASMSTART
	v_pk_mul_f32 v[6:7], v[44:45], v[6:7]
	;;#ASMEND
	;; [unrolled: 3-line block ×14, first 2 shown]
	s_nop 0
	;;#ASMSTART
	v_pk_mul_f32 v[30:31], v[34:35], v[32:33]
	;;#ASMEND
	s_load_dword s0, s[28:29], 0xc
	v_perm_b32 v1, v1, v0, s41
	v_perm_b32 v3, v3, v2, s41
	;; [unrolled: 1-line block ×4, first 2 shown]
	s_waitcnt lgkmcnt(0)
	s_and_b32 s0, s0, 0xffff
	s_lshl_b32 s34, s0, 5
	v_lshl_add_u64 v[4:5], s[34:35], 0, v[4:5]
	v_cmp_le_i64_e32 vcc, s[6:7], v[4:5]
	v_perm_b32 v7, v9, v8, s41
	v_perm_b32 v9, v15, v14, s41
	;; [unrolled: 1-line block ×8, first 2 shown]
	s_or_b64 s[30:31], vcc, s[30:31]
	v_perm_b32 v8, v13, v12, s41
	v_perm_b32 v11, v19, v18, s41
	;; [unrolled: 1-line block ×4, first 2 shown]
	buffer_store_dwordx4 v[0:3], v77, s[8:11], 0 offen
	buffer_store_dwordx4 v[6:9], v77, s[8:11], 16 offen
	;; [unrolled: 1-line block ×4, first 2 shown]
	s_andn2_b64 exec, exec, s[30:31]
	s_cbranch_execnz .LBB157_8
.LBB157_9:
	s_endpgm
	.section	.rodata,"a",@progbits
	.p2align	6, 0x0
	.amdhsa_kernel _ZN5aiter23act_and_mul_bias_kernelIttsfTnPFfRKT2_EXadL_ZNS_11silu_kernelIfEEfRKT_EELi32EEEvPT0_PS8_PKT1_PS2_il
		.amdhsa_group_segment_fixed_size 0
		.amdhsa_private_segment_fixed_size 0
		.amdhsa_kernarg_size 304
		.amdhsa_user_sgpr_count 2
		.amdhsa_user_sgpr_dispatch_ptr 0
		.amdhsa_user_sgpr_queue_ptr 0
		.amdhsa_user_sgpr_kernarg_segment_ptr 1
		.amdhsa_user_sgpr_dispatch_id 0
		.amdhsa_user_sgpr_kernarg_preload_length 0
		.amdhsa_user_sgpr_kernarg_preload_offset 0
		.amdhsa_user_sgpr_private_segment_size 0
		.amdhsa_uses_dynamic_stack 0
		.amdhsa_enable_private_segment 0
		.amdhsa_system_sgpr_workgroup_id_x 1
		.amdhsa_system_sgpr_workgroup_id_y 0
		.amdhsa_system_sgpr_workgroup_id_z 0
		.amdhsa_system_sgpr_workgroup_info 0
		.amdhsa_system_vgpr_workitem_id 0
		.amdhsa_next_free_vgpr 83
		.amdhsa_next_free_sgpr 42
		.amdhsa_accum_offset 84
		.amdhsa_reserve_vcc 1
		.amdhsa_float_round_mode_32 0
		.amdhsa_float_round_mode_16_64 0
		.amdhsa_float_denorm_mode_32 3
		.amdhsa_float_denorm_mode_16_64 3
		.amdhsa_dx10_clamp 1
		.amdhsa_ieee_mode 1
		.amdhsa_fp16_overflow 0
		.amdhsa_tg_split 0
		.amdhsa_exception_fp_ieee_invalid_op 0
		.amdhsa_exception_fp_denorm_src 0
		.amdhsa_exception_fp_ieee_div_zero 0
		.amdhsa_exception_fp_ieee_overflow 0
		.amdhsa_exception_fp_ieee_underflow 0
		.amdhsa_exception_fp_ieee_inexact 0
		.amdhsa_exception_int_div_zero 0
	.end_amdhsa_kernel
	.section	.text._ZN5aiter23act_and_mul_bias_kernelIttsfTnPFfRKT2_EXadL_ZNS_11silu_kernelIfEEfRKT_EELi32EEEvPT0_PS8_PKT1_PS2_il,"axG",@progbits,_ZN5aiter23act_and_mul_bias_kernelIttsfTnPFfRKT2_EXadL_ZNS_11silu_kernelIfEEfRKT_EELi32EEEvPT0_PS8_PKT1_PS2_il,comdat
.Lfunc_end157:
	.size	_ZN5aiter23act_and_mul_bias_kernelIttsfTnPFfRKT2_EXadL_ZNS_11silu_kernelIfEEfRKT_EELi32EEEvPT0_PS8_PKT1_PS2_il, .Lfunc_end157-_ZN5aiter23act_and_mul_bias_kernelIttsfTnPFfRKT2_EXadL_ZNS_11silu_kernelIfEEfRKT_EELi32EEEvPT0_PS8_PKT1_PS2_il
                                        ; -- End function
	.section	.AMDGPU.csdata,"",@progbits
; Kernel info:
; codeLenInByte = 4816
; NumSgprs: 48
; NumVgprs: 83
; NumAgprs: 0
; TotalNumVgprs: 83
; ScratchSize: 0
; MemoryBound: 0
; FloatMode: 240
; IeeeMode: 1
; LDSByteSize: 0 bytes/workgroup (compile time only)
; SGPRBlocks: 5
; VGPRBlocks: 10
; NumSGPRsForWavesPerEU: 48
; NumVGPRsForWavesPerEU: 83
; AccumOffset: 84
; Occupancy: 5
; WaveLimiterHint : 0
; COMPUTE_PGM_RSRC2:SCRATCH_EN: 0
; COMPUTE_PGM_RSRC2:USER_SGPR: 2
; COMPUTE_PGM_RSRC2:TRAP_HANDLER: 0
; COMPUTE_PGM_RSRC2:TGID_X_EN: 1
; COMPUTE_PGM_RSRC2:TGID_Y_EN: 0
; COMPUTE_PGM_RSRC2:TGID_Z_EN: 0
; COMPUTE_PGM_RSRC2:TIDIG_COMP_CNT: 0
; COMPUTE_PGM_RSRC3_GFX90A:ACCUM_OFFSET: 20
; COMPUTE_PGM_RSRC3_GFX90A:TG_SPLIT: 0
	.section	.text._ZN5aiter23act_and_mul_bias_kernelIttsfTnPFfRKT2_EXadL_ZNS_11silu_kernelIfEEfRKT_EELi16EEEvPT0_PS8_PKT1_PS2_il,"axG",@progbits,_ZN5aiter23act_and_mul_bias_kernelIttsfTnPFfRKT2_EXadL_ZNS_11silu_kernelIfEEfRKT_EELi16EEEvPT0_PS8_PKT1_PS2_il,comdat
	.protected	_ZN5aiter23act_and_mul_bias_kernelIttsfTnPFfRKT2_EXadL_ZNS_11silu_kernelIfEEfRKT_EELi16EEEvPT0_PS8_PKT1_PS2_il ; -- Begin function _ZN5aiter23act_and_mul_bias_kernelIttsfTnPFfRKT2_EXadL_ZNS_11silu_kernelIfEEfRKT_EELi16EEEvPT0_PS8_PKT1_PS2_il
	.globl	_ZN5aiter23act_and_mul_bias_kernelIttsfTnPFfRKT2_EXadL_ZNS_11silu_kernelIfEEfRKT_EELi16EEEvPT0_PS8_PKT1_PS2_il
	.p2align	8
	.type	_ZN5aiter23act_and_mul_bias_kernelIttsfTnPFfRKT2_EXadL_ZNS_11silu_kernelIfEEfRKT_EELi16EEEvPT0_PS8_PKT1_PS2_il,@function
_ZN5aiter23act_and_mul_bias_kernelIttsfTnPFfRKT2_EXadL_ZNS_11silu_kernelIfEEfRKT_EELi16EEEvPT0_PS8_PKT1_PS2_il: ; @_ZN5aiter23act_and_mul_bias_kernelIttsfTnPFfRKT2_EXadL_ZNS_11silu_kernelIfEEfRKT_EELi16EEEvPT0_PS8_PKT1_PS2_il
; %bb.0:
	s_load_dword s24, s[0:1], 0x20
	s_load_dwordx2 s[4:5], s[0:1], 0x10
	s_load_dwordx2 s[6:7], s[0:1], 0x28
	s_mov_b32 s3, 0
	s_lshl_b64 s[8:9], s[2:3], 1
	s_waitcnt lgkmcnt(0)
	s_ashr_i32 s25, s24, 31
	s_add_u32 s4, s4, s8
	s_addc_u32 s5, s5, s9
	v_mov_b32_e32 v1, 0
	global_load_ushort v1, v1, s[4:5]
	s_mul_hi_u32 s3, s24, s2
	v_mov_b64_e32 v[2:3], s[6:7]
	s_mul_i32 s6, s25, s2
	s_add_i32 s7, s24, 1
	s_add_i32 s9, s3, s6
	s_lshr_b32 s3, s7, 31
	s_load_dwordx2 s[4:5], s[0:1], 0x0
	s_add_i32 s7, s7, s3
	s_lshl_b32 s3, s7, 1
	s_mul_i32 s8, s24, s2
	s_and_b32 s6, s3, -4
	s_lshl_b64 s[12:13], s[8:9], 1
	s_mov_b64 s[10:11], -1
	v_lshlrev_b32_e32 v44, 4, v0
	s_waitcnt vmcnt(0)
	v_readfirstlane_b32 s3, v1
	s_sext_i32_i16 s8, s3
	s_ashr_i32 s9, s8, 31
	s_waitcnt lgkmcnt(0)
	s_add_u32 s4, s4, s12
	s_addc_u32 s3, s5, s13
	s_and_b32 s5, s3, 0xffff
	s_cmp_gt_i32 s8, -1
	v_cmp_lt_i64_e32 vcc, s[8:9], v[2:3]
	s_cselect_b64 s[12:13], -1, 0
	s_and_b64 s[12:13], s[12:13], vcc
	s_and_b64 vcc, exec, s[12:13]
	s_cbranch_vccnz .LBB158_5
; %bb.1:
	v_cmp_gt_i32_e32 vcc, s24, v44
	s_and_saveexec_b64 s[10:11], vcc
	s_cbranch_execz .LBB158_4
; %bb.2:
	s_load_dword s3, s[0:1], 0x3c
	s_mov_b32 s13, 0
	s_mov_b32 s16, s13
	;; [unrolled: 1-line block ×3, first 2 shown]
	v_mov_b32_e32 v45, 0
	v_lshlrev_b32_e32 v6, 5, v0
	s_waitcnt lgkmcnt(0)
	s_and_b32 s3, s3, 0xffff
	s_mov_b32 s18, s13
	s_mov_b32 s19, s13
	v_mov_b64_e32 v[0:1], s[16:17]
	s_lshl_b32 s12, s3, 4
	s_lshl_b32 s3, s3, 5
	s_mov_b64 s[14:15], 0
	s_mov_b32 s7, 0x20000
	v_mov_b64_e32 v[2:3], s[18:19]
	v_mov_b64_e32 v[4:5], v[44:45]
.LBB158_3:                              ; =>This Inner Loop Header: Depth=1
	v_lshl_add_u64 v[4:5], s[12:13], 0, v[4:5]
	v_cmp_le_i64_e32 vcc, s[24:25], v[4:5]
	buffer_store_dwordx4 v[0:3], v6, s[4:7], 0 offen
	buffer_store_dwordx4 v[0:3], v6, s[4:7], 16 offen
	s_or_b64 s[14:15], vcc, s[14:15]
	v_add_u32_e32 v6, s3, v6
	s_andn2_b64 exec, exec, s[14:15]
	s_cbranch_execnz .LBB158_3
.LBB158_4:
	s_or_b64 exec, exec, s[10:11]
	s_mov_b64 s[10:11], 0
.LBB158_5:
	s_andn2_b64 vcc, exec, s[10:11]
	s_cbranch_vccnz .LBB158_9
; %bb.6:
	v_cmp_gt_i32_e32 vcc, s24, v44
	s_and_saveexec_b64 s[10:11], vcc
	s_cbranch_execz .LBB158_9
; %bb.7:
	s_load_dwordx2 s[10:11], s[0:1], 0x18
	s_load_dwordx2 s[14:15], s[0:1], 0x8
	s_mul_hi_i32 s9, s24, s8
	s_mul_i32 s8, s24, s8
	s_lshl_b64 s[8:9], s[8:9], 3
	s_waitcnt lgkmcnt(0)
	s_add_u32 s8, s10, s8
	s_addc_u32 s3, s11, s9
	s_lshl_b64 s[10:11], s[24:25], 2
	s_add_u32 s12, s8, s10
	s_addc_u32 s13, s3, s11
	s_and_b32 s9, s3, 0xffff
	s_mul_i32 s3, s2, s25
	s_mul_hi_u32 s16, s2, s24
	s_add_i32 s3, s16, s3
	s_mul_i32 s2, s2, s24
	s_lshl_b32 s10, s24, 2
	s_and_b32 s13, s13, 0xffff
	s_lshl_b64 s[2:3], s[2:3], 2
	s_add_u32 s16, s14, s2
	s_addc_u32 s14, s15, s3
	s_lshl_b64 s[2:3], s[24:25], 1
	s_add_u32 s20, s16, s2
	s_addc_u32 s2, s14, s3
	s_and_b32 s17, s14, 0xffff
	s_and_b32 s21, s2, 0xffff
	s_mov_b32 s7, 0x20000
	s_add_u32 s0, s0, 48
	s_mov_b32 s11, s7
	v_mov_b32_e32 v45, 0
	s_addc_u32 s1, s1, 0
	s_mov_b64 s[2:3], 0
	s_mov_b32 s18, s6
	s_mov_b32 s19, s7
	;; [unrolled: 1-line block ×6, first 2 shown]
	v_mov_b32_e32 v46, 0x7f800000
	s_mov_b32 s31, 0x7060302
	s_mov_b32 s22, s6
	;; [unrolled: 1-line block ×3, first 2 shown]
.LBB158_8:                              ; =>This Inner Loop Header: Depth=1
	v_lshlrev_b32_e32 v47, 1, v44
	buffer_load_dwordx4 v[24:27], v47, s[16:19], 0 offen
	buffer_load_dwordx4 v[4:7], v47, s[16:19], 16 offen
	;; [unrolled: 1-line block ×4, first 2 shown]
	v_lshlrev_b32_e32 v52, 2, v44
	s_mov_b32 s14, s10
	s_mov_b32 s15, s11
	buffer_load_dwordx4 v[40:43], v52, s[8:11], 0 offen
	buffer_load_dwordx4 v[28:31], v52, s[8:11], 16 offen
	;; [unrolled: 1-line block ×8, first 2 shown]
	s_waitcnt vmcnt(9)
	v_and_b32_e32 v53, 0xffff0000, v32
	v_lshlrev_b32_e32 v52, 16, v32
	s_waitcnt vmcnt(3)
	v_pk_add_f32 v[48:49], v[48:49], v[52:53]
	v_and_b32_e32 v53, 0xffff0000, v24
	v_lshlrev_b32_e32 v52, 16, v24
	v_pk_add_f32 v[40:41], v[40:41], v[52:53]
	s_nop 0
	v_mul_f32_e32 v24, 0xbfb8aa3b, v40
	v_fma_f32 v32, v40, s28, -v24
	v_rndne_f32_e32 v52, v24
	v_fmac_f32_e32 v32, 0xb2a5705f, v40
	v_sub_f32_e32 v24, v24, v52
	v_add_f32_e32 v24, v24, v32
	v_exp_f32_e32 v24, v24
	v_cvt_i32_f32_e32 v32, v52
	v_cmp_nlt_f32_e32 vcc, s29, v40
	v_ldexp_f32 v24, v24, v32
	s_nop 0
	v_cndmask_b32_e32 v24, 0, v24, vcc
	v_cmp_ngt_f32_e32 vcc, s30, v40
	s_nop 1
	v_cndmask_b32_e32 v24, v46, v24, vcc
	v_add_f32_e32 v24, 1.0, v24
	v_rcp_f32_e32 v52, v24
	v_mul_f32_e32 v24, 0xbfb8aa3b, v41
	v_fma_f32 v32, v41, s28, -v24
	v_rndne_f32_e32 v53, v24
	v_fmac_f32_e32 v32, 0xb2a5705f, v41
	v_sub_f32_e32 v24, v24, v53
	v_add_f32_e32 v24, v24, v32
	v_exp_f32_e32 v24, v24
	v_cvt_i32_f32_e32 v32, v53
	v_cmp_nlt_f32_e32 vcc, s29, v41
	v_ldexp_f32 v24, v24, v32
	s_nop 0
	v_cndmask_b32_e32 v24, 0, v24, vcc
	v_cmp_ngt_f32_e32 vcc, s30, v41
	s_nop 1
	v_cndmask_b32_e32 v24, v46, v24, vcc
	v_add_f32_e32 v24, 1.0, v24
	v_rcp_f32_e32 v53, v24
	s_nop 0
	v_pk_mul_f32 v[40:41], v[40:41], v[52:53]
	s_nop 0
	;;#ASMSTART
	v_pk_mul_f32 v[40:41], v[40:41], v[48:49]
	;;#ASMEND
	v_and_b32_e32 v49, 0xffff0000, v33
	v_lshlrev_b32_e32 v48, 16, v33
	v_pk_add_f32 v[32:33], v[50:51], v[48:49]
	v_and_b32_e32 v49, 0xffff0000, v25
	v_lshlrev_b32_e32 v48, 16, v25
	v_pk_add_f32 v[24:25], v[42:43], v[48:49]
	s_nop 0
	v_mul_f32_e32 v42, 0xbfb8aa3b, v24
	v_fma_f32 v43, v24, s28, -v42
	v_rndne_f32_e32 v48, v42
	v_fmac_f32_e32 v43, 0xb2a5705f, v24
	v_sub_f32_e32 v42, v42, v48
	v_add_f32_e32 v42, v42, v43
	v_exp_f32_e32 v42, v42
	v_cvt_i32_f32_e32 v43, v48
	v_cmp_nlt_f32_e32 vcc, s29, v24
	v_ldexp_f32 v42, v42, v43
	v_mul_f32_e32 v43, 0xbfb8aa3b, v25
	v_fma_f32 v48, v25, s28, -v43
	v_rndne_f32_e32 v49, v43
	v_fmac_f32_e32 v48, 0xb2a5705f, v25
	v_sub_f32_e32 v43, v43, v49
	v_add_f32_e32 v43, v43, v48
	v_exp_f32_e32 v43, v43
	v_cvt_i32_f32_e32 v48, v49
	v_cndmask_b32_e32 v42, 0, v42, vcc
	v_cmp_ngt_f32_e32 vcc, s30, v24
	v_ldexp_f32 v43, v43, v48
	s_nop 0
	v_cndmask_b32_e32 v42, v46, v42, vcc
	v_cmp_nlt_f32_e32 vcc, s29, v25
	v_add_f32_e32 v42, 1.0, v42
	v_rcp_f32_e32 v42, v42
	v_cndmask_b32_e32 v43, 0, v43, vcc
	v_cmp_ngt_f32_e32 vcc, s30, v25
	s_nop 1
	v_cndmask_b32_e32 v43, v46, v43, vcc
	v_add_f32_e32 v43, 1.0, v43
	v_rcp_f32_e32 v43, v43
	s_nop 0
	v_pk_mul_f32 v[24:25], v[24:25], v[42:43]
	s_nop 0
	;;#ASMSTART
	v_pk_mul_f32 v[24:25], v[24:25], v[32:33]
	;;#ASMEND
	v_and_b32_e32 v33, 0xffff0000, v34
	v_lshlrev_b32_e32 v32, 16, v34
	s_waitcnt vmcnt(2)
	v_pk_add_f32 v[32:33], v[36:37], v[32:33]
	v_and_b32_e32 v37, 0xffff0000, v26
	v_lshlrev_b32_e32 v36, 16, v26
	v_pk_add_f32 v[28:29], v[28:29], v[36:37]
	s_nop 0
	v_mul_f32_e32 v26, 0xbfb8aa3b, v28
	v_fma_f32 v34, v28, s28, -v26
	v_rndne_f32_e32 v36, v26
	v_fmac_f32_e32 v34, 0xb2a5705f, v28
	v_sub_f32_e32 v26, v26, v36
	v_add_f32_e32 v26, v26, v34
	v_exp_f32_e32 v26, v26
	v_cvt_i32_f32_e32 v34, v36
	v_cmp_nlt_f32_e32 vcc, s29, v28
	v_ldexp_f32 v26, v26, v34
	s_nop 0
	v_cndmask_b32_e32 v26, 0, v26, vcc
	v_cmp_ngt_f32_e32 vcc, s30, v28
	s_nop 1
	v_cndmask_b32_e32 v26, v46, v26, vcc
	v_add_f32_e32 v26, 1.0, v26
	v_rcp_f32_e32 v36, v26
	v_mul_f32_e32 v26, 0xbfb8aa3b, v29
	v_fma_f32 v34, v29, s28, -v26
	v_rndne_f32_e32 v37, v26
	v_fmac_f32_e32 v34, 0xb2a5705f, v29
	v_sub_f32_e32 v26, v26, v37
	v_add_f32_e32 v26, v26, v34
	v_exp_f32_e32 v26, v26
	v_cvt_i32_f32_e32 v34, v37
	v_cmp_nlt_f32_e32 vcc, s29, v29
	v_ldexp_f32 v26, v26, v34
	s_nop 0
	v_cndmask_b32_e32 v26, 0, v26, vcc
	v_cmp_ngt_f32_e32 vcc, s30, v29
	v_lshlrev_b32_e32 v34, 16, v27
	s_nop 0
	v_cndmask_b32_e32 v26, v46, v26, vcc
	v_add_f32_e32 v26, 1.0, v26
	v_rcp_f32_e32 v37, v26
	s_nop 0
	v_pk_mul_f32 v[28:29], v[28:29], v[36:37]
	s_nop 0
	;;#ASMSTART
	v_pk_mul_f32 v[28:29], v[28:29], v[32:33]
	;;#ASMEND
	v_and_b32_e32 v33, 0xffff0000, v35
	v_lshlrev_b32_e32 v32, 16, v35
	v_and_b32_e32 v35, 0xffff0000, v27
	v_pk_add_f32 v[26:27], v[30:31], v[34:35]
	v_pk_add_f32 v[32:33], v[38:39], v[32:33]
	v_mul_f32_e32 v30, 0xbfb8aa3b, v26
	v_fma_f32 v31, v26, s28, -v30
	v_rndne_f32_e32 v34, v30
	v_fmac_f32_e32 v31, 0xb2a5705f, v26
	v_sub_f32_e32 v30, v30, v34
	v_add_f32_e32 v30, v30, v31
	v_exp_f32_e32 v30, v30
	v_cvt_i32_f32_e32 v31, v34
	v_cmp_nlt_f32_e32 vcc, s29, v26
	v_ldexp_f32 v30, v30, v31
	v_mul_f32_e32 v31, 0xbfb8aa3b, v27
	v_fma_f32 v34, v27, s28, -v31
	v_rndne_f32_e32 v35, v31
	v_fmac_f32_e32 v34, 0xb2a5705f, v27
	v_sub_f32_e32 v31, v31, v35
	v_add_f32_e32 v31, v31, v34
	v_exp_f32_e32 v31, v31
	v_cvt_i32_f32_e32 v34, v35
	v_cndmask_b32_e32 v30, 0, v30, vcc
	v_cmp_ngt_f32_e32 vcc, s30, v26
	v_ldexp_f32 v31, v31, v34
	s_nop 0
	v_cndmask_b32_e32 v30, v46, v30, vcc
	v_cmp_nlt_f32_e32 vcc, s29, v27
	v_add_f32_e32 v30, 1.0, v30
	v_rcp_f32_e32 v30, v30
	v_cndmask_b32_e32 v31, 0, v31, vcc
	v_cmp_ngt_f32_e32 vcc, s30, v27
	s_nop 1
	v_cndmask_b32_e32 v31, v46, v31, vcc
	v_add_f32_e32 v31, 1.0, v31
	v_rcp_f32_e32 v31, v31
	s_nop 0
	v_pk_mul_f32 v[26:27], v[26:27], v[30:31]
	v_and_b32_e32 v31, 0xffff0000, v8
	v_lshlrev_b32_e32 v30, 16, v8
	s_waitcnt vmcnt(1)
	v_pk_add_f32 v[20:21], v[20:21], v[30:31]
	v_and_b32_e32 v31, 0xffff0000, v4
	v_lshlrev_b32_e32 v30, 16, v4
	v_pk_add_f32 v[16:17], v[16:17], v[30:31]
	;;#ASMSTART
	v_pk_mul_f32 v[26:27], v[26:27], v[32:33]
	;;#ASMEND
	s_nop 0
	v_mul_f32_e32 v4, 0xbfb8aa3b, v16
	v_fma_f32 v8, v16, s28, -v4
	v_rndne_f32_e32 v30, v4
	v_fmac_f32_e32 v8, 0xb2a5705f, v16
	v_sub_f32_e32 v4, v4, v30
	v_add_f32_e32 v4, v4, v8
	v_exp_f32_e32 v4, v4
	v_cvt_i32_f32_e32 v8, v30
	v_cmp_nlt_f32_e32 vcc, s29, v16
	v_ldexp_f32 v4, v4, v8
	s_nop 0
	v_cndmask_b32_e32 v4, 0, v4, vcc
	v_cmp_ngt_f32_e32 vcc, s30, v16
	s_nop 1
	v_cndmask_b32_e32 v4, v46, v4, vcc
	v_add_f32_e32 v4, 1.0, v4
	v_rcp_f32_e32 v30, v4
	v_mul_f32_e32 v4, 0xbfb8aa3b, v17
	v_fma_f32 v8, v17, s28, -v4
	v_rndne_f32_e32 v31, v4
	v_fmac_f32_e32 v8, 0xb2a5705f, v17
	v_sub_f32_e32 v4, v4, v31
	v_add_f32_e32 v4, v4, v8
	v_exp_f32_e32 v4, v4
	v_cvt_i32_f32_e32 v8, v31
	v_cmp_nlt_f32_e32 vcc, s29, v17
	v_ldexp_f32 v4, v4, v8
	s_nop 0
	v_cndmask_b32_e32 v4, 0, v4, vcc
	v_cmp_ngt_f32_e32 vcc, s30, v17
	s_nop 1
	v_cndmask_b32_e32 v4, v46, v4, vcc
	v_add_f32_e32 v4, 1.0, v4
	v_rcp_f32_e32 v31, v4
	s_nop 0
	v_pk_mul_f32 v[16:17], v[16:17], v[30:31]
	s_nop 0
	;;#ASMSTART
	v_pk_mul_f32 v[16:17], v[16:17], v[20:21]
	;;#ASMEND
	v_and_b32_e32 v21, 0xffff0000, v9
	v_lshlrev_b32_e32 v20, 16, v9
	v_pk_add_f32 v[8:9], v[22:23], v[20:21]
	v_and_b32_e32 v21, 0xffff0000, v5
	v_lshlrev_b32_e32 v20, 16, v5
	v_pk_add_f32 v[4:5], v[18:19], v[20:21]
	s_nop 0
	v_mul_f32_e32 v18, 0xbfb8aa3b, v4
	v_fma_f32 v19, v4, s28, -v18
	v_rndne_f32_e32 v20, v18
	v_fmac_f32_e32 v19, 0xb2a5705f, v4
	v_sub_f32_e32 v18, v18, v20
	v_add_f32_e32 v18, v18, v19
	v_exp_f32_e32 v18, v18
	v_cvt_i32_f32_e32 v19, v20
	v_cmp_nlt_f32_e32 vcc, s29, v4
	v_ldexp_f32 v18, v18, v19
	v_mul_f32_e32 v19, 0xbfb8aa3b, v5
	v_fma_f32 v20, v5, s28, -v19
	v_rndne_f32_e32 v21, v19
	v_fmac_f32_e32 v20, 0xb2a5705f, v5
	v_sub_f32_e32 v19, v19, v21
	v_add_f32_e32 v19, v19, v20
	v_exp_f32_e32 v19, v19
	v_cvt_i32_f32_e32 v20, v21
	v_cndmask_b32_e32 v18, 0, v18, vcc
	v_cmp_ngt_f32_e32 vcc, s30, v4
	v_ldexp_f32 v19, v19, v20
	s_nop 0
	v_cndmask_b32_e32 v18, v46, v18, vcc
	v_cmp_nlt_f32_e32 vcc, s29, v5
	v_add_f32_e32 v18, 1.0, v18
	v_rcp_f32_e32 v18, v18
	v_cndmask_b32_e32 v19, 0, v19, vcc
	v_cmp_ngt_f32_e32 vcc, s30, v5
	s_nop 1
	v_cndmask_b32_e32 v19, v46, v19, vcc
	v_add_f32_e32 v19, 1.0, v19
	v_rcp_f32_e32 v19, v19
	s_nop 0
	v_pk_mul_f32 v[4:5], v[4:5], v[18:19]
	s_nop 0
	;;#ASMSTART
	v_pk_mul_f32 v[4:5], v[4:5], v[8:9]
	;;#ASMEND
	v_and_b32_e32 v9, 0xffff0000, v10
	v_lshlrev_b32_e32 v8, 16, v10
	s_waitcnt vmcnt(0)
	v_pk_add_f32 v[8:9], v[12:13], v[8:9]
	v_and_b32_e32 v13, 0xffff0000, v6
	v_lshlrev_b32_e32 v12, 16, v6
	v_pk_add_f32 v[0:1], v[0:1], v[12:13]
	s_nop 0
	v_mul_f32_e32 v6, 0xbfb8aa3b, v0
	v_fma_f32 v10, v0, s28, -v6
	v_rndne_f32_e32 v12, v6
	v_fmac_f32_e32 v10, 0xb2a5705f, v0
	v_sub_f32_e32 v6, v6, v12
	v_add_f32_e32 v6, v6, v10
	v_exp_f32_e32 v6, v6
	v_cvt_i32_f32_e32 v10, v12
	v_cmp_nlt_f32_e32 vcc, s29, v0
	v_ldexp_f32 v6, v6, v10
	s_nop 0
	v_cndmask_b32_e32 v6, 0, v6, vcc
	v_cmp_ngt_f32_e32 vcc, s30, v0
	s_nop 1
	v_cndmask_b32_e32 v6, v46, v6, vcc
	v_add_f32_e32 v6, 1.0, v6
	v_rcp_f32_e32 v12, v6
	v_mul_f32_e32 v6, 0xbfb8aa3b, v1
	v_fma_f32 v10, v1, s28, -v6
	v_rndne_f32_e32 v13, v6
	v_fmac_f32_e32 v10, 0xb2a5705f, v1
	v_sub_f32_e32 v6, v6, v13
	v_add_f32_e32 v6, v6, v10
	v_exp_f32_e32 v6, v6
	v_cvt_i32_f32_e32 v10, v13
	v_cmp_nlt_f32_e32 vcc, s29, v1
	v_ldexp_f32 v6, v6, v10
	s_nop 0
	v_cndmask_b32_e32 v6, 0, v6, vcc
	v_cmp_ngt_f32_e32 vcc, s30, v1
	v_lshlrev_b32_e32 v10, 16, v7
	s_nop 0
	v_cndmask_b32_e32 v6, v46, v6, vcc
	v_add_f32_e32 v6, 1.0, v6
	v_rcp_f32_e32 v13, v6
	s_nop 0
	v_pk_mul_f32 v[0:1], v[0:1], v[12:13]
	s_nop 0
	;;#ASMSTART
	v_pk_mul_f32 v[0:1], v[0:1], v[8:9]
	;;#ASMEND
	v_and_b32_e32 v9, 0xffff0000, v11
	v_lshlrev_b32_e32 v8, 16, v11
	v_and_b32_e32 v11, 0xffff0000, v7
	v_pk_add_f32 v[2:3], v[2:3], v[10:11]
	v_pk_add_f32 v[8:9], v[14:15], v[8:9]
	v_mul_f32_e32 v6, 0xbfb8aa3b, v2
	v_fma_f32 v7, v2, s28, -v6
	v_rndne_f32_e32 v10, v6
	v_fmac_f32_e32 v7, 0xb2a5705f, v2
	v_sub_f32_e32 v6, v6, v10
	v_add_f32_e32 v6, v6, v7
	v_exp_f32_e32 v6, v6
	v_cvt_i32_f32_e32 v7, v10
	v_cmp_nlt_f32_e32 vcc, s29, v2
	v_ldexp_f32 v6, v6, v7
	v_mul_f32_e32 v7, 0xbfb8aa3b, v3
	v_fma_f32 v10, v3, s28, -v7
	v_rndne_f32_e32 v11, v7
	v_fmac_f32_e32 v10, 0xb2a5705f, v3
	v_sub_f32_e32 v7, v7, v11
	v_add_f32_e32 v7, v7, v10
	v_exp_f32_e32 v7, v7
	v_cvt_i32_f32_e32 v10, v11
	v_cndmask_b32_e32 v6, 0, v6, vcc
	v_cmp_ngt_f32_e32 vcc, s30, v2
	v_ldexp_f32 v7, v7, v10
	s_nop 0
	v_cndmask_b32_e32 v6, v46, v6, vcc
	v_cmp_nlt_f32_e32 vcc, s29, v3
	v_add_f32_e32 v6, 1.0, v6
	v_rcp_f32_e32 v6, v6
	v_cndmask_b32_e32 v7, 0, v7, vcc
	v_cmp_ngt_f32_e32 vcc, s30, v3
	s_nop 1
	v_cndmask_b32_e32 v7, v46, v7, vcc
	v_add_f32_e32 v7, 1.0, v7
	v_rcp_f32_e32 v7, v7
	s_nop 0
	v_pk_mul_f32 v[2:3], v[2:3], v[6:7]
	s_nop 0
	;;#ASMSTART
	v_pk_mul_f32 v[10:11], v[2:3], v[8:9]
	;;#ASMEND
	s_load_dword s14, s[0:1], 0xc
	v_perm_b32 v7, v25, v24, s31
	v_perm_b32 v9, v27, v26, s31
	;; [unrolled: 1-line block ×4, first 2 shown]
	s_waitcnt lgkmcnt(0)
	s_and_b32 s14, s14, 0xffff
	s_lshl_b32 s26, s14, 4
	v_lshl_add_u64 v[44:45], s[26:27], 0, v[44:45]
	v_cmp_le_i64_e32 vcc, s[24:25], v[44:45]
	v_perm_b32 v3, v5, v4, s31
	v_perm_b32 v5, v11, v10, s31
	v_perm_b32 v2, v17, v16, s31
	v_perm_b32 v4, v1, v0, s31
	s_or_b64 s[2:3], vcc, s[2:3]
	buffer_store_dwordx4 v[6:9], v47, s[4:7], 0 offen
	buffer_store_dwordx4 v[2:5], v47, s[4:7], 16 offen
	s_andn2_b64 exec, exec, s[2:3]
	s_cbranch_execnz .LBB158_8
.LBB158_9:
	s_endpgm
	.section	.rodata,"a",@progbits
	.p2align	6, 0x0
	.amdhsa_kernel _ZN5aiter23act_and_mul_bias_kernelIttsfTnPFfRKT2_EXadL_ZNS_11silu_kernelIfEEfRKT_EELi16EEEvPT0_PS8_PKT1_PS2_il
		.amdhsa_group_segment_fixed_size 0
		.amdhsa_private_segment_fixed_size 0
		.amdhsa_kernarg_size 304
		.amdhsa_user_sgpr_count 2
		.amdhsa_user_sgpr_dispatch_ptr 0
		.amdhsa_user_sgpr_queue_ptr 0
		.amdhsa_user_sgpr_kernarg_segment_ptr 1
		.amdhsa_user_sgpr_dispatch_id 0
		.amdhsa_user_sgpr_kernarg_preload_length 0
		.amdhsa_user_sgpr_kernarg_preload_offset 0
		.amdhsa_user_sgpr_private_segment_size 0
		.amdhsa_uses_dynamic_stack 0
		.amdhsa_enable_private_segment 0
		.amdhsa_system_sgpr_workgroup_id_x 1
		.amdhsa_system_sgpr_workgroup_id_y 0
		.amdhsa_system_sgpr_workgroup_id_z 0
		.amdhsa_system_sgpr_workgroup_info 0
		.amdhsa_system_vgpr_workitem_id 0
		.amdhsa_next_free_vgpr 54
		.amdhsa_next_free_sgpr 32
		.amdhsa_accum_offset 56
		.amdhsa_reserve_vcc 1
		.amdhsa_float_round_mode_32 0
		.amdhsa_float_round_mode_16_64 0
		.amdhsa_float_denorm_mode_32 3
		.amdhsa_float_denorm_mode_16_64 3
		.amdhsa_dx10_clamp 1
		.amdhsa_ieee_mode 1
		.amdhsa_fp16_overflow 0
		.amdhsa_tg_split 0
		.amdhsa_exception_fp_ieee_invalid_op 0
		.amdhsa_exception_fp_denorm_src 0
		.amdhsa_exception_fp_ieee_div_zero 0
		.amdhsa_exception_fp_ieee_overflow 0
		.amdhsa_exception_fp_ieee_underflow 0
		.amdhsa_exception_fp_ieee_inexact 0
		.amdhsa_exception_int_div_zero 0
	.end_amdhsa_kernel
	.section	.text._ZN5aiter23act_and_mul_bias_kernelIttsfTnPFfRKT2_EXadL_ZNS_11silu_kernelIfEEfRKT_EELi16EEEvPT0_PS8_PKT1_PS2_il,"axG",@progbits,_ZN5aiter23act_and_mul_bias_kernelIttsfTnPFfRKT2_EXadL_ZNS_11silu_kernelIfEEfRKT_EELi16EEEvPT0_PS8_PKT1_PS2_il,comdat
.Lfunc_end158:
	.size	_ZN5aiter23act_and_mul_bias_kernelIttsfTnPFfRKT2_EXadL_ZNS_11silu_kernelIfEEfRKT_EELi16EEEvPT0_PS8_PKT1_PS2_il, .Lfunc_end158-_ZN5aiter23act_and_mul_bias_kernelIttsfTnPFfRKT2_EXadL_ZNS_11silu_kernelIfEEfRKT_EELi16EEEvPT0_PS8_PKT1_PS2_il
                                        ; -- End function
	.section	.AMDGPU.csdata,"",@progbits
; Kernel info:
; codeLenInByte = 2668
; NumSgprs: 38
; NumVgprs: 54
; NumAgprs: 0
; TotalNumVgprs: 54
; ScratchSize: 0
; MemoryBound: 0
; FloatMode: 240
; IeeeMode: 1
; LDSByteSize: 0 bytes/workgroup (compile time only)
; SGPRBlocks: 4
; VGPRBlocks: 6
; NumSGPRsForWavesPerEU: 38
; NumVGPRsForWavesPerEU: 54
; AccumOffset: 56
; Occupancy: 8
; WaveLimiterHint : 0
; COMPUTE_PGM_RSRC2:SCRATCH_EN: 0
; COMPUTE_PGM_RSRC2:USER_SGPR: 2
; COMPUTE_PGM_RSRC2:TRAP_HANDLER: 0
; COMPUTE_PGM_RSRC2:TGID_X_EN: 1
; COMPUTE_PGM_RSRC2:TGID_Y_EN: 0
; COMPUTE_PGM_RSRC2:TGID_Z_EN: 0
; COMPUTE_PGM_RSRC2:TIDIG_COMP_CNT: 0
; COMPUTE_PGM_RSRC3_GFX90A:ACCUM_OFFSET: 13
; COMPUTE_PGM_RSRC3_GFX90A:TG_SPLIT: 0
	.section	.text._ZN5aiter23act_and_mul_bias_kernelIttsfTnPFfRKT2_EXadL_ZNS_11silu_kernelIfEEfRKT_EELi8EEEvPT0_PS8_PKT1_PS2_il,"axG",@progbits,_ZN5aiter23act_and_mul_bias_kernelIttsfTnPFfRKT2_EXadL_ZNS_11silu_kernelIfEEfRKT_EELi8EEEvPT0_PS8_PKT1_PS2_il,comdat
	.protected	_ZN5aiter23act_and_mul_bias_kernelIttsfTnPFfRKT2_EXadL_ZNS_11silu_kernelIfEEfRKT_EELi8EEEvPT0_PS8_PKT1_PS2_il ; -- Begin function _ZN5aiter23act_and_mul_bias_kernelIttsfTnPFfRKT2_EXadL_ZNS_11silu_kernelIfEEfRKT_EELi8EEEvPT0_PS8_PKT1_PS2_il
	.globl	_ZN5aiter23act_and_mul_bias_kernelIttsfTnPFfRKT2_EXadL_ZNS_11silu_kernelIfEEfRKT_EELi8EEEvPT0_PS8_PKT1_PS2_il
	.p2align	8
	.type	_ZN5aiter23act_and_mul_bias_kernelIttsfTnPFfRKT2_EXadL_ZNS_11silu_kernelIfEEfRKT_EELi8EEEvPT0_PS8_PKT1_PS2_il,@function
_ZN5aiter23act_and_mul_bias_kernelIttsfTnPFfRKT2_EXadL_ZNS_11silu_kernelIfEEfRKT_EELi8EEEvPT0_PS8_PKT1_PS2_il: ; @_ZN5aiter23act_and_mul_bias_kernelIttsfTnPFfRKT2_EXadL_ZNS_11silu_kernelIfEEfRKT_EELi8EEEvPT0_PS8_PKT1_PS2_il
; %bb.0:
	s_load_dword s14, s[0:1], 0x20
	s_load_dwordx2 s[4:5], s[0:1], 0x10
	s_load_dwordx2 s[8:9], s[0:1], 0x28
	s_mov_b32 s3, 0
	s_lshl_b64 s[6:7], s[2:3], 1
	s_waitcnt lgkmcnt(0)
	s_ashr_i32 s15, s14, 31
	s_add_u32 s4, s4, s6
	s_addc_u32 s5, s5, s7
	v_mov_b32_e32 v1, 0
	global_load_ushort v1, v1, s[4:5]
	s_mul_hi_u32 s3, s14, s2
	s_mul_i32 s5, s15, s2
	s_add_i32 s12, s14, 1
	s_add_i32 s5, s3, s5
	s_lshr_b32 s3, s12, 31
	s_load_dwordx2 s[10:11], s[0:1], 0x0
	s_add_i32 s12, s12, s3
	s_lshl_b32 s3, s12, 1
	s_mul_i32 s4, s14, s2
	s_and_b32 s18, s3, -4
	v_mov_b64_e32 v[2:3], s[8:9]
	s_lshl_b64 s[8:9], s[4:5], 1
	s_mov_b64 s[6:7], -1
	v_lshlrev_b32_e32 v24, 3, v0
	s_waitcnt vmcnt(0)
	v_readfirstlane_b32 s3, v1
	s_sext_i32_i16 s4, s3
	s_ashr_i32 s5, s4, 31
	s_waitcnt lgkmcnt(0)
	s_add_u32 s16, s10, s8
	s_addc_u32 s3, s11, s9
	s_and_b32 s17, s3, 0xffff
	s_cmp_gt_i32 s4, -1
	v_cmp_lt_i64_e32 vcc, s[4:5], v[2:3]
	s_cselect_b64 s[8:9], -1, 0
	s_and_b64 s[8:9], s[8:9], vcc
	s_and_b64 vcc, exec, s[8:9]
	s_cbranch_vccnz .LBB159_5
; %bb.1:
	v_cmp_gt_i32_e32 vcc, s14, v24
	s_and_saveexec_b64 s[6:7], vcc
	s_cbranch_execz .LBB159_4
; %bb.2:
	s_load_dword s3, s[0:1], 0x3c
	v_mov_b32_e32 v25, 0
	s_mov_b32 s9, 0
	v_lshlrev_b32_e32 v6, 4, v0
	s_mov_b64 s[10:11], 0
	s_waitcnt lgkmcnt(0)
	s_and_b32 s3, s3, 0xffff
	s_lshl_b32 s8, s3, 3
	s_lshl_b32 s3, s3, 4
	s_mov_b32 s19, 0x20000
	v_mov_b32_e32 v0, v25
	v_mov_b32_e32 v1, v25
	;; [unrolled: 1-line block ×4, first 2 shown]
	v_mov_b64_e32 v[4:5], v[24:25]
.LBB159_3:                              ; =>This Inner Loop Header: Depth=1
	v_lshl_add_u64 v[4:5], s[8:9], 0, v[4:5]
	v_cmp_le_i64_e32 vcc, s[14:15], v[4:5]
	buffer_store_dwordx4 v[0:3], v6, s[16:19], 0 offen
	s_or_b64 s[10:11], vcc, s[10:11]
	v_add_u32_e32 v6, s3, v6
	s_andn2_b64 exec, exec, s[10:11]
	s_cbranch_execnz .LBB159_3
.LBB159_4:
	s_or_b64 exec, exec, s[6:7]
	s_mov_b64 s[6:7], 0
.LBB159_5:
	s_andn2_b64 vcc, exec, s[6:7]
	s_cbranch_vccnz .LBB159_9
; %bb.6:
	v_cmp_gt_i32_e32 vcc, s14, v24
	s_and_saveexec_b64 s[6:7], vcc
	s_cbranch_execz .LBB159_9
; %bb.7:
	s_load_dwordx2 s[6:7], s[0:1], 0x18
	s_load_dwordx2 s[8:9], s[0:1], 0x8
	s_mul_hi_i32 s5, s14, s4
	s_mul_i32 s4, s14, s4
	s_lshl_b64 s[4:5], s[4:5], 3
	s_waitcnt lgkmcnt(0)
	s_add_u32 s20, s6, s4
	s_addc_u32 s3, s7, s5
	s_lshl_b64 s[4:5], s[14:15], 2
	s_add_u32 s24, s20, s4
	s_addc_u32 s4, s3, s5
	s_and_b32 s21, s3, 0xffff
	s_and_b32 s25, s4, 0xffff
	s_mul_i32 s3, s2, s15
	s_mul_hi_u32 s4, s2, s14
	s_add_i32 s3, s4, s3
	s_mul_i32 s2, s2, s14
	s_lshl_b32 s22, s14, 2
	s_lshl_b64 s[2:3], s[2:3], 2
	s_add_u32 s28, s8, s2
	s_addc_u32 s4, s9, s3
	s_lshl_b64 s[2:3], s[14:15], 1
	s_add_u32 s36, s28, s2
	s_addc_u32 s2, s4, s3
	s_and_b32 s29, s4, 0xffff
	s_and_b32 s37, s2, 0xffff
	s_mov_b32 s19, 0x20000
	s_add_u32 s34, s0, 48
	s_mov_b32 s23, s19
	v_mov_b32_e32 v25, 0
	s_addc_u32 s35, s1, 0
	s_mov_b64 s[40:41], 0
	s_mov_b32 s30, s18
	s_mov_b32 s31, s19
	s_mov_b32 s43, 0
	s_mov_b32 s33, 0xbfb8aa3b
	s_mov_b32 s44, 0x42ce8ed0
	s_mov_b32 s45, 0xc2b17218
	v_mov_b32_e32 v30, 0x7f800000
	s_mov_b32 s46, 0x7060302
	s_mov_b32 s38, s18
	;; [unrolled: 1-line block ×3, first 2 shown]
.LBB159_8:                              ; =>This Inner Loop Header: Depth=1
	v_lshlrev_b32_e32 v31, 1, v24
	v_lshlrev_b32_e32 v26, 2, v24
	s_mov_b32 s26, s22
	s_mov_b32 s27, s23
	buffer_load_dwordx4 v[20:23], v31, s[36:39], 0 offen
	buffer_load_dwordx4 v[16:19], v31, s[28:31], 0 offen
	;; [unrolled: 1-line block ×6, first 2 shown]
	s_waitcnt vmcnt(5)
	v_and_b32_e32 v35, 0xffff0000, v22
	v_lshlrev_b32_e32 v34, 16, v22
	v_and_b32_e32 v39, 0xffff0000, v23
	v_lshlrev_b32_e32 v38, 16, v23
	s_waitcnt vmcnt(4)
	v_and_b32_e32 v23, 0xffff0000, v19
	v_lshlrev_b32_e32 v22, 16, v19
	v_and_b32_e32 v27, 0xffff0000, v20
	v_lshlrev_b32_e32 v26, 16, v20
	;; [unrolled: 2-line block ×6, first 2 shown]
	s_waitcnt vmcnt(0)
	v_pk_add_f32 v[2:3], v[2:3], v[22:23]
	v_pk_add_f32 v[16:17], v[4:5], v[28:29]
	;; [unrolled: 1-line block ×6, first 2 shown]
	v_mul_f32_e32 v22, 0xbfb8aa3b, v2
	v_mul_f32_e32 v23, 0xbfb8aa3b, v3
	v_pk_add_f32 v[0:1], v[14:15], v[38:39]
	v_mul_f32_e32 v14, 0xbfb8aa3b, v16
	v_mul_f32_e32 v15, 0xbfb8aa3b, v17
	;; [unrolled: 1-line block ×6, first 2 shown]
	v_fma_f32 v40, v2, s33, -v22
	v_rndne_f32_e32 v41, v22
	v_fma_f32 v42, v3, s33, -v23
	v_rndne_f32_e32 v43, v23
	v_pk_add_f32 v[8:9], v[8:9], v[26:27]
	v_fma_f32 v26, v16, s33, -v14
	v_rndne_f32_e32 v27, v14
	v_fma_f32 v28, v17, s33, -v15
	v_rndne_f32_e32 v29, v15
	;; [unrolled: 2-line block ×6, first 2 shown]
	v_fmac_f32_e32 v40, 0xb2a5705f, v2
	v_sub_f32_e32 v22, v22, v41
	v_fmac_f32_e32 v42, 0xb2a5705f, v3
	v_sub_f32_e32 v23, v23, v43
	;; [unrolled: 2-line block ×8, first 2 shown]
	v_add_f32_e32 v22, v22, v40
	v_add_f32_e32 v23, v23, v42
	v_cvt_i32_f32_e32 v41, v41
	v_cvt_i32_f32_e32 v43, v43
	v_add_f32_e32 v14, v14, v26
	v_add_f32_e32 v15, v15, v28
	;; [unrolled: 1-line block ×6, first 2 shown]
	v_exp_f32_e32 v22, v22
	v_exp_f32_e32 v23, v23
	v_cvt_i32_f32_e32 v27, v27
	v_cvt_i32_f32_e32 v29, v29
	;; [unrolled: 1-line block ×6, first 2 shown]
	v_exp_f32_e32 v14, v14
	v_exp_f32_e32 v15, v15
	;; [unrolled: 1-line block ×6, first 2 shown]
	v_ldexp_f32 v22, v22, v41
	v_cmp_nlt_f32_e64 s[8:9], s44, v2
	v_ldexp_f32 v23, v23, v43
	v_cmp_nlt_f32_e64 s[10:11], s44, v3
	v_ldexp_f32 v14, v14, v27
	v_ldexp_f32 v15, v15, v29
	v_cmp_nlt_f32_e32 vcc, s44, v17
	v_ldexp_f32 v18, v18, v33
	v_cmp_nlt_f32_e64 s[0:1], s44, v10
	v_ldexp_f32 v19, v19, v35
	v_cmp_nlt_f32_e64 s[2:3], s44, v11
	;; [unrolled: 2-line block ×4, first 2 shown]
	v_cmp_nlt_f32_e64 s[12:13], s44, v16
	v_cndmask_b32_e64 v22, 0, v22, s[8:9]
	v_cmp_ngt_f32_e64 s[8:9], s45, v2
	v_cndmask_b32_e64 v23, 0, v23, s[10:11]
	v_cmp_ngt_f32_e64 s[10:11], s45, v3
	v_cndmask_b32_e64 v14, 0, v14, s[12:13]
	v_cndmask_b32_e32 v15, 0, v15, vcc
	v_cmp_ngt_f32_e32 vcc, s45, v17
	v_cndmask_b32_e64 v18, 0, v18, s[0:1]
	v_cmp_ngt_f32_e64 s[0:1], s45, v10
	v_cndmask_b32_e64 v19, 0, v19, s[2:3]
	v_cmp_ngt_f32_e64 s[2:3], s45, v11
	;; [unrolled: 2-line block ×4, first 2 shown]
	v_cmp_ngt_f32_e64 s[12:13], s45, v16
	v_cndmask_b32_e64 v22, v30, v22, s[8:9]
	v_cndmask_b32_e64 v23, v30, v23, s[10:11]
	;; [unrolled: 1-line block ×3, first 2 shown]
	v_cndmask_b32_e32 v15, v30, v15, vcc
	v_cndmask_b32_e64 v18, v30, v18, s[0:1]
	v_cndmask_b32_e64 v19, v30, v19, s[2:3]
	;; [unrolled: 1-line block ×4, first 2 shown]
	v_add_f32_e32 v22, 1.0, v22
	v_add_f32_e32 v23, 1.0, v23
	;; [unrolled: 1-line block ×8, first 2 shown]
	v_rcp_f32_e32 v22, v22
	v_rcp_f32_e32 v23, v23
	;; [unrolled: 1-line block ×8, first 2 shown]
	v_pk_mul_f32 v[2:3], v[2:3], v[22:23]
	v_pk_mul_f32 v[14:15], v[16:17], v[14:15]
	;; [unrolled: 1-line block ×4, first 2 shown]
	;;#ASMSTART
	v_pk_mul_f32 v[8:9], v[14:15], v[8:9]
	;;#ASMEND
	;;#ASMSTART
	v_pk_mul_f32 v[4:5], v[10:11], v[4:5]
	;;#ASMEND
	s_nop 0
	;;#ASMSTART
	v_pk_mul_f32 v[6:7], v[12:13], v[6:7]
	;;#ASMEND
	;;#ASMSTART
	v_pk_mul_f32 v[2:3], v[2:3], v[0:1]
	;;#ASMEND
	s_load_dword s0, s[34:35], 0xc
	v_perm_b32 v1, v5, v4, s46
	v_perm_b32 v3, v3, v2, s46
	;; [unrolled: 1-line block ×4, first 2 shown]
	s_waitcnt lgkmcnt(0)
	s_and_b32 s0, s0, 0xffff
	s_lshl_b32 s42, s0, 3
	v_lshl_add_u64 v[24:25], s[42:43], 0, v[24:25]
	v_cmp_le_i64_e32 vcc, s[14:15], v[24:25]
	s_or_b64 s[40:41], vcc, s[40:41]
	buffer_store_dwordx4 v[0:3], v31, s[16:19], 0 offen
	s_andn2_b64 exec, exec, s[40:41]
	s_cbranch_execnz .LBB159_8
.LBB159_9:
	s_endpgm
	.section	.rodata,"a",@progbits
	.p2align	6, 0x0
	.amdhsa_kernel _ZN5aiter23act_and_mul_bias_kernelIttsfTnPFfRKT2_EXadL_ZNS_11silu_kernelIfEEfRKT_EELi8EEEvPT0_PS8_PKT1_PS2_il
		.amdhsa_group_segment_fixed_size 0
		.amdhsa_private_segment_fixed_size 0
		.amdhsa_kernarg_size 304
		.amdhsa_user_sgpr_count 2
		.amdhsa_user_sgpr_dispatch_ptr 0
		.amdhsa_user_sgpr_queue_ptr 0
		.amdhsa_user_sgpr_kernarg_segment_ptr 1
		.amdhsa_user_sgpr_dispatch_id 0
		.amdhsa_user_sgpr_kernarg_preload_length 0
		.amdhsa_user_sgpr_kernarg_preload_offset 0
		.amdhsa_user_sgpr_private_segment_size 0
		.amdhsa_uses_dynamic_stack 0
		.amdhsa_enable_private_segment 0
		.amdhsa_system_sgpr_workgroup_id_x 1
		.amdhsa_system_sgpr_workgroup_id_y 0
		.amdhsa_system_sgpr_workgroup_id_z 0
		.amdhsa_system_sgpr_workgroup_info 0
		.amdhsa_system_vgpr_workitem_id 0
		.amdhsa_next_free_vgpr 44
		.amdhsa_next_free_sgpr 47
		.amdhsa_accum_offset 44
		.amdhsa_reserve_vcc 1
		.amdhsa_float_round_mode_32 0
		.amdhsa_float_round_mode_16_64 0
		.amdhsa_float_denorm_mode_32 3
		.amdhsa_float_denorm_mode_16_64 3
		.amdhsa_dx10_clamp 1
		.amdhsa_ieee_mode 1
		.amdhsa_fp16_overflow 0
		.amdhsa_tg_split 0
		.amdhsa_exception_fp_ieee_invalid_op 0
		.amdhsa_exception_fp_denorm_src 0
		.amdhsa_exception_fp_ieee_div_zero 0
		.amdhsa_exception_fp_ieee_overflow 0
		.amdhsa_exception_fp_ieee_underflow 0
		.amdhsa_exception_fp_ieee_inexact 0
		.amdhsa_exception_int_div_zero 0
	.end_amdhsa_kernel
	.section	.text._ZN5aiter23act_and_mul_bias_kernelIttsfTnPFfRKT2_EXadL_ZNS_11silu_kernelIfEEfRKT_EELi8EEEvPT0_PS8_PKT1_PS2_il,"axG",@progbits,_ZN5aiter23act_and_mul_bias_kernelIttsfTnPFfRKT2_EXadL_ZNS_11silu_kernelIfEEfRKT_EELi8EEEvPT0_PS8_PKT1_PS2_il,comdat
.Lfunc_end159:
	.size	_ZN5aiter23act_and_mul_bias_kernelIttsfTnPFfRKT2_EXadL_ZNS_11silu_kernelIfEEfRKT_EELi8EEEvPT0_PS8_PKT1_PS2_il, .Lfunc_end159-_ZN5aiter23act_and_mul_bias_kernelIttsfTnPFfRKT2_EXadL_ZNS_11silu_kernelIfEEfRKT_EELi8EEEvPT0_PS8_PKT1_PS2_il
                                        ; -- End function
	.section	.AMDGPU.csdata,"",@progbits
; Kernel info:
; codeLenInByte = 1660
; NumSgprs: 53
; NumVgprs: 44
; NumAgprs: 0
; TotalNumVgprs: 44
; ScratchSize: 0
; MemoryBound: 0
; FloatMode: 240
; IeeeMode: 1
; LDSByteSize: 0 bytes/workgroup (compile time only)
; SGPRBlocks: 6
; VGPRBlocks: 5
; NumSGPRsForWavesPerEU: 53
; NumVGPRsForWavesPerEU: 44
; AccumOffset: 44
; Occupancy: 8
; WaveLimiterHint : 0
; COMPUTE_PGM_RSRC2:SCRATCH_EN: 0
; COMPUTE_PGM_RSRC2:USER_SGPR: 2
; COMPUTE_PGM_RSRC2:TRAP_HANDLER: 0
; COMPUTE_PGM_RSRC2:TGID_X_EN: 1
; COMPUTE_PGM_RSRC2:TGID_Y_EN: 0
; COMPUTE_PGM_RSRC2:TGID_Z_EN: 0
; COMPUTE_PGM_RSRC2:TIDIG_COMP_CNT: 0
; COMPUTE_PGM_RSRC3_GFX90A:ACCUM_OFFSET: 10
; COMPUTE_PGM_RSRC3_GFX90A:TG_SPLIT: 0
	.section	.text._ZN5aiter23act_and_mul_bias_kernelIttsfTnPFfRKT2_EXadL_ZNS_11silu_kernelIfEEfRKT_EELi4EEEvPT0_PS8_PKT1_PS2_il,"axG",@progbits,_ZN5aiter23act_and_mul_bias_kernelIttsfTnPFfRKT2_EXadL_ZNS_11silu_kernelIfEEfRKT_EELi4EEEvPT0_PS8_PKT1_PS2_il,comdat
	.protected	_ZN5aiter23act_and_mul_bias_kernelIttsfTnPFfRKT2_EXadL_ZNS_11silu_kernelIfEEfRKT_EELi4EEEvPT0_PS8_PKT1_PS2_il ; -- Begin function _ZN5aiter23act_and_mul_bias_kernelIttsfTnPFfRKT2_EXadL_ZNS_11silu_kernelIfEEfRKT_EELi4EEEvPT0_PS8_PKT1_PS2_il
	.globl	_ZN5aiter23act_and_mul_bias_kernelIttsfTnPFfRKT2_EXadL_ZNS_11silu_kernelIfEEfRKT_EELi4EEEvPT0_PS8_PKT1_PS2_il
	.p2align	8
	.type	_ZN5aiter23act_and_mul_bias_kernelIttsfTnPFfRKT2_EXadL_ZNS_11silu_kernelIfEEfRKT_EELi4EEEvPT0_PS8_PKT1_PS2_il,@function
_ZN5aiter23act_and_mul_bias_kernelIttsfTnPFfRKT2_EXadL_ZNS_11silu_kernelIfEEfRKT_EELi4EEEvPT0_PS8_PKT1_PS2_il: ; @_ZN5aiter23act_and_mul_bias_kernelIttsfTnPFfRKT2_EXadL_ZNS_11silu_kernelIfEEfRKT_EELi4EEEvPT0_PS8_PKT1_PS2_il
; %bb.0:
	s_load_dword s6, s[0:1], 0x20
	s_load_dwordx2 s[4:5], s[0:1], 0x10
	s_load_dwordx2 s[8:9], s[0:1], 0x28
	s_mov_b32 s3, 0
	s_lshl_b64 s[10:11], s[2:3], 1
	s_waitcnt lgkmcnt(0)
	s_ashr_i32 s7, s6, 31
	s_add_u32 s4, s4, s10
	s_addc_u32 s5, s5, s11
	v_mov_b32_e32 v1, 0
	global_load_ushort v1, v1, s[4:5]
	s_mul_hi_u32 s3, s6, s2
	s_mul_i32 s5, s7, s2
	s_add_i32 s10, s6, 1
	s_add_i32 s5, s3, s5
	s_lshr_b32 s3, s10, 31
	s_load_dwordx2 s[14:15], s[0:1], 0x0
	s_add_i32 s10, s10, s3
	s_lshl_b32 s3, s10, 1
	s_mul_i32 s4, s6, s2
	s_and_b32 s10, s3, -4
	v_mov_b64_e32 v[2:3], s[8:9]
	s_lshl_b64 s[8:9], s[4:5], 1
	s_mov_b64 s[12:13], -1
	s_waitcnt vmcnt(0)
	v_readfirstlane_b32 s3, v1
	s_sext_i32_i16 s4, s3
	s_ashr_i32 s5, s4, 31
	s_waitcnt lgkmcnt(0)
	s_add_u32 s8, s14, s8
	s_addc_u32 s3, s15, s9
	s_and_b32 s9, s3, 0xffff
	s_cmp_gt_i32 s4, -1
	v_cmp_lt_i64_e32 vcc, s[4:5], v[2:3]
	s_cselect_b64 s[14:15], -1, 0
	s_and_b64 s[14:15], s[14:15], vcc
	s_and_b64 vcc, exec, s[14:15]
	v_lshlrev_b32_e32 v2, 2, v0
	s_cbranch_vccnz .LBB160_5
; %bb.1:
	v_cmp_gt_i32_e32 vcc, s6, v2
	s_and_saveexec_b64 s[12:13], vcc
	s_cbranch_execz .LBB160_4
; %bb.2:
	s_load_dword s3, s[0:1], 0x3c
	v_mov_b32_e32 v3, 0
	s_mov_b32 s15, 0
	v_lshlrev_b32_e32 v6, 3, v0
	s_mov_b64 s[16:17], 0
	s_waitcnt lgkmcnt(0)
	s_and_b32 s3, s3, 0xffff
	s_lshl_b32 s14, s3, 2
	s_lshl_b32 s3, s3, 3
	s_mov_b32 s11, 0x20000
	v_mov_b32_e32 v0, v3
	v_mov_b32_e32 v1, v3
	v_mov_b64_e32 v[4:5], v[2:3]
.LBB160_3:                              ; =>This Inner Loop Header: Depth=1
	v_lshl_add_u64 v[4:5], s[14:15], 0, v[4:5]
	v_cmp_le_i64_e32 vcc, s[6:7], v[4:5]
	buffer_store_dwordx2 v[0:1], v6, s[8:11], 0 offen
	s_or_b64 s[16:17], vcc, s[16:17]
	v_add_u32_e32 v6, s3, v6
	s_andn2_b64 exec, exec, s[16:17]
	s_cbranch_execnz .LBB160_3
.LBB160_4:
	s_or_b64 exec, exec, s[12:13]
	s_mov_b64 s[12:13], 0
.LBB160_5:
	s_andn2_b64 vcc, exec, s[12:13]
	s_cbranch_vccnz .LBB160_9
; %bb.6:
	v_cmp_gt_i32_e32 vcc, s6, v2
	s_and_saveexec_b64 s[12:13], vcc
	s_cbranch_execz .LBB160_9
; %bb.7:
	s_load_dwordx2 s[12:13], s[0:1], 0x18
	s_load_dwordx2 s[18:19], s[0:1], 0x8
	s_mul_hi_i32 s5, s6, s4
	s_mul_i32 s4, s6, s4
	s_lshl_b64 s[4:5], s[4:5], 3
	s_waitcnt lgkmcnt(0)
	s_add_u32 s12, s12, s4
	s_addc_u32 s3, s13, s5
	s_lshl_b64 s[4:5], s[6:7], 2
	s_add_u32 s16, s12, s4
	s_addc_u32 s4, s3, s5
	s_and_b32 s13, s3, 0xffff
	s_and_b32 s17, s4, 0xffff
	s_mul_i32 s3, s2, s7
	s_mul_hi_u32 s4, s2, s6
	s_add_i32 s3, s4, s3
	s_mul_i32 s2, s2, s6
	s_lshl_b32 s14, s6, 2
	s_lshl_b64 s[2:3], s[2:3], 2
	s_add_u32 s20, s18, s2
	s_addc_u32 s4, s19, s3
	s_lshl_b64 s[2:3], s[6:7], 1
	s_add_u32 s24, s20, s2
	s_addc_u32 s2, s4, s3
	s_and_b32 s21, s4, 0xffff
	s_and_b32 s25, s2, 0xffff
	s_mov_b32 s11, 0x20000
	s_add_u32 s28, s0, 48
	s_mov_b32 s15, s11
	v_mov_b32_e32 v3, 0
	s_addc_u32 s29, s1, 0
	s_mov_b64 s[30:31], 0
	s_mov_b32 s22, s10
	s_mov_b32 s23, s11
	;; [unrolled: 1-line block ×6, first 2 shown]
	v_mov_b32_e32 v0, 0x7f800000
	s_mov_b32 s38, 0x7060302
	s_mov_b32 s26, s10
	;; [unrolled: 1-line block ×3, first 2 shown]
.LBB160_8:                              ; =>This Inner Loop Header: Depth=1
	v_lshlrev_b32_e32 v1, 1, v2
	v_lshlrev_b32_e32 v16, 2, v2
	s_mov_b32 s18, s14
	s_mov_b32 s19, s15
	buffer_load_dwordx2 v[12:13], v1, s[24:27], 0 offen
	buffer_load_dwordx2 v[14:15], v1, s[20:23], 0 offen
	buffer_load_dwordx4 v[4:7], v16, s[12:15], 0 offen
	buffer_load_dwordx4 v[8:11], v16, s[16:19], 0 offen
	s_waitcnt vmcnt(3)
	v_and_b32_e32 v17, 0xffff0000, v12
	v_lshlrev_b32_e32 v16, 16, v12
	s_waitcnt vmcnt(2)
	v_and_b32_e32 v19, 0xffff0000, v14
	v_lshlrev_b32_e32 v18, 16, v14
	v_and_b32_e32 v21, 0xffff0000, v13
	v_lshlrev_b32_e32 v20, 16, v13
	;; [unrolled: 2-line block ×3, first 2 shown]
	s_waitcnt vmcnt(1)
	v_pk_add_f32 v[4:5], v[4:5], v[18:19]
	v_pk_add_f32 v[6:7], v[6:7], v[12:13]
	v_mul_f32_e32 v12, 0xbfb8aa3b, v4
	v_mul_f32_e32 v13, 0xbfb8aa3b, v5
	;; [unrolled: 1-line block ×4, first 2 shown]
	s_waitcnt vmcnt(0)
	v_pk_add_f32 v[8:9], v[8:9], v[16:17]
	v_pk_add_f32 v[10:11], v[10:11], v[20:21]
	v_fma_f32 v16, v4, s33, -v12
	v_rndne_f32_e32 v17, v12
	v_fma_f32 v18, v5, s33, -v13
	v_rndne_f32_e32 v19, v13
	;; [unrolled: 2-line block ×4, first 2 shown]
	v_fmac_f32_e32 v16, 0xb2a5705f, v4
	v_sub_f32_e32 v12, v12, v17
	v_fmac_f32_e32 v18, 0xb2a5705f, v5
	v_sub_f32_e32 v13, v13, v19
	;; [unrolled: 2-line block ×4, first 2 shown]
	v_add_f32_e32 v12, v12, v16
	v_add_f32_e32 v13, v13, v18
	;; [unrolled: 1-line block ×4, first 2 shown]
	v_cvt_i32_f32_e32 v17, v17
	v_cvt_i32_f32_e32 v19, v19
	;; [unrolled: 1-line block ×4, first 2 shown]
	v_exp_f32_e32 v12, v12
	v_exp_f32_e32 v13, v13
	;; [unrolled: 1-line block ×4, first 2 shown]
	v_ldexp_f32 v12, v12, v17
	v_ldexp_f32 v13, v13, v19
	v_cmp_nlt_f32_e32 vcc, s36, v5
	v_ldexp_f32 v14, v14, v21
	v_cmp_nlt_f32_e64 s[0:1], s36, v6
	v_ldexp_f32 v15, v15, v23
	v_cmp_nlt_f32_e64 s[2:3], s36, v7
	v_cmp_nlt_f32_e64 s[4:5], s36, v4
	v_cndmask_b32_e32 v13, 0, v13, vcc
	v_cmp_ngt_f32_e32 vcc, s37, v5
	v_cndmask_b32_e64 v12, 0, v12, s[4:5]
	v_cndmask_b32_e64 v14, 0, v14, s[0:1]
	v_cmp_ngt_f32_e64 s[0:1], s37, v6
	v_cndmask_b32_e64 v15, 0, v15, s[2:3]
	v_cmp_ngt_f32_e64 s[2:3], s37, v7
	v_cmp_ngt_f32_e64 s[4:5], s37, v4
	v_cndmask_b32_e32 v13, v0, v13, vcc
	v_cndmask_b32_e64 v14, v0, v14, s[0:1]
	v_cndmask_b32_e64 v12, v0, v12, s[4:5]
	v_cndmask_b32_e64 v15, v0, v15, s[2:3]
	v_add_f32_e32 v12, 1.0, v12
	v_add_f32_e32 v13, 1.0, v13
	;; [unrolled: 1-line block ×4, first 2 shown]
	v_rcp_f32_e32 v12, v12
	v_rcp_f32_e32 v13, v13
	;; [unrolled: 1-line block ×4, first 2 shown]
	v_pk_mul_f32 v[4:5], v[4:5], v[12:13]
	s_nop 0
	;;#ASMSTART
	v_pk_mul_f32 v[4:5], v[4:5], v[8:9]
	;;#ASMEND
	v_pk_mul_f32 v[6:7], v[6:7], v[14:15]
	s_nop 0
	;;#ASMSTART
	v_pk_mul_f32 v[6:7], v[6:7], v[10:11]
	;;#ASMEND
	s_load_dword s0, s[28:29], 0xc
	v_perm_b32 v7, v7, v6, s38
	v_perm_b32 v6, v5, v4, s38
	buffer_store_dwordx2 v[6:7], v1, s[8:11], 0 offen
	s_waitcnt lgkmcnt(0)
	s_and_b32 s0, s0, 0xffff
	s_lshl_b32 s34, s0, 2
	v_lshl_add_u64 v[2:3], s[34:35], 0, v[2:3]
	v_cmp_le_i64_e32 vcc, s[6:7], v[2:3]
	s_or_b64 s[30:31], vcc, s[30:31]
	s_andn2_b64 exec, exec, s[30:31]
	s_cbranch_execnz .LBB160_8
.LBB160_9:
	s_endpgm
	.section	.rodata,"a",@progbits
	.p2align	6, 0x0
	.amdhsa_kernel _ZN5aiter23act_and_mul_bias_kernelIttsfTnPFfRKT2_EXadL_ZNS_11silu_kernelIfEEfRKT_EELi4EEEvPT0_PS8_PKT1_PS2_il
		.amdhsa_group_segment_fixed_size 0
		.amdhsa_private_segment_fixed_size 0
		.amdhsa_kernarg_size 304
		.amdhsa_user_sgpr_count 2
		.amdhsa_user_sgpr_dispatch_ptr 0
		.amdhsa_user_sgpr_queue_ptr 0
		.amdhsa_user_sgpr_kernarg_segment_ptr 1
		.amdhsa_user_sgpr_dispatch_id 0
		.amdhsa_user_sgpr_kernarg_preload_length 0
		.amdhsa_user_sgpr_kernarg_preload_offset 0
		.amdhsa_user_sgpr_private_segment_size 0
		.amdhsa_uses_dynamic_stack 0
		.amdhsa_enable_private_segment 0
		.amdhsa_system_sgpr_workgroup_id_x 1
		.amdhsa_system_sgpr_workgroup_id_y 0
		.amdhsa_system_sgpr_workgroup_id_z 0
		.amdhsa_system_sgpr_workgroup_info 0
		.amdhsa_system_vgpr_workitem_id 0
		.amdhsa_next_free_vgpr 24
		.amdhsa_next_free_sgpr 39
		.amdhsa_accum_offset 24
		.amdhsa_reserve_vcc 1
		.amdhsa_float_round_mode_32 0
		.amdhsa_float_round_mode_16_64 0
		.amdhsa_float_denorm_mode_32 3
		.amdhsa_float_denorm_mode_16_64 3
		.amdhsa_dx10_clamp 1
		.amdhsa_ieee_mode 1
		.amdhsa_fp16_overflow 0
		.amdhsa_tg_split 0
		.amdhsa_exception_fp_ieee_invalid_op 0
		.amdhsa_exception_fp_denorm_src 0
		.amdhsa_exception_fp_ieee_div_zero 0
		.amdhsa_exception_fp_ieee_overflow 0
		.amdhsa_exception_fp_ieee_underflow 0
		.amdhsa_exception_fp_ieee_inexact 0
		.amdhsa_exception_int_div_zero 0
	.end_amdhsa_kernel
	.section	.text._ZN5aiter23act_and_mul_bias_kernelIttsfTnPFfRKT2_EXadL_ZNS_11silu_kernelIfEEfRKT_EELi4EEEvPT0_PS8_PKT1_PS2_il,"axG",@progbits,_ZN5aiter23act_and_mul_bias_kernelIttsfTnPFfRKT2_EXadL_ZNS_11silu_kernelIfEEfRKT_EELi4EEEvPT0_PS8_PKT1_PS2_il,comdat
.Lfunc_end160:
	.size	_ZN5aiter23act_and_mul_bias_kernelIttsfTnPFfRKT2_EXadL_ZNS_11silu_kernelIfEEfRKT_EELi4EEEvPT0_PS8_PKT1_PS2_il, .Lfunc_end160-_ZN5aiter23act_and_mul_bias_kernelIttsfTnPFfRKT2_EXadL_ZNS_11silu_kernelIfEEfRKT_EELi4EEEvPT0_PS8_PKT1_PS2_il
                                        ; -- End function
	.section	.AMDGPU.csdata,"",@progbits
; Kernel info:
; codeLenInByte = 1148
; NumSgprs: 45
; NumVgprs: 24
; NumAgprs: 0
; TotalNumVgprs: 24
; ScratchSize: 0
; MemoryBound: 0
; FloatMode: 240
; IeeeMode: 1
; LDSByteSize: 0 bytes/workgroup (compile time only)
; SGPRBlocks: 5
; VGPRBlocks: 2
; NumSGPRsForWavesPerEU: 45
; NumVGPRsForWavesPerEU: 24
; AccumOffset: 24
; Occupancy: 8
; WaveLimiterHint : 0
; COMPUTE_PGM_RSRC2:SCRATCH_EN: 0
; COMPUTE_PGM_RSRC2:USER_SGPR: 2
; COMPUTE_PGM_RSRC2:TRAP_HANDLER: 0
; COMPUTE_PGM_RSRC2:TGID_X_EN: 1
; COMPUTE_PGM_RSRC2:TGID_Y_EN: 0
; COMPUTE_PGM_RSRC2:TGID_Z_EN: 0
; COMPUTE_PGM_RSRC2:TIDIG_COMP_CNT: 0
; COMPUTE_PGM_RSRC3_GFX90A:ACCUM_OFFSET: 5
; COMPUTE_PGM_RSRC3_GFX90A:TG_SPLIT: 0
	.section	.text._ZN5aiter23act_and_mul_bias_kernelIttsfTnPFfRKT2_EXadL_ZNS_11silu_kernelIfEEfRKT_EELi2EEEvPT0_PS8_PKT1_PS2_il,"axG",@progbits,_ZN5aiter23act_and_mul_bias_kernelIttsfTnPFfRKT2_EXadL_ZNS_11silu_kernelIfEEfRKT_EELi2EEEvPT0_PS8_PKT1_PS2_il,comdat
	.protected	_ZN5aiter23act_and_mul_bias_kernelIttsfTnPFfRKT2_EXadL_ZNS_11silu_kernelIfEEfRKT_EELi2EEEvPT0_PS8_PKT1_PS2_il ; -- Begin function _ZN5aiter23act_and_mul_bias_kernelIttsfTnPFfRKT2_EXadL_ZNS_11silu_kernelIfEEfRKT_EELi2EEEvPT0_PS8_PKT1_PS2_il
	.globl	_ZN5aiter23act_and_mul_bias_kernelIttsfTnPFfRKT2_EXadL_ZNS_11silu_kernelIfEEfRKT_EELi2EEEvPT0_PS8_PKT1_PS2_il
	.p2align	8
	.type	_ZN5aiter23act_and_mul_bias_kernelIttsfTnPFfRKT2_EXadL_ZNS_11silu_kernelIfEEfRKT_EELi2EEEvPT0_PS8_PKT1_PS2_il,@function
_ZN5aiter23act_and_mul_bias_kernelIttsfTnPFfRKT2_EXadL_ZNS_11silu_kernelIfEEfRKT_EELi2EEEvPT0_PS8_PKT1_PS2_il: ; @_ZN5aiter23act_and_mul_bias_kernelIttsfTnPFfRKT2_EXadL_ZNS_11silu_kernelIfEEfRKT_EELi2EEEvPT0_PS8_PKT1_PS2_il
; %bb.0:
	s_load_dword s24, s[0:1], 0x20
	s_load_dwordx2 s[4:5], s[0:1], 0x10
	s_load_dwordx2 s[6:7], s[0:1], 0x28
	s_mov_b32 s3, 0
	s_lshl_b64 s[8:9], s[2:3], 1
	s_waitcnt lgkmcnt(0)
	s_ashr_i32 s25, s24, 31
	s_add_u32 s4, s4, s8
	s_addc_u32 s5, s5, s9
	v_mov_b32_e32 v1, 0
	global_load_ushort v1, v1, s[4:5]
	s_mul_hi_u32 s3, s24, s2
	v_mov_b64_e32 v[2:3], s[6:7]
	s_mul_i32 s6, s25, s2
	s_add_i32 s7, s24, 1
	s_add_i32 s9, s3, s6
	s_lshr_b32 s3, s7, 31
	s_load_dwordx2 s[4:5], s[0:1], 0x0
	s_add_i32 s7, s7, s3
	s_lshl_b32 s3, s7, 1
	s_mul_i32 s8, s24, s2
	s_and_b32 s6, s3, -4
	s_lshl_b64 s[12:13], s[8:9], 1
	s_mov_b64 s[10:11], -1
	s_waitcnt vmcnt(0)
	v_readfirstlane_b32 s3, v1
	s_sext_i32_i16 s8, s3
	s_ashr_i32 s9, s8, 31
	s_waitcnt lgkmcnt(0)
	s_add_u32 s4, s4, s12
	s_addc_u32 s3, s5, s13
	s_and_b32 s5, s3, 0xffff
	s_cmp_gt_i32 s8, -1
	v_cmp_lt_i64_e32 vcc, s[8:9], v[2:3]
	s_cselect_b64 s[12:13], -1, 0
	s_and_b64 s[12:13], s[12:13], vcc
	s_and_b64 vcc, exec, s[12:13]
	v_lshlrev_b32_e32 v2, 1, v0
	s_cbranch_vccnz .LBB161_5
; %bb.1:
	v_cmp_gt_i32_e32 vcc, s24, v2
	s_and_saveexec_b64 s[10:11], vcc
	s_cbranch_execz .LBB161_4
; %bb.2:
	s_load_dword s3, s[0:1], 0x3c
	v_mov_b32_e32 v3, 0
	s_mov_b32 s13, 0
	v_lshlrev_b32_e32 v4, 2, v0
	s_mov_b64 s[14:15], 0
	s_waitcnt lgkmcnt(0)
	s_and_b32 s3, s3, 0xffff
	s_lshl_b32 s12, s3, 1
	s_lshl_b32 s3, s3, 2
	s_mov_b32 s7, 0x20000
	v_mov_b64_e32 v[0:1], v[2:3]
.LBB161_3:                              ; =>This Inner Loop Header: Depth=1
	v_lshl_add_u64 v[0:1], s[12:13], 0, v[0:1]
	v_cmp_le_i64_e32 vcc, s[24:25], v[0:1]
	buffer_store_dword v3, v4, s[4:7], 0 offen
	s_or_b64 s[14:15], vcc, s[14:15]
	v_add_u32_e32 v4, s3, v4
	s_andn2_b64 exec, exec, s[14:15]
	s_cbranch_execnz .LBB161_3
.LBB161_4:
	s_or_b64 exec, exec, s[10:11]
	s_mov_b64 s[10:11], 0
.LBB161_5:
	s_andn2_b64 vcc, exec, s[10:11]
	s_cbranch_vccnz .LBB161_9
; %bb.6:
	v_cmp_gt_i32_e32 vcc, s24, v2
	s_and_saveexec_b64 s[10:11], vcc
	s_cbranch_execz .LBB161_9
; %bb.7:
	s_load_dwordx2 s[10:11], s[0:1], 0x18
	s_load_dwordx2 s[14:15], s[0:1], 0x8
	s_mul_hi_i32 s9, s24, s8
	s_mul_i32 s8, s24, s8
	s_lshl_b64 s[8:9], s[8:9], 3
	s_waitcnt lgkmcnt(0)
	s_add_u32 s8, s10, s8
	s_addc_u32 s3, s11, s9
	s_lshl_b64 s[10:11], s[24:25], 2
	s_add_u32 s12, s8, s10
	s_addc_u32 s13, s3, s11
	s_and_b32 s9, s3, 0xffff
	s_mul_i32 s3, s2, s25
	s_mul_hi_u32 s16, s2, s24
	s_add_i32 s3, s16, s3
	s_mul_i32 s2, s2, s24
	s_lshl_b32 s10, s24, 2
	s_and_b32 s13, s13, 0xffff
	s_lshl_b64 s[2:3], s[2:3], 2
	s_add_u32 s16, s14, s2
	s_addc_u32 s14, s15, s3
	s_lshl_b64 s[2:3], s[24:25], 1
	s_add_u32 s20, s16, s2
	s_addc_u32 s2, s14, s3
	s_and_b32 s17, s14, 0xffff
	s_and_b32 s21, s2, 0xffff
	s_mov_b32 s7, 0x20000
	s_add_u32 s2, s0, 48
	s_mov_b32 s11, s7
	v_mov_b32_e32 v3, 0
	s_addc_u32 s3, s1, 0
	s_mov_b64 s[26:27], 0
	s_mov_b32 s18, s6
	s_mov_b32 s19, s7
	;; [unrolled: 1-line block ×6, first 2 shown]
	v_mov_b32_e32 v0, 0x7f800000
	s_mov_b32 s34, 0x7060302
	s_mov_b32 s22, s6
	;; [unrolled: 1-line block ×3, first 2 shown]
.LBB161_8:                              ; =>This Inner Loop Header: Depth=1
	v_lshlrev_b32_e32 v8, 2, v2
	v_lshlrev_b32_e32 v1, 1, v2
	s_mov_b32 s14, s10
	s_mov_b32 s15, s11
	buffer_load_dwordx2 v[4:5], v8, s[8:11], 0 offen
	buffer_load_dword v10, v1, s[16:19], 0 offen
	buffer_load_dword v12, v1, s[20:23], 0 offen
	buffer_load_dwordx2 v[6:7], v8, s[12:15], 0 offen
	s_waitcnt vmcnt(2)
	v_and_b32_e32 v9, 0xffff0000, v10
	v_lshlrev_b32_e32 v8, 16, v10
	v_pk_add_f32 v[4:5], v[4:5], v[8:9]
	s_waitcnt vmcnt(1)
	v_and_b32_e32 v11, 0xffff0000, v12
	v_mul_f32_e32 v8, 0xbfb8aa3b, v5
	v_mul_f32_e32 v9, 0xbfb8aa3b, v4
	v_fma_f32 v10, v5, s30, -v8
	v_rndne_f32_e32 v13, v8
	v_fma_f32 v14, v4, s30, -v9
	v_rndne_f32_e32 v15, v9
	v_fmac_f32_e32 v10, 0xb2a5705f, v5
	v_sub_f32_e32 v8, v8, v13
	v_fmac_f32_e32 v14, 0xb2a5705f, v4
	v_sub_f32_e32 v9, v9, v15
	v_add_f32_e32 v8, v8, v10
	v_add_f32_e32 v9, v9, v14
	v_cvt_i32_f32_e32 v13, v13
	v_cvt_i32_f32_e32 v15, v15
	v_exp_f32_e32 v8, v8
	v_exp_f32_e32 v9, v9
	v_cmp_nlt_f32_e32 vcc, s31, v4
	v_cmp_nlt_f32_e64 s[0:1], s31, v5
	v_ldexp_f32 v8, v8, v13
	v_ldexp_f32 v9, v9, v15
	v_cndmask_b32_e64 v8, 0, v8, s[0:1]
	v_cndmask_b32_e32 v9, 0, v9, vcc
	v_cmp_ngt_f32_e32 vcc, s33, v4
	v_cmp_ngt_f32_e64 s[0:1], s33, v5
	s_nop 0
	v_cndmask_b32_e32 v9, v0, v9, vcc
	v_cndmask_b32_e64 v8, v0, v8, s[0:1]
	v_add_f32_e32 v8, 1.0, v8
	v_add_f32_e32 v10, 1.0, v9
	v_rcp_f32_e32 v9, v8
	v_rcp_f32_e32 v8, v10
	v_lshlrev_b32_e32 v10, 16, v12
	s_waitcnt vmcnt(0)
	v_pk_add_f32 v[6:7], v[6:7], v[10:11]
	v_pk_mul_f32 v[4:5], v[4:5], v[8:9]
	s_nop 0
	;;#ASMSTART
	v_pk_mul_f32 v[4:5], v[4:5], v[6:7]
	;;#ASMEND
	s_load_dword s0, s[2:3], 0xc
	v_perm_b32 v4, v5, v4, s34
	buffer_store_dword v4, v1, s[4:7], 0 offen
	s_waitcnt lgkmcnt(0)
	s_and_b32 s0, s0, 0xffff
	s_lshl_b32 s28, s0, 1
	v_lshl_add_u64 v[2:3], s[28:29], 0, v[2:3]
	v_cmp_le_i64_e32 vcc, s[24:25], v[2:3]
	s_or_b64 s[26:27], vcc, s[26:27]
	s_andn2_b64 exec, exec, s[26:27]
	s_cbranch_execnz .LBB161_8
.LBB161_9:
	s_endpgm
	.section	.rodata,"a",@progbits
	.p2align	6, 0x0
	.amdhsa_kernel _ZN5aiter23act_and_mul_bias_kernelIttsfTnPFfRKT2_EXadL_ZNS_11silu_kernelIfEEfRKT_EELi2EEEvPT0_PS8_PKT1_PS2_il
		.amdhsa_group_segment_fixed_size 0
		.amdhsa_private_segment_fixed_size 0
		.amdhsa_kernarg_size 304
		.amdhsa_user_sgpr_count 2
		.amdhsa_user_sgpr_dispatch_ptr 0
		.amdhsa_user_sgpr_queue_ptr 0
		.amdhsa_user_sgpr_kernarg_segment_ptr 1
		.amdhsa_user_sgpr_dispatch_id 0
		.amdhsa_user_sgpr_kernarg_preload_length 0
		.amdhsa_user_sgpr_kernarg_preload_offset 0
		.amdhsa_user_sgpr_private_segment_size 0
		.amdhsa_uses_dynamic_stack 0
		.amdhsa_enable_private_segment 0
		.amdhsa_system_sgpr_workgroup_id_x 1
		.amdhsa_system_sgpr_workgroup_id_y 0
		.amdhsa_system_sgpr_workgroup_id_z 0
		.amdhsa_system_sgpr_workgroup_info 0
		.amdhsa_system_vgpr_workitem_id 0
		.amdhsa_next_free_vgpr 16
		.amdhsa_next_free_sgpr 35
		.amdhsa_accum_offset 16
		.amdhsa_reserve_vcc 1
		.amdhsa_float_round_mode_32 0
		.amdhsa_float_round_mode_16_64 0
		.amdhsa_float_denorm_mode_32 3
		.amdhsa_float_denorm_mode_16_64 3
		.amdhsa_dx10_clamp 1
		.amdhsa_ieee_mode 1
		.amdhsa_fp16_overflow 0
		.amdhsa_tg_split 0
		.amdhsa_exception_fp_ieee_invalid_op 0
		.amdhsa_exception_fp_denorm_src 0
		.amdhsa_exception_fp_ieee_div_zero 0
		.amdhsa_exception_fp_ieee_overflow 0
		.amdhsa_exception_fp_ieee_underflow 0
		.amdhsa_exception_fp_ieee_inexact 0
		.amdhsa_exception_int_div_zero 0
	.end_amdhsa_kernel
	.section	.text._ZN5aiter23act_and_mul_bias_kernelIttsfTnPFfRKT2_EXadL_ZNS_11silu_kernelIfEEfRKT_EELi2EEEvPT0_PS8_PKT1_PS2_il,"axG",@progbits,_ZN5aiter23act_and_mul_bias_kernelIttsfTnPFfRKT2_EXadL_ZNS_11silu_kernelIfEEfRKT_EELi2EEEvPT0_PS8_PKT1_PS2_il,comdat
.Lfunc_end161:
	.size	_ZN5aiter23act_and_mul_bias_kernelIttsfTnPFfRKT2_EXadL_ZNS_11silu_kernelIfEEfRKT_EELi2EEEvPT0_PS8_PKT1_PS2_il, .Lfunc_end161-_ZN5aiter23act_and_mul_bias_kernelIttsfTnPFfRKT2_EXadL_ZNS_11silu_kernelIfEEfRKT_EELi2EEEvPT0_PS8_PKT1_PS2_il
                                        ; -- End function
	.section	.AMDGPU.csdata,"",@progbits
; Kernel info:
; codeLenInByte = 888
; NumSgprs: 41
; NumVgprs: 16
; NumAgprs: 0
; TotalNumVgprs: 16
; ScratchSize: 0
; MemoryBound: 0
; FloatMode: 240
; IeeeMode: 1
; LDSByteSize: 0 bytes/workgroup (compile time only)
; SGPRBlocks: 5
; VGPRBlocks: 1
; NumSGPRsForWavesPerEU: 41
; NumVGPRsForWavesPerEU: 16
; AccumOffset: 16
; Occupancy: 8
; WaveLimiterHint : 0
; COMPUTE_PGM_RSRC2:SCRATCH_EN: 0
; COMPUTE_PGM_RSRC2:USER_SGPR: 2
; COMPUTE_PGM_RSRC2:TRAP_HANDLER: 0
; COMPUTE_PGM_RSRC2:TGID_X_EN: 1
; COMPUTE_PGM_RSRC2:TGID_Y_EN: 0
; COMPUTE_PGM_RSRC2:TGID_Z_EN: 0
; COMPUTE_PGM_RSRC2:TIDIG_COMP_CNT: 0
; COMPUTE_PGM_RSRC3_GFX90A:ACCUM_OFFSET: 3
; COMPUTE_PGM_RSRC3_GFX90A:TG_SPLIT: 0
	.section	.text._ZN5aiter23act_and_mul_bias_kernelIttsfTnPFfRKT2_EXadL_ZNS_11silu_kernelIfEEfRKT_EELi1EEEvPT0_PS8_PKT1_PS2_il,"axG",@progbits,_ZN5aiter23act_and_mul_bias_kernelIttsfTnPFfRKT2_EXadL_ZNS_11silu_kernelIfEEfRKT_EELi1EEEvPT0_PS8_PKT1_PS2_il,comdat
	.protected	_ZN5aiter23act_and_mul_bias_kernelIttsfTnPFfRKT2_EXadL_ZNS_11silu_kernelIfEEfRKT_EELi1EEEvPT0_PS8_PKT1_PS2_il ; -- Begin function _ZN5aiter23act_and_mul_bias_kernelIttsfTnPFfRKT2_EXadL_ZNS_11silu_kernelIfEEfRKT_EELi1EEEvPT0_PS8_PKT1_PS2_il
	.globl	_ZN5aiter23act_and_mul_bias_kernelIttsfTnPFfRKT2_EXadL_ZNS_11silu_kernelIfEEfRKT_EELi1EEEvPT0_PS8_PKT1_PS2_il
	.p2align	8
	.type	_ZN5aiter23act_and_mul_bias_kernelIttsfTnPFfRKT2_EXadL_ZNS_11silu_kernelIfEEfRKT_EELi1EEEvPT0_PS8_PKT1_PS2_il,@function
_ZN5aiter23act_and_mul_bias_kernelIttsfTnPFfRKT2_EXadL_ZNS_11silu_kernelIfEEfRKT_EELi1EEEvPT0_PS8_PKT1_PS2_il: ; @_ZN5aiter23act_and_mul_bias_kernelIttsfTnPFfRKT2_EXadL_ZNS_11silu_kernelIfEEfRKT_EELi1EEEvPT0_PS8_PKT1_PS2_il
; %bb.0:
	s_load_dword s20, s[0:1], 0x20
	s_load_dwordx2 s[4:5], s[0:1], 0x10
	s_load_dwordx2 s[6:7], s[0:1], 0x28
	s_mov_b32 s3, 0
	s_lshl_b64 s[8:9], s[2:3], 1
	s_waitcnt lgkmcnt(0)
	s_ashr_i32 s21, s20, 31
	s_add_u32 s4, s4, s8
	s_addc_u32 s5, s5, s9
	v_mov_b32_e32 v1, 0
	global_load_ushort v1, v1, s[4:5]
	s_mul_hi_u32 s3, s20, s2
	v_mov_b64_e32 v[2:3], s[6:7]
	s_mul_i32 s6, s21, s2
	s_add_i32 s7, s20, 1
	s_add_i32 s9, s3, s6
	s_lshr_b32 s3, s7, 31
	s_load_dwordx2 s[4:5], s[0:1], 0x0
	s_add_i32 s7, s7, s3
	s_lshl_b32 s3, s7, 1
	s_and_b32 s10, s3, -4
	s_mul_i32 s8, s20, s2
	s_lshl_b64 s[8:9], s[8:9], 1
	s_mov_b64 s[12:13], -1
	s_waitcnt vmcnt(0)
	v_readfirstlane_b32 s3, v1
	s_sext_i32_i16 s6, s3
	s_ashr_i32 s7, s6, 31
	s_waitcnt lgkmcnt(0)
	s_add_u32 s8, s4, s8
	s_addc_u32 s3, s5, s9
	s_and_b32 s9, s3, 0xffff
	s_cmp_gt_i32 s6, -1
	v_cmp_lt_i64_e32 vcc, s[6:7], v[2:3]
	s_cselect_b64 s[4:5], -1, 0
	s_and_b64 s[4:5], s[4:5], vcc
	s_and_b64 vcc, exec, s[4:5]
	v_cmp_gt_i32_e64 s[4:5], s20, v0
	s_cbranch_vccnz .LBB162_5
; %bb.1:
	s_and_saveexec_b64 s[12:13], s[4:5]
	s_cbranch_execz .LBB162_4
; %bb.2:
	s_load_dword s3, s[0:1], 0x3c
	v_mov_b32_e32 v1, 0
	s_mov_b32 s5, 0
	v_lshlrev_b32_e32 v4, 1, v0
	s_mov_b64 s[14:15], 0
	s_waitcnt lgkmcnt(0)
	s_and_b32 s4, s3, 0xffff
	s_lshl_b32 s3, s4, 1
	s_mov_b32 s11, 0x20000
	v_mov_b64_e32 v[2:3], v[0:1]
.LBB162_3:                              ; =>This Inner Loop Header: Depth=1
	v_lshl_add_u64 v[2:3], v[2:3], 0, s[4:5]
	v_cmp_le_i64_e32 vcc, s[20:21], v[2:3]
	buffer_store_short v1, v4, s[8:11], 0 offen
	s_or_b64 s[14:15], vcc, s[14:15]
	v_add_u32_e32 v4, s3, v4
	s_andn2_b64 exec, exec, s[14:15]
	s_cbranch_execnz .LBB162_3
.LBB162_4:
	s_or_b64 exec, exec, s[12:13]
	s_mov_b64 s[12:13], 0
.LBB162_5:
	s_andn2_b64 vcc, exec, s[12:13]
	s_cbranch_vccnz .LBB162_9
; %bb.6:
	v_cmp_gt_i32_e32 vcc, s20, v0
	s_and_saveexec_b64 s[4:5], vcc
	s_cbranch_execz .LBB162_9
; %bb.7:
	s_load_dwordx2 s[12:13], s[0:1], 0x8
	s_load_dwordx2 s[4:5], s[0:1], 0x18
	s_mul_hi_i32 s7, s20, s6
	s_mul_i32 s6, s20, s6
	s_lshl_b64 s[6:7], s[6:7], 3
	s_load_dword s14, s[0:1], 0x3c
	s_waitcnt lgkmcnt(0)
	s_add_u32 s4, s4, s6
	s_addc_u32 s3, s5, s7
	s_lshl_b64 s[0:1], s[20:21], 2
	s_add_u32 s0, s4, s0
	s_addc_u32 s1, s3, s1
	s_and_b32 s5, s3, 0xffff
	s_mul_i32 s3, s2, s21
	s_mul_hi_u32 s15, s2, s20
	s_add_i32 s3, s15, s3
	s_mul_i32 s2, s2, s20
	s_lshl_b32 s6, s20, 2
	s_and_b32 s1, s1, 0xffff
	s_lshl_b64 s[2:3], s[2:3], 2
	s_add_u32 s12, s12, s2
	s_addc_u32 s13, s13, s3
	s_lshl_b64 s[2:3], s[20:21], 1
	s_add_u32 s16, s12, s2
	s_mov_b32 s11, 0x20000
	s_addc_u32 s2, s13, s3
	s_and_b32 s22, s14, 0xffff
	s_mov_b32 s7, s11
	s_and_b32 s13, s13, 0xffff
	s_and_b32 s17, s2, 0xffff
	s_mov_b32 s23, 0
	v_mov_b32_e32 v1, 0
	v_lshlrev_b32_e32 v2, 2, v0
	s_lshl_b32 s26, s22, 2
	v_lshlrev_b32_e32 v3, 1, v0
	s_lshl_b32 s27, s22, 1
	s_mov_b64 s[24:25], 0
	s_mov_b32 s14, s10
	s_mov_b32 s15, s11
	;; [unrolled: 1-line block ×5, first 2 shown]
	v_mov_b32_e32 v4, 0x7f800000
	s_mov_b32 s18, s10
	s_mov_b32 s19, s11
.LBB162_8:                              ; =>This Inner Loop Header: Depth=1
	buffer_load_ushort v5, v3, s[12:15], 0 offen
	buffer_load_ushort v8, v3, s[16:19], 0 offen
	s_mov_b32 s2, s6
	s_mov_b32 s3, s7
	buffer_load_dword v7, v2, s[4:7], 0 offen
	buffer_load_dword v6, v2, s[0:3], 0 offen
	v_lshl_add_u64 v[0:1], v[0:1], 0, s[22:23]
	v_add_u32_e32 v2, s26, v2
	s_waitcnt vmcnt(3)
	v_lshlrev_b32_e32 v9, 16, v5
	s_waitcnt vmcnt(2)
	v_lshlrev_b32_e32 v8, 16, v8
	s_waitcnt vmcnt(0)
	v_pk_add_f32 v[6:7], v[8:9], v[6:7]
	s_nop 0
	v_mul_f32_e32 v5, 0xbfb8aa3b, v7
	v_fma_f32 v8, v7, s28, -v5
	v_rndne_f32_e32 v9, v5
	v_fmac_f32_e32 v8, 0xb2a5705f, v7
	v_sub_f32_e32 v5, v5, v9
	v_add_f32_e32 v5, v5, v8
	v_cvt_i32_f32_e32 v9, v9
	v_exp_f32_e32 v5, v5
	v_cmp_nlt_f32_e32 vcc, s29, v7
	v_ldexp_f32 v5, v5, v9
	s_nop 0
	v_cndmask_b32_e32 v5, 0, v5, vcc
	v_cmp_ngt_f32_e32 vcc, s30, v7
	s_nop 1
	v_cndmask_b32_e32 v5, v4, v5, vcc
	v_add_f32_e32 v5, 1.0, v5
	v_rcp_f32_e32 v5, v5
	v_cmp_le_i64_e32 vcc, s[20:21], v[0:1]
	s_or_b64 s[24:25], vcc, s[24:25]
	v_mul_f32_e32 v5, v7, v5
	v_mul_f32_e32 v5, v6, v5
	v_lshrrev_b32_e32 v5, 16, v5
	buffer_store_short v5, v3, s[8:11], 0 offen
	v_add_u32_e32 v3, s27, v3
	s_andn2_b64 exec, exec, s[24:25]
	s_cbranch_execnz .LBB162_8
.LBB162_9:
	s_endpgm
	.section	.rodata,"a",@progbits
	.p2align	6, 0x0
	.amdhsa_kernel _ZN5aiter23act_and_mul_bias_kernelIttsfTnPFfRKT2_EXadL_ZNS_11silu_kernelIfEEfRKT_EELi1EEEvPT0_PS8_PKT1_PS2_il
		.amdhsa_group_segment_fixed_size 0
		.amdhsa_private_segment_fixed_size 0
		.amdhsa_kernarg_size 304
		.amdhsa_user_sgpr_count 2
		.amdhsa_user_sgpr_dispatch_ptr 0
		.amdhsa_user_sgpr_queue_ptr 0
		.amdhsa_user_sgpr_kernarg_segment_ptr 1
		.amdhsa_user_sgpr_dispatch_id 0
		.amdhsa_user_sgpr_kernarg_preload_length 0
		.amdhsa_user_sgpr_kernarg_preload_offset 0
		.amdhsa_user_sgpr_private_segment_size 0
		.amdhsa_uses_dynamic_stack 0
		.amdhsa_enable_private_segment 0
		.amdhsa_system_sgpr_workgroup_id_x 1
		.amdhsa_system_sgpr_workgroup_id_y 0
		.amdhsa_system_sgpr_workgroup_id_z 0
		.amdhsa_system_sgpr_workgroup_info 0
		.amdhsa_system_vgpr_workitem_id 0
		.amdhsa_next_free_vgpr 10
		.amdhsa_next_free_sgpr 31
		.amdhsa_accum_offset 12
		.amdhsa_reserve_vcc 1
		.amdhsa_float_round_mode_32 0
		.amdhsa_float_round_mode_16_64 0
		.amdhsa_float_denorm_mode_32 3
		.amdhsa_float_denorm_mode_16_64 3
		.amdhsa_dx10_clamp 1
		.amdhsa_ieee_mode 1
		.amdhsa_fp16_overflow 0
		.amdhsa_tg_split 0
		.amdhsa_exception_fp_ieee_invalid_op 0
		.amdhsa_exception_fp_denorm_src 0
		.amdhsa_exception_fp_ieee_div_zero 0
		.amdhsa_exception_fp_ieee_overflow 0
		.amdhsa_exception_fp_ieee_underflow 0
		.amdhsa_exception_fp_ieee_inexact 0
		.amdhsa_exception_int_div_zero 0
	.end_amdhsa_kernel
	.section	.text._ZN5aiter23act_and_mul_bias_kernelIttsfTnPFfRKT2_EXadL_ZNS_11silu_kernelIfEEfRKT_EELi1EEEvPT0_PS8_PKT1_PS2_il,"axG",@progbits,_ZN5aiter23act_and_mul_bias_kernelIttsfTnPFfRKT2_EXadL_ZNS_11silu_kernelIfEEfRKT_EELi1EEEvPT0_PS8_PKT1_PS2_il,comdat
.Lfunc_end162:
	.size	_ZN5aiter23act_and_mul_bias_kernelIttsfTnPFfRKT2_EXadL_ZNS_11silu_kernelIfEEfRKT_EELi1EEEvPT0_PS8_PKT1_PS2_il, .Lfunc_end162-_ZN5aiter23act_and_mul_bias_kernelIttsfTnPFfRKT2_EXadL_ZNS_11silu_kernelIfEEfRKT_EELi1EEEvPT0_PS8_PKT1_PS2_il
                                        ; -- End function
	.section	.AMDGPU.csdata,"",@progbits
; Kernel info:
; codeLenInByte = 752
; NumSgprs: 37
; NumVgprs: 10
; NumAgprs: 0
; TotalNumVgprs: 10
; ScratchSize: 0
; MemoryBound: 0
; FloatMode: 240
; IeeeMode: 1
; LDSByteSize: 0 bytes/workgroup (compile time only)
; SGPRBlocks: 4
; VGPRBlocks: 1
; NumSGPRsForWavesPerEU: 37
; NumVGPRsForWavesPerEU: 10
; AccumOffset: 12
; Occupancy: 8
; WaveLimiterHint : 0
; COMPUTE_PGM_RSRC2:SCRATCH_EN: 0
; COMPUTE_PGM_RSRC2:USER_SGPR: 2
; COMPUTE_PGM_RSRC2:TRAP_HANDLER: 0
; COMPUTE_PGM_RSRC2:TGID_X_EN: 1
; COMPUTE_PGM_RSRC2:TGID_Y_EN: 0
; COMPUTE_PGM_RSRC2:TGID_Z_EN: 0
; COMPUTE_PGM_RSRC2:TIDIG_COMP_CNT: 0
; COMPUTE_PGM_RSRC3_GFX90A:ACCUM_OFFSET: 2
; COMPUTE_PGM_RSRC3_GFX90A:TG_SPLIT: 0
	.section	.text._ZN5aiter23act_and_mul_bias_kernelIftifTnPFfRKT2_EXadL_ZNS_11silu_kernelIfEEfRKT_EELi16EEEvPT0_PS8_PKT1_PS2_il,"axG",@progbits,_ZN5aiter23act_and_mul_bias_kernelIftifTnPFfRKT2_EXadL_ZNS_11silu_kernelIfEEfRKT_EELi16EEEvPT0_PS8_PKT1_PS2_il,comdat
	.protected	_ZN5aiter23act_and_mul_bias_kernelIftifTnPFfRKT2_EXadL_ZNS_11silu_kernelIfEEfRKT_EELi16EEEvPT0_PS8_PKT1_PS2_il ; -- Begin function _ZN5aiter23act_and_mul_bias_kernelIftifTnPFfRKT2_EXadL_ZNS_11silu_kernelIfEEfRKT_EELi16EEEvPT0_PS8_PKT1_PS2_il
	.globl	_ZN5aiter23act_and_mul_bias_kernelIftifTnPFfRKT2_EXadL_ZNS_11silu_kernelIfEEfRKT_EELi16EEEvPT0_PS8_PKT1_PS2_il
	.p2align	8
	.type	_ZN5aiter23act_and_mul_bias_kernelIftifTnPFfRKT2_EXadL_ZNS_11silu_kernelIfEEfRKT_EELi16EEEvPT0_PS8_PKT1_PS2_il,@function
_ZN5aiter23act_and_mul_bias_kernelIftifTnPFfRKT2_EXadL_ZNS_11silu_kernelIfEEfRKT_EELi16EEEvPT0_PS8_PKT1_PS2_il: ; @_ZN5aiter23act_and_mul_bias_kernelIftifTnPFfRKT2_EXadL_ZNS_11silu_kernelIfEEfRKT_EELi16EEEvPT0_PS8_PKT1_PS2_il
; %bb.0:
	s_load_dwordx2 s[4:5], s[0:1], 0x10
	s_load_dword s30, s[0:1], 0x20
	s_load_dwordx2 s[8:9], s[0:1], 0x28
	s_mov_b32 s3, 0
	s_lshl_b64 s[6:7], s[2:3], 2
	s_waitcnt lgkmcnt(0)
	s_add_u32 s6, s4, s6
	s_addc_u32 s7, s5, s7
	s_load_dword s4, s[6:7], 0x0
	s_load_dwordx2 s[10:11], s[0:1], 0x0
	s_ashr_i32 s31, s30, 31
	s_mul_hi_u32 s3, s30, s2
	s_mul_i32 s14, s31, s2
	s_add_i32 s15, s3, s14
	s_mul_i32 s14, s30, s2
	s_waitcnt lgkmcnt(0)
	s_ashr_i32 s5, s4, 31
	s_lshl_b64 s[14:15], s[14:15], 1
	s_add_u32 s36, s10, s14
	s_addc_u32 s3, s11, s15
	s_add_i32 s10, s30, 1
	s_lshr_b32 s11, s10, 31
	v_mov_b64_e32 v[2:3], s[8:9]
	v_cmp_gt_i64_e64 s[12:13], s[4:5], -1
	s_add_i32 s10, s10, s11
	v_cmp_lt_i64_e32 vcc, s[4:5], v[2:3]
	s_lshl_b32 s10, s10, 1
	s_and_b64 s[8:9], s[12:13], vcc
	s_mov_b64 s[6:7], -1
	s_and_b32 s38, s10, -4
	s_and_b32 s37, s3, 0xffff
	s_and_b64 vcc, exec, s[8:9]
	v_lshlrev_b32_e32 v52, 4, v0
	s_cbranch_vccnz .LBB163_5
; %bb.1:
	v_cmp_gt_i32_e32 vcc, s30, v52
	s_and_saveexec_b64 s[6:7], vcc
	s_cbranch_execz .LBB163_4
; %bb.2:
	s_load_dword s3, s[0:1], 0x3c
	s_mov_b32 s9, 0
	s_mov_b32 s12, s9
	;; [unrolled: 1-line block ×3, first 2 shown]
	v_mov_b32_e32 v53, 0
	v_lshlrev_b32_e32 v6, 5, v0
	s_waitcnt lgkmcnt(0)
	s_and_b32 s3, s3, 0xffff
	s_mov_b32 s14, s9
	s_mov_b32 s15, s9
	v_mov_b64_e32 v[0:1], s[12:13]
	s_lshl_b32 s8, s3, 4
	s_lshl_b32 s3, s3, 5
	s_mov_b64 s[10:11], 0
	s_mov_b32 s39, 0x20000
	v_mov_b64_e32 v[2:3], s[14:15]
	v_mov_b64_e32 v[4:5], v[52:53]
.LBB163_3:                              ; =>This Inner Loop Header: Depth=1
	v_lshl_add_u64 v[4:5], s[8:9], 0, v[4:5]
	v_cmp_le_i64_e32 vcc, s[30:31], v[4:5]
	buffer_store_dwordx4 v[0:3], v6, s[36:39], 0 offen
	buffer_store_dwordx4 v[0:3], v6, s[36:39], 16 offen
	s_or_b64 s[10:11], vcc, s[10:11]
	v_add_u32_e32 v6, s3, v6
	s_andn2_b64 exec, exec, s[10:11]
	s_cbranch_execnz .LBB163_3
.LBB163_4:
	s_or_b64 exec, exec, s[6:7]
	s_mov_b64 s[6:7], 0
.LBB163_5:
	s_andn2_b64 vcc, exec, s[6:7]
	s_cbranch_vccnz .LBB163_9
; %bb.6:
	v_cmp_gt_i32_e32 vcc, s30, v52
	s_and_saveexec_b64 s[6:7], vcc
	s_cbranch_execz .LBB163_9
; %bb.7:
	s_load_dwordx2 s[6:7], s[0:1], 0x8
	s_load_dwordx2 s[8:9], s[0:1], 0x18
	s_mul_hi_i32 s5, s30, s4
	s_mul_i32 s4, s30, s4
	s_lshl_b32 s42, s30, 2
	s_lshl_b64 s[4:5], s[4:5], 3
	s_waitcnt lgkmcnt(0)
	s_add_u32 s44, s8, s4
	s_addc_u32 s3, s9, s5
	s_lshl_b64 s[4:5], s[30:31], 2
	s_add_u32 s40, s44, s4
	s_addc_u32 s8, s3, s5
	s_and_b32 s45, s3, 0xffff
	s_and_b32 s41, s8, 0xffff
	s_mul_i32 s3, s2, s31
	s_mul_hi_u32 s8, s2, s30
	s_add_i32 s3, s8, s3
	s_mul_i32 s2, s2, s30
	s_lshl_b64 s[2:3], s[2:3], 3
	s_add_u32 s48, s6, s2
	s_addc_u32 s2, s7, s3
	s_add_u32 s52, s48, s4
	s_addc_u32 s3, s2, s5
	s_and_b32 s49, s2, 0xffff
	s_and_b32 s53, s3, 0xffff
	s_mov_b32 s39, 0x20000
	s_add_u32 s34, s0, 48
	s_mov_b32 s43, s39
	v_mov_b32_e32 v53, 0
	s_addc_u32 s35, s1, 0
	s_mov_b64 s[56:57], 0
	s_mov_b32 s50, s42
	s_mov_b32 s51, s39
	s_mov_b32 s59, 0
	s_mov_b32 s33, 0xbfb8aa3b
	s_mov_b32 s60, 0x42ce8ed0
	s_mov_b32 s61, 0xc2b17218
	v_mov_b32_e32 v54, 0x7f800000
	s_mov_b32 s62, 0x7060302
	s_mov_b32 s54, s42
	s_mov_b32 s55, s39
	s_mov_b32 s46, s42
	s_mov_b32 s47, s39
.LBB163_8:                              ; =>This Inner Loop Header: Depth=1
	v_lshlrev_b32_e32 v55, 2, v52
	buffer_load_dwordx4 v[24:27], v55, s[40:43], 0 offen
	buffer_load_dwordx4 v[36:39], v55, s[52:55], 0 offen
	buffer_load_dwordx4 v[32:35], v55, s[44:47], 0 offen
	buffer_load_dwordx4 v[28:31], v55, s[52:55], 16 offen
	buffer_load_dwordx4 v[44:47], v55, s[40:43], 16 offen
	buffer_load_dwordx4 v[48:51], v55, s[48:51], 0 offen
	buffer_load_dwordx4 v[40:43], v55, s[48:51], 16 offen
	buffer_load_dwordx4 v[56:59], v55, s[44:47], 16 offen
	buffer_load_dwordx4 v[4:7], v55, s[52:55], 32 offen
	buffer_load_dwordx4 v[0:3], v55, s[52:55], 48 offen
	buffer_load_dwordx4 v[8:11], v55, s[44:47], 32 offen
	buffer_load_dwordx4 v[20:23], v55, s[40:43], 32 offen
	buffer_load_dwordx4 v[12:15], v55, s[40:43], 48 offen
	buffer_load_dwordx4 v[60:63], v55, s[48:51], 32 offen
	buffer_load_dwordx4 v[16:19], v55, s[48:51], 48 offen
	s_waitcnt vmcnt(13)
	v_pk_add_f32 v[38:39], v[38:39], v[26:27]
	v_pk_add_f32 v[36:37], v[36:37], v[24:25]
	buffer_load_dwordx4 v[24:27], v55, s[44:47], 48 offen
	s_waitcnt vmcnt(11)
	v_pk_add_f32 v[28:29], v[28:29], v[44:45]
	s_waitcnt vmcnt(10)
	v_pk_add_f32 v[32:33], v[48:49], v[32:33]
	v_pk_add_f32 v[34:35], v[50:51], v[34:35]
	s_waitcnt vmcnt(8)
	v_pk_add_f32 v[42:43], v[42:43], v[58:59]
	v_pk_add_f32 v[40:41], v[40:41], v[56:57]
	v_pk_add_f32 v[30:31], v[30:31], v[46:47]
	v_cmp_nlt_f32_e32 vcc, s60, v34
	s_waitcnt vmcnt(4)
	v_pk_add_f32 v[6:7], v[6:7], v[22:23]
	s_waitcnt vmcnt(3)
	v_pk_add_f32 v[2:3], v[2:3], v[14:15]
	;; [unrolled: 2-line block ×3, first 2 shown]
	v_pk_add_f32 v[4:5], v[4:5], v[20:21]
	v_pk_add_f32 v[0:1], v[0:1], v[12:13]
	v_mul_f32_e32 v20, 0xbfb8aa3b, v40
	v_mul_f32_e32 v21, 0xbfb8aa3b, v41
	;; [unrolled: 1-line block ×4, first 2 shown]
	v_pk_add_f32 v[10:11], v[62:63], v[10:11]
	v_fma_f32 v59, v40, s33, -v20
	v_rndne_f32_e32 v60, v20
	v_fma_f32 v61, v41, s33, -v21
	v_rndne_f32_e32 v62, v21
	;; [unrolled: 2-line block ×4, first 2 shown]
	v_fmac_f32_e32 v59, 0xb2a5705f, v40
	v_sub_f32_e32 v20, v20, v60
	v_fmac_f32_e32 v61, 0xb2a5705f, v41
	v_sub_f32_e32 v21, v21, v62
	v_fmac_f32_e32 v63, 0xb2a5705f, v42
	v_sub_f32_e32 v22, v22, v64
	v_fmac_f32_e32 v65, 0xb2a5705f, v43
	v_sub_f32_e32 v23, v23, v66
	v_add_f32_e32 v20, v20, v59
	v_add_f32_e32 v21, v21, v61
	;; [unrolled: 1-line block ×4, first 2 shown]
	v_cvt_i32_f32_e32 v60, v60
	v_cvt_i32_f32_e32 v62, v62
	;; [unrolled: 1-line block ×4, first 2 shown]
	v_exp_f32_e32 v20, v20
	v_exp_f32_e32 v21, v21
	;; [unrolled: 1-line block ×4, first 2 shown]
	v_ldexp_f32 v20, v20, v60
	v_ldexp_f32 v21, v21, v62
	;; [unrolled: 1-line block ×4, first 2 shown]
	v_cmp_nlt_f32_e64 s[0:1], s60, v35
	v_cmp_nlt_f32_e64 s[2:3], s60, v40
	;; [unrolled: 1-line block ×11, first 2 shown]
	v_cndmask_b32_e64 v20, 0, v20, s[2:3]
	v_cmp_ngt_f32_e64 s[2:3], s61, v40
	v_cndmask_b32_e64 v21, 0, v21, s[4:5]
	v_cmp_ngt_f32_e64 s[4:5], s61, v41
	;; [unrolled: 2-line block ×4, first 2 shown]
	v_cndmask_b32_e64 v20, v54, v20, s[2:3]
	v_cndmask_b32_e64 v21, v54, v21, s[4:5]
	;; [unrolled: 1-line block ×4, first 2 shown]
	v_add_f32_e32 v20, 1.0, v20
	v_add_f32_e32 v21, 1.0, v21
	;; [unrolled: 1-line block ×4, first 2 shown]
	v_rcp_f32_e32 v20, v20
	v_rcp_f32_e32 v21, v21
	;; [unrolled: 1-line block ×3, first 2 shown]
	s_waitcnt vmcnt(0)
	v_pk_add_f32 v[14:15], v[16:17], v[24:25]
	v_mul_f32_e32 v16, 0xbfb8aa3b, v32
	v_fma_f32 v48, v32, s33, -v16
	v_rndne_f32_e32 v49, v16
	v_pk_add_f32 v[12:13], v[18:19], v[26:27]
	v_mul_f32_e32 v17, 0xbfb8aa3b, v33
	v_mul_f32_e32 v18, 0xbfb8aa3b, v34
	;; [unrolled: 1-line block ×4, first 2 shown]
	v_fmac_f32_e32 v48, 0xb2a5705f, v32
	v_sub_f32_e32 v16, v16, v49
	v_fma_f32 v50, v33, s33, -v17
	v_rndne_f32_e32 v51, v17
	v_fma_f32 v55, v34, s33, -v18
	v_rndne_f32_e32 v56, v18
	;; [unrolled: 2-line block ×3, first 2 shown]
	v_fma_f32 v67, v8, s33, -v24
	v_add_f32_e32 v16, v16, v48
	v_rndne_f32_e32 v48, v24
	v_mul_f32_e32 v25, 0xbfb8aa3b, v9
	v_mul_f32_e32 v26, 0xbfb8aa3b, v10
	;; [unrolled: 1-line block ×4, first 2 shown]
	v_fmac_f32_e32 v50, 0xb2a5705f, v33
	v_sub_f32_e32 v17, v17, v51
	v_fmac_f32_e32 v55, 0xb2a5705f, v34
	v_sub_f32_e32 v18, v18, v56
	;; [unrolled: 2-line block ×4, first 2 shown]
	v_add_f32_e32 v17, v17, v50
	v_fma_f32 v50, v9, s33, -v25
	v_add_f32_e32 v18, v18, v55
	v_rndne_f32_e32 v55, v25
	v_add_f32_e32 v19, v19, v57
	v_fma_f32 v57, v10, s33, -v26
	v_rndne_f32_e32 v59, v26
	v_fma_f32 v61, v11, s33, -v27
	v_rndne_f32_e32 v63, v27
	v_fma_f32 v65, v14, s33, -v44
	v_add_f32_e32 v24, v24, v67
	v_rndne_f32_e32 v67, v44
	v_mul_f32_e32 v45, 0xbfb8aa3b, v15
	v_mul_f32_e32 v46, 0xbfb8aa3b, v12
	v_fmac_f32_e32 v50, 0xb2a5705f, v9
	v_sub_f32_e32 v25, v25, v55
	v_fmac_f32_e32 v57, 0xb2a5705f, v10
	v_sub_f32_e32 v26, v26, v59
	;; [unrolled: 2-line block ×4, first 2 shown]
	v_add_f32_e32 v25, v25, v50
	v_fma_f32 v50, v15, s33, -v45
	v_add_f32_e32 v26, v26, v57
	v_rndne_f32_e32 v57, v45
	v_add_f32_e32 v27, v27, v61
	v_fma_f32 v61, v12, s33, -v46
	v_add_f32_e32 v44, v44, v65
	v_rndne_f32_e32 v65, v46
	v_mul_f32_e32 v47, 0xbfb8aa3b, v13
	v_fmac_f32_e32 v50, 0xb2a5705f, v15
	v_sub_f32_e32 v45, v45, v57
	v_fmac_f32_e32 v61, 0xb2a5705f, v12
	v_sub_f32_e32 v46, v46, v65
	v_add_f32_e32 v45, v45, v50
	v_fma_f32 v50, v13, s33, -v47
	v_add_f32_e32 v46, v46, v61
	v_rndne_f32_e32 v61, v47
	v_fmac_f32_e32 v50, 0xb2a5705f, v13
	v_sub_f32_e32 v47, v47, v61
	v_add_f32_e32 v47, v47, v50
	v_cvt_i32_f32_e32 v49, v49
	v_cvt_i32_f32_e32 v51, v51
	;; [unrolled: 1-line block ×8, first 2 shown]
	v_exp_f32_e32 v16, v16
	v_exp_f32_e32 v17, v17
	;; [unrolled: 1-line block ×8, first 2 shown]
	v_cvt_i32_f32_e32 v67, v67
	v_cvt_i32_f32_e32 v57, v57
	;; [unrolled: 1-line block ×4, first 2 shown]
	v_exp_f32_e32 v44, v44
	v_exp_f32_e32 v45, v45
	;; [unrolled: 1-line block ×4, first 2 shown]
	v_ldexp_f32 v16, v16, v49
	v_ldexp_f32 v17, v17, v51
	;; [unrolled: 1-line block ×11, first 2 shown]
	v_cmp_nlt_f32_e64 s[18:19], s60, v14
	v_cmp_nlt_f32_e64 s[20:21], s60, v15
	;; [unrolled: 1-line block ×3, first 2 shown]
	v_ldexp_f32 v47, v47, v61
	v_cmp_nlt_f32_e64 s[24:25], s60, v13
	v_cndmask_b32_e64 v17, 0, v17, s[28:29]
	v_cmp_ngt_f32_e64 s[28:29], s61, v33
	v_cndmask_b32_e32 v18, 0, v18, vcc
	v_cmp_ngt_f32_e32 vcc, s61, v34
	v_cndmask_b32_e64 v16, 0, v16, s[26:27]
	v_cndmask_b32_e64 v19, 0, v19, s[0:1]
	v_cmp_ngt_f32_e64 s[0:1], s61, v35
	v_cndmask_b32_e64 v24, 0, v24, s[10:11]
	v_cmp_ngt_f32_e64 s[10:11], s61, v8
	;; [unrolled: 2-line block ×5, first 2 shown]
	v_cmp_ngt_f32_e64 s[26:27], s61, v32
	v_cndmask_b32_e64 v44, 0, v44, s[18:19]
	v_cmp_ngt_f32_e64 s[18:19], s61, v14
	v_cndmask_b32_e64 v45, 0, v45, s[20:21]
	;; [unrolled: 2-line block ×5, first 2 shown]
	v_cndmask_b32_e64 v17, v54, v17, s[28:29]
	v_cndmask_b32_e32 v18, v54, v18, vcc
	v_cndmask_b32_e64 v19, v54, v19, s[0:1]
	v_cndmask_b32_e64 v24, v54, v24, s[10:11]
	;; [unrolled: 1-line block ×9, first 2 shown]
	v_add_f32_e32 v16, 1.0, v16
	v_add_f32_e32 v17, 1.0, v17
	;; [unrolled: 1-line block ×12, first 2 shown]
	v_rcp_f32_e32 v16, v16
	v_rcp_f32_e32 v17, v17
	;; [unrolled: 1-line block ×13, first 2 shown]
	v_pk_mul_f32 v[16:17], v[32:33], v[16:17]
	v_pk_mul_f32 v[18:19], v[34:35], v[18:19]
	;; [unrolled: 1-line block ×8, first 2 shown]
	;;#ASMSTART
	v_pk_mul_f32 v[16:17], v[16:17], v[36:37]
	;;#ASMEND
	;;#ASMSTART
	v_pk_mul_f32 v[18:19], v[18:19], v[38:39]
	;;#ASMEND
	;;#ASMSTART
	v_pk_mul_f32 v[20:21], v[20:21], v[28:29]
	;;#ASMEND
	;;#ASMSTART
	v_pk_mul_f32 v[22:23], v[22:23], v[30:31]
	;;#ASMEND
	;;#ASMSTART
	v_pk_mul_f32 v[8:9], v[8:9], v[4:5]
	;;#ASMEND
	;;#ASMSTART
	v_pk_mul_f32 v[4:5], v[10:11], v[6:7]
	;;#ASMEND
	;;#ASMSTART
	v_pk_mul_f32 v[10:11], v[14:15], v[0:1]
	;;#ASMEND
	s_nop 0
	;;#ASMSTART
	v_pk_mul_f32 v[6:7], v[12:13], v[2:3]
	;;#ASMEND
	s_load_dword s0, s[34:35], 0xc
	v_lshlrev_b32_e32 v50, 1, v52
	v_perm_b32 v1, v19, v18, s62
	v_perm_b32 v3, v23, v22, s62
	;; [unrolled: 1-line block ×3, first 2 shown]
	s_waitcnt lgkmcnt(0)
	s_and_b32 s0, s0, 0xffff
	s_lshl_b32 s58, s0, 4
	v_lshl_add_u64 v[52:53], s[58:59], 0, v[52:53]
	v_cmp_le_i64_e32 vcc, s[30:31], v[52:53]
	v_perm_b32 v2, v21, v20, s62
	v_perm_b32 v5, v5, v4, s62
	;; [unrolled: 1-line block ×5, first 2 shown]
	s_or_b64 s[56:57], vcc, s[56:57]
	buffer_store_dwordx4 v[0:3], v50, s[36:39], 0 offen
	buffer_store_dwordx4 v[4:7], v50, s[36:39], 16 offen
	s_andn2_b64 exec, exec, s[56:57]
	s_cbranch_execnz .LBB163_8
.LBB163_9:
	s_endpgm
	.section	.rodata,"a",@progbits
	.p2align	6, 0x0
	.amdhsa_kernel _ZN5aiter23act_and_mul_bias_kernelIftifTnPFfRKT2_EXadL_ZNS_11silu_kernelIfEEfRKT_EELi16EEEvPT0_PS8_PKT1_PS2_il
		.amdhsa_group_segment_fixed_size 0
		.amdhsa_private_segment_fixed_size 0
		.amdhsa_kernarg_size 304
		.amdhsa_user_sgpr_count 2
		.amdhsa_user_sgpr_dispatch_ptr 0
		.amdhsa_user_sgpr_queue_ptr 0
		.amdhsa_user_sgpr_kernarg_segment_ptr 1
		.amdhsa_user_sgpr_dispatch_id 0
		.amdhsa_user_sgpr_kernarg_preload_length 0
		.amdhsa_user_sgpr_kernarg_preload_offset 0
		.amdhsa_user_sgpr_private_segment_size 0
		.amdhsa_uses_dynamic_stack 0
		.amdhsa_enable_private_segment 0
		.amdhsa_system_sgpr_workgroup_id_x 1
		.amdhsa_system_sgpr_workgroup_id_y 0
		.amdhsa_system_sgpr_workgroup_id_z 0
		.amdhsa_system_sgpr_workgroup_info 0
		.amdhsa_system_vgpr_workitem_id 0
		.amdhsa_next_free_vgpr 68
		.amdhsa_next_free_sgpr 63
		.amdhsa_accum_offset 68
		.amdhsa_reserve_vcc 1
		.amdhsa_float_round_mode_32 0
		.amdhsa_float_round_mode_16_64 0
		.amdhsa_float_denorm_mode_32 3
		.amdhsa_float_denorm_mode_16_64 3
		.amdhsa_dx10_clamp 1
		.amdhsa_ieee_mode 1
		.amdhsa_fp16_overflow 0
		.amdhsa_tg_split 0
		.amdhsa_exception_fp_ieee_invalid_op 0
		.amdhsa_exception_fp_denorm_src 0
		.amdhsa_exception_fp_ieee_div_zero 0
		.amdhsa_exception_fp_ieee_overflow 0
		.amdhsa_exception_fp_ieee_underflow 0
		.amdhsa_exception_fp_ieee_inexact 0
		.amdhsa_exception_int_div_zero 0
	.end_amdhsa_kernel
	.section	.text._ZN5aiter23act_and_mul_bias_kernelIftifTnPFfRKT2_EXadL_ZNS_11silu_kernelIfEEfRKT_EELi16EEEvPT0_PS8_PKT1_PS2_il,"axG",@progbits,_ZN5aiter23act_and_mul_bias_kernelIftifTnPFfRKT2_EXadL_ZNS_11silu_kernelIfEEfRKT_EELi16EEEvPT0_PS8_PKT1_PS2_il,comdat
.Lfunc_end163:
	.size	_ZN5aiter23act_and_mul_bias_kernelIftifTnPFfRKT2_EXadL_ZNS_11silu_kernelIfEEfRKT_EELi16EEEvPT0_PS8_PKT1_PS2_il, .Lfunc_end163-_ZN5aiter23act_and_mul_bias_kernelIftifTnPFfRKT2_EXadL_ZNS_11silu_kernelIfEEfRKT_EELi16EEEvPT0_PS8_PKT1_PS2_il
                                        ; -- End function
	.section	.AMDGPU.csdata,"",@progbits
; Kernel info:
; codeLenInByte = 2564
; NumSgprs: 69
; NumVgprs: 68
; NumAgprs: 0
; TotalNumVgprs: 68
; ScratchSize: 0
; MemoryBound: 0
; FloatMode: 240
; IeeeMode: 1
; LDSByteSize: 0 bytes/workgroup (compile time only)
; SGPRBlocks: 8
; VGPRBlocks: 8
; NumSGPRsForWavesPerEU: 69
; NumVGPRsForWavesPerEU: 68
; AccumOffset: 68
; Occupancy: 7
; WaveLimiterHint : 0
; COMPUTE_PGM_RSRC2:SCRATCH_EN: 0
; COMPUTE_PGM_RSRC2:USER_SGPR: 2
; COMPUTE_PGM_RSRC2:TRAP_HANDLER: 0
; COMPUTE_PGM_RSRC2:TGID_X_EN: 1
; COMPUTE_PGM_RSRC2:TGID_Y_EN: 0
; COMPUTE_PGM_RSRC2:TGID_Z_EN: 0
; COMPUTE_PGM_RSRC2:TIDIG_COMP_CNT: 0
; COMPUTE_PGM_RSRC3_GFX90A:ACCUM_OFFSET: 16
; COMPUTE_PGM_RSRC3_GFX90A:TG_SPLIT: 0
	.section	.text._ZN5aiter23act_and_mul_bias_kernelIftifTnPFfRKT2_EXadL_ZNS_11silu_kernelIfEEfRKT_EELi8EEEvPT0_PS8_PKT1_PS2_il,"axG",@progbits,_ZN5aiter23act_and_mul_bias_kernelIftifTnPFfRKT2_EXadL_ZNS_11silu_kernelIfEEfRKT_EELi8EEEvPT0_PS8_PKT1_PS2_il,comdat
	.protected	_ZN5aiter23act_and_mul_bias_kernelIftifTnPFfRKT2_EXadL_ZNS_11silu_kernelIfEEfRKT_EELi8EEEvPT0_PS8_PKT1_PS2_il ; -- Begin function _ZN5aiter23act_and_mul_bias_kernelIftifTnPFfRKT2_EXadL_ZNS_11silu_kernelIfEEfRKT_EELi8EEEvPT0_PS8_PKT1_PS2_il
	.globl	_ZN5aiter23act_and_mul_bias_kernelIftifTnPFfRKT2_EXadL_ZNS_11silu_kernelIfEEfRKT_EELi8EEEvPT0_PS8_PKT1_PS2_il
	.p2align	8
	.type	_ZN5aiter23act_and_mul_bias_kernelIftifTnPFfRKT2_EXadL_ZNS_11silu_kernelIfEEfRKT_EELi8EEEvPT0_PS8_PKT1_PS2_il,@function
_ZN5aiter23act_and_mul_bias_kernelIftifTnPFfRKT2_EXadL_ZNS_11silu_kernelIfEEfRKT_EELi8EEEvPT0_PS8_PKT1_PS2_il: ; @_ZN5aiter23act_and_mul_bias_kernelIftifTnPFfRKT2_EXadL_ZNS_11silu_kernelIfEEfRKT_EELi8EEEvPT0_PS8_PKT1_PS2_il
; %bb.0:
	s_load_dwordx2 s[4:5], s[0:1], 0x10
	s_load_dword s14, s[0:1], 0x20
	s_load_dwordx2 s[8:9], s[0:1], 0x28
	s_mov_b32 s3, 0
	s_lshl_b64 s[6:7], s[2:3], 2
	s_waitcnt lgkmcnt(0)
	s_add_u32 s6, s4, s6
	s_addc_u32 s7, s5, s7
	s_load_dword s4, s[6:7], 0x0
	s_load_dwordx2 s[10:11], s[0:1], 0x0
	s_ashr_i32 s15, s14, 31
	s_mul_hi_u32 s3, s14, s2
	s_mul_i32 s16, s15, s2
	s_add_i32 s17, s3, s16
	s_mul_i32 s16, s14, s2
	s_waitcnt lgkmcnt(0)
	s_ashr_i32 s5, s4, 31
	s_lshl_b64 s[16:17], s[16:17], 1
	s_add_u32 s16, s10, s16
	s_addc_u32 s3, s11, s17
	s_add_i32 s10, s14, 1
	s_lshr_b32 s11, s10, 31
	v_mov_b64_e32 v[2:3], s[8:9]
	v_cmp_gt_i64_e64 s[12:13], s[4:5], -1
	s_add_i32 s10, s10, s11
	v_cmp_lt_i64_e32 vcc, s[4:5], v[2:3]
	s_lshl_b32 s10, s10, 1
	s_and_b64 s[8:9], s[12:13], vcc
	s_mov_b64 s[6:7], -1
	s_and_b32 s18, s10, -4
	s_and_b32 s17, s3, 0xffff
	s_and_b64 vcc, exec, s[8:9]
	v_lshlrev_b32_e32 v4, 3, v0
	s_cbranch_vccnz .LBB164_5
; %bb.1:
	v_cmp_gt_i32_e32 vcc, s14, v4
	s_and_saveexec_b64 s[6:7], vcc
	s_cbranch_execz .LBB164_4
; %bb.2:
	s_load_dword s3, s[0:1], 0x3c
	v_mov_b32_e32 v5, 0
	s_mov_b32 s9, 0
	v_lshlrev_b32_e32 v8, 4, v0
	s_mov_b64 s[10:11], 0
	s_waitcnt lgkmcnt(0)
	s_and_b32 s3, s3, 0xffff
	s_lshl_b32 s8, s3, 3
	s_lshl_b32 s3, s3, 4
	s_mov_b32 s19, 0x20000
	v_mov_b32_e32 v0, v5
	v_mov_b32_e32 v1, v5
	;; [unrolled: 1-line block ×4, first 2 shown]
	v_mov_b64_e32 v[6:7], v[4:5]
.LBB164_3:                              ; =>This Inner Loop Header: Depth=1
	v_lshl_add_u64 v[6:7], s[8:9], 0, v[6:7]
	v_cmp_le_i64_e32 vcc, s[14:15], v[6:7]
	buffer_store_dwordx4 v[0:3], v8, s[16:19], 0 offen
	s_or_b64 s[10:11], vcc, s[10:11]
	v_add_u32_e32 v8, s3, v8
	s_andn2_b64 exec, exec, s[10:11]
	s_cbranch_execnz .LBB164_3
.LBB164_4:
	s_or_b64 exec, exec, s[6:7]
	s_mov_b64 s[6:7], 0
.LBB164_5:
	s_andn2_b64 vcc, exec, s[6:7]
	s_cbranch_vccnz .LBB164_9
; %bb.6:
	v_cmp_gt_i32_e32 vcc, s14, v4
	s_and_saveexec_b64 s[6:7], vcc
	s_cbranch_execz .LBB164_9
; %bb.7:
	s_load_dwordx2 s[6:7], s[0:1], 0x8
	s_load_dwordx2 s[8:9], s[0:1], 0x18
	s_mul_hi_i32 s5, s14, s4
	s_mul_i32 s4, s14, s4
	s_lshl_b32 s22, s14, 2
	s_lshl_b64 s[4:5], s[4:5], 3
	s_waitcnt lgkmcnt(0)
	s_add_u32 s24, s8, s4
	s_addc_u32 s3, s9, s5
	s_lshl_b64 s[4:5], s[14:15], 2
	s_add_u32 s20, s24, s4
	s_addc_u32 s8, s3, s5
	s_and_b32 s25, s3, 0xffff
	s_and_b32 s21, s8, 0xffff
	s_mul_i32 s3, s2, s15
	s_mul_hi_u32 s8, s2, s14
	s_add_i32 s3, s8, s3
	s_mul_i32 s2, s2, s14
	s_lshl_b64 s[2:3], s[2:3], 3
	s_add_u32 s28, s6, s2
	s_addc_u32 s2, s7, s3
	s_add_u32 s36, s28, s4
	s_addc_u32 s3, s2, s5
	s_and_b32 s29, s2, 0xffff
	s_and_b32 s37, s3, 0xffff
	s_mov_b32 s19, 0x20000
	s_add_u32 s34, s0, 48
	s_mov_b32 s23, s19
	v_mov_b32_e32 v5, 0
	s_addc_u32 s35, s1, 0
	s_mov_b64 s[40:41], 0
	s_mov_b32 s30, s22
	s_mov_b32 s31, s19
	;; [unrolled: 1-line block ×6, first 2 shown]
	v_mov_b32_e32 v10, 0x7f800000
	s_mov_b32 s46, 0x7060302
	s_mov_b32 s38, s22
	;; [unrolled: 1-line block ×5, first 2 shown]
.LBB164_8:                              ; =>This Inner Loop Header: Depth=1
	v_lshlrev_b32_e32 v0, 2, v4
	buffer_load_dwordx4 v[6:9], v0, s[20:23], 0 offen
	buffer_load_dwordx4 v[12:15], v0, s[36:39], 0 offen
	;; [unrolled: 1-line block ×8, first 2 shown]
	v_lshlrev_b32_e32 v11, 1, v4
	s_waitcnt vmcnt(6)
	v_pk_add_f32 v[0:1], v[14:15], v[8:9]
	v_pk_add_f32 v[2:3], v[12:13], v[6:7]
	s_waitcnt vmcnt(4)
	v_pk_add_f32 v[14:15], v[16:17], v[20:21]
	v_pk_add_f32 v[12:13], v[18:19], v[22:23]
	v_mul_f32_e32 v20, 0xbfb8aa3b, v14
	v_mul_f32_e32 v21, 0xbfb8aa3b, v15
	s_waitcnt vmcnt(0)
	v_pk_add_f32 v[16:17], v[34:35], v[38:39]
	v_pk_add_f32 v[18:19], v[32:33], v[36:37]
	;; [unrolled: 1-line block ×4, first 2 shown]
	v_mul_f32_e32 v22, 0xbfb8aa3b, v12
	v_mul_f32_e32 v23, 0xbfb8aa3b, v13
	;; [unrolled: 1-line block ×6, first 2 shown]
	v_fma_f32 v28, v14, s33, -v20
	v_rndne_f32_e32 v29, v20
	v_fma_f32 v30, v15, s33, -v21
	v_rndne_f32_e32 v31, v21
	;; [unrolled: 2-line block ×8, first 2 shown]
	v_fmac_f32_e32 v28, 0xb2a5705f, v14
	v_sub_f32_e32 v20, v20, v29
	v_fmac_f32_e32 v30, 0xb2a5705f, v15
	v_sub_f32_e32 v21, v21, v31
	v_fmac_f32_e32 v32, 0xb2a5705f, v12
	v_sub_f32_e32 v22, v22, v33
	v_fmac_f32_e32 v34, 0xb2a5705f, v13
	v_sub_f32_e32 v23, v23, v35
	v_fmac_f32_e32 v36, 0xb2a5705f, v18
	v_sub_f32_e32 v24, v24, v37
	v_fmac_f32_e32 v38, 0xb2a5705f, v19
	v_sub_f32_e32 v25, v25, v39
	v_fmac_f32_e32 v40, 0xb2a5705f, v16
	v_sub_f32_e32 v26, v26, v41
	v_fmac_f32_e32 v42, 0xb2a5705f, v17
	v_sub_f32_e32 v27, v27, v43
	v_add_f32_e32 v20, v20, v28
	v_add_f32_e32 v21, v21, v30
	v_cvt_i32_f32_e32 v29, v29
	v_cvt_i32_f32_e32 v31, v31
	v_add_f32_e32 v22, v22, v32
	v_add_f32_e32 v23, v23, v34
	;; [unrolled: 1-line block ×6, first 2 shown]
	v_exp_f32_e32 v20, v20
	v_exp_f32_e32 v21, v21
	v_cvt_i32_f32_e32 v33, v33
	v_cvt_i32_f32_e32 v35, v35
	;; [unrolled: 1-line block ×6, first 2 shown]
	v_exp_f32_e32 v22, v22
	v_exp_f32_e32 v23, v23
	;; [unrolled: 1-line block ×6, first 2 shown]
	v_ldexp_f32 v20, v20, v29
	v_ldexp_f32 v21, v21, v31
	v_cmp_nlt_f32_e32 vcc, s44, v15
	v_cmp_nlt_f32_e64 s[12:13], s44, v14
	v_ldexp_f32 v22, v22, v33
	v_cmp_nlt_f32_e64 s[0:1], s44, v12
	v_ldexp_f32 v23, v23, v35
	;; [unrolled: 2-line block ×6, first 2 shown]
	v_cmp_nlt_f32_e64 s[10:11], s44, v17
	v_cndmask_b32_e64 v20, 0, v20, s[12:13]
	v_cndmask_b32_e32 v21, 0, v21, vcc
	v_cmp_ngt_f32_e32 vcc, s45, v15
	v_cmp_ngt_f32_e64 s[12:13], s45, v14
	v_cndmask_b32_e64 v22, 0, v22, s[0:1]
	v_cmp_ngt_f32_e64 s[0:1], s45, v12
	v_cndmask_b32_e64 v23, 0, v23, s[2:3]
	;; [unrolled: 2-line block ×7, first 2 shown]
	v_cndmask_b32_e32 v21, v10, v21, vcc
	v_cndmask_b32_e64 v22, v10, v22, s[0:1]
	v_cndmask_b32_e64 v23, v10, v23, s[2:3]
	;; [unrolled: 1-line block ×6, first 2 shown]
	v_add_f32_e32 v20, 1.0, v20
	v_add_f32_e32 v21, 1.0, v21
	;; [unrolled: 1-line block ×8, first 2 shown]
	v_rcp_f32_e32 v20, v20
	v_rcp_f32_e32 v21, v21
	;; [unrolled: 1-line block ×8, first 2 shown]
	v_pk_mul_f32 v[14:15], v[14:15], v[20:21]
	v_pk_mul_f32 v[12:13], v[12:13], v[22:23]
	;; [unrolled: 1-line block ×4, first 2 shown]
	;;#ASMSTART
	v_pk_mul_f32 v[14:15], v[14:15], v[2:3]
	;;#ASMEND
	;;#ASMSTART
	v_pk_mul_f32 v[0:1], v[12:13], v[0:1]
	;;#ASMEND
	;; [unrolled: 3-line block ×3, first 2 shown]
	s_nop 0
	;;#ASMSTART
	v_pk_mul_f32 v[2:3], v[16:17], v[6:7]
	;;#ASMEND
	s_load_dword s0, s[34:35], 0xc
	v_perm_b32 v1, v1, v0, s46
	v_perm_b32 v3, v3, v2, s46
	;; [unrolled: 1-line block ×4, first 2 shown]
	s_waitcnt lgkmcnt(0)
	s_and_b32 s0, s0, 0xffff
	s_lshl_b32 s42, s0, 3
	v_lshl_add_u64 v[4:5], s[42:43], 0, v[4:5]
	v_cmp_le_i64_e32 vcc, s[14:15], v[4:5]
	s_or_b64 s[40:41], vcc, s[40:41]
	buffer_store_dwordx4 v[0:3], v11, s[16:19], 0 offen
	s_andn2_b64 exec, exec, s[40:41]
	s_cbranch_execnz .LBB164_8
.LBB164_9:
	s_endpgm
	.section	.rodata,"a",@progbits
	.p2align	6, 0x0
	.amdhsa_kernel _ZN5aiter23act_and_mul_bias_kernelIftifTnPFfRKT2_EXadL_ZNS_11silu_kernelIfEEfRKT_EELi8EEEvPT0_PS8_PKT1_PS2_il
		.amdhsa_group_segment_fixed_size 0
		.amdhsa_private_segment_fixed_size 0
		.amdhsa_kernarg_size 304
		.amdhsa_user_sgpr_count 2
		.amdhsa_user_sgpr_dispatch_ptr 0
		.amdhsa_user_sgpr_queue_ptr 0
		.amdhsa_user_sgpr_kernarg_segment_ptr 1
		.amdhsa_user_sgpr_dispatch_id 0
		.amdhsa_user_sgpr_kernarg_preload_length 0
		.amdhsa_user_sgpr_kernarg_preload_offset 0
		.amdhsa_user_sgpr_private_segment_size 0
		.amdhsa_uses_dynamic_stack 0
		.amdhsa_enable_private_segment 0
		.amdhsa_system_sgpr_workgroup_id_x 1
		.amdhsa_system_sgpr_workgroup_id_y 0
		.amdhsa_system_sgpr_workgroup_id_z 0
		.amdhsa_system_sgpr_workgroup_info 0
		.amdhsa_system_vgpr_workitem_id 0
		.amdhsa_next_free_vgpr 44
		.amdhsa_next_free_sgpr 47
		.amdhsa_accum_offset 44
		.amdhsa_reserve_vcc 1
		.amdhsa_float_round_mode_32 0
		.amdhsa_float_round_mode_16_64 0
		.amdhsa_float_denorm_mode_32 3
		.amdhsa_float_denorm_mode_16_64 3
		.amdhsa_dx10_clamp 1
		.amdhsa_ieee_mode 1
		.amdhsa_fp16_overflow 0
		.amdhsa_tg_split 0
		.amdhsa_exception_fp_ieee_invalid_op 0
		.amdhsa_exception_fp_denorm_src 0
		.amdhsa_exception_fp_ieee_div_zero 0
		.amdhsa_exception_fp_ieee_overflow 0
		.amdhsa_exception_fp_ieee_underflow 0
		.amdhsa_exception_fp_ieee_inexact 0
		.amdhsa_exception_int_div_zero 0
	.end_amdhsa_kernel
	.section	.text._ZN5aiter23act_and_mul_bias_kernelIftifTnPFfRKT2_EXadL_ZNS_11silu_kernelIfEEfRKT_EELi8EEEvPT0_PS8_PKT1_PS2_il,"axG",@progbits,_ZN5aiter23act_and_mul_bias_kernelIftifTnPFfRKT2_EXadL_ZNS_11silu_kernelIfEEfRKT_EELi8EEEvPT0_PS8_PKT1_PS2_il,comdat
.Lfunc_end164:
	.size	_ZN5aiter23act_and_mul_bias_kernelIftifTnPFfRKT2_EXadL_ZNS_11silu_kernelIfEEfRKT_EELi8EEEvPT0_PS8_PKT1_PS2_il, .Lfunc_end164-_ZN5aiter23act_and_mul_bias_kernelIftifTnPFfRKT2_EXadL_ZNS_11silu_kernelIfEEfRKT_EELi8EEEvPT0_PS8_PKT1_PS2_il
                                        ; -- End function
	.section	.AMDGPU.csdata,"",@progbits
; Kernel info:
; codeLenInByte = 1560
; NumSgprs: 53
; NumVgprs: 44
; NumAgprs: 0
; TotalNumVgprs: 44
; ScratchSize: 0
; MemoryBound: 0
; FloatMode: 240
; IeeeMode: 1
; LDSByteSize: 0 bytes/workgroup (compile time only)
; SGPRBlocks: 6
; VGPRBlocks: 5
; NumSGPRsForWavesPerEU: 53
; NumVGPRsForWavesPerEU: 44
; AccumOffset: 44
; Occupancy: 8
; WaveLimiterHint : 0
; COMPUTE_PGM_RSRC2:SCRATCH_EN: 0
; COMPUTE_PGM_RSRC2:USER_SGPR: 2
; COMPUTE_PGM_RSRC2:TRAP_HANDLER: 0
; COMPUTE_PGM_RSRC2:TGID_X_EN: 1
; COMPUTE_PGM_RSRC2:TGID_Y_EN: 0
; COMPUTE_PGM_RSRC2:TGID_Z_EN: 0
; COMPUTE_PGM_RSRC2:TIDIG_COMP_CNT: 0
; COMPUTE_PGM_RSRC3_GFX90A:ACCUM_OFFSET: 10
; COMPUTE_PGM_RSRC3_GFX90A:TG_SPLIT: 0
	.section	.text._ZN5aiter23act_and_mul_bias_kernelIftifTnPFfRKT2_EXadL_ZNS_11silu_kernelIfEEfRKT_EELi4EEEvPT0_PS8_PKT1_PS2_il,"axG",@progbits,_ZN5aiter23act_and_mul_bias_kernelIftifTnPFfRKT2_EXadL_ZNS_11silu_kernelIfEEfRKT_EELi4EEEvPT0_PS8_PKT1_PS2_il,comdat
	.protected	_ZN5aiter23act_and_mul_bias_kernelIftifTnPFfRKT2_EXadL_ZNS_11silu_kernelIfEEfRKT_EELi4EEEvPT0_PS8_PKT1_PS2_il ; -- Begin function _ZN5aiter23act_and_mul_bias_kernelIftifTnPFfRKT2_EXadL_ZNS_11silu_kernelIfEEfRKT_EELi4EEEvPT0_PS8_PKT1_PS2_il
	.globl	_ZN5aiter23act_and_mul_bias_kernelIftifTnPFfRKT2_EXadL_ZNS_11silu_kernelIfEEfRKT_EELi4EEEvPT0_PS8_PKT1_PS2_il
	.p2align	8
	.type	_ZN5aiter23act_and_mul_bias_kernelIftifTnPFfRKT2_EXadL_ZNS_11silu_kernelIfEEfRKT_EELi4EEEvPT0_PS8_PKT1_PS2_il,@function
_ZN5aiter23act_and_mul_bias_kernelIftifTnPFfRKT2_EXadL_ZNS_11silu_kernelIfEEfRKT_EELi4EEEvPT0_PS8_PKT1_PS2_il: ; @_ZN5aiter23act_and_mul_bias_kernelIftifTnPFfRKT2_EXadL_ZNS_11silu_kernelIfEEfRKT_EELi4EEEvPT0_PS8_PKT1_PS2_il
; %bb.0:
	s_load_dwordx2 s[4:5], s[0:1], 0x10
	s_load_dword s6, s[0:1], 0x20
	s_load_dwordx2 s[14:15], s[0:1], 0x28
	s_mov_b32 s3, 0
	s_lshl_b64 s[8:9], s[2:3], 2
	s_waitcnt lgkmcnt(0)
	s_add_u32 s8, s4, s8
	s_addc_u32 s9, s5, s9
	s_load_dword s4, s[8:9], 0x0
	s_load_dwordx2 s[10:11], s[0:1], 0x0
	s_ashr_i32 s7, s6, 31
	s_mul_hi_u32 s3, s6, s2
	s_mul_i32 s8, s7, s2
	s_add_i32 s9, s3, s8
	s_mul_i32 s8, s6, s2
	s_waitcnt lgkmcnt(0)
	s_ashr_i32 s5, s4, 31
	s_lshl_b64 s[8:9], s[8:9], 1
	s_add_u32 s8, s10, s8
	s_addc_u32 s3, s11, s9
	s_add_i32 s9, s6, 1
	s_lshr_b32 s10, s9, 31
	v_mov_b64_e32 v[2:3], s[14:15]
	v_cmp_gt_i64_e64 s[16:17], s[4:5], -1
	s_add_i32 s9, s9, s10
	v_cmp_lt_i64_e32 vcc, s[4:5], v[2:3]
	s_lshl_b32 s9, s9, 1
	s_and_b64 s[14:15], s[16:17], vcc
	s_mov_b64 s[12:13], -1
	s_and_b32 s10, s9, -4
	s_and_b32 s9, s3, 0xffff
	s_and_b64 vcc, exec, s[14:15]
	v_lshlrev_b32_e32 v2, 2, v0
	s_cbranch_vccnz .LBB165_5
; %bb.1:
	v_cmp_gt_i32_e32 vcc, s6, v2
	s_and_saveexec_b64 s[12:13], vcc
	s_cbranch_execz .LBB165_4
; %bb.2:
	s_load_dword s3, s[0:1], 0x3c
	v_mov_b32_e32 v3, 0
	s_mov_b32 s15, 0
	v_lshlrev_b32_e32 v6, 3, v0
	s_mov_b64 s[16:17], 0
	s_waitcnt lgkmcnt(0)
	s_and_b32 s3, s3, 0xffff
	s_lshl_b32 s14, s3, 2
	s_lshl_b32 s3, s3, 3
	s_mov_b32 s11, 0x20000
	v_mov_b32_e32 v0, v3
	v_mov_b32_e32 v1, v3
	v_mov_b64_e32 v[4:5], v[2:3]
.LBB165_3:                              ; =>This Inner Loop Header: Depth=1
	v_lshl_add_u64 v[4:5], s[14:15], 0, v[4:5]
	v_cmp_le_i64_e32 vcc, s[6:7], v[4:5]
	buffer_store_dwordx2 v[0:1], v6, s[8:11], 0 offen
	s_or_b64 s[16:17], vcc, s[16:17]
	v_add_u32_e32 v6, s3, v6
	s_andn2_b64 exec, exec, s[16:17]
	s_cbranch_execnz .LBB165_3
.LBB165_4:
	s_or_b64 exec, exec, s[12:13]
	s_mov_b64 s[12:13], 0
.LBB165_5:
	s_andn2_b64 vcc, exec, s[12:13]
	s_cbranch_vccnz .LBB165_9
; %bb.6:
	v_cmp_gt_i32_e32 vcc, s6, v2
	s_and_saveexec_b64 s[12:13], vcc
	s_cbranch_execz .LBB165_9
; %bb.7:
	s_load_dwordx2 s[18:19], s[0:1], 0x8
	s_load_dwordx2 s[12:13], s[0:1], 0x18
	s_mul_hi_i32 s5, s6, s4
	s_mul_i32 s4, s6, s4
	s_lshl_b32 s14, s6, 2
	s_lshl_b64 s[4:5], s[4:5], 3
	s_waitcnt lgkmcnt(0)
	s_add_u32 s16, s12, s4
	s_addc_u32 s3, s13, s5
	s_lshl_b64 s[4:5], s[6:7], 2
	s_add_u32 s12, s16, s4
	s_addc_u32 s13, s3, s5
	s_and_b32 s17, s3, 0xffff
	s_mul_i32 s3, s2, s7
	s_mul_hi_u32 s20, s2, s6
	s_add_i32 s3, s20, s3
	s_mul_i32 s2, s2, s6
	s_and_b32 s13, s13, 0xffff
	s_lshl_b64 s[2:3], s[2:3], 3
	s_add_u32 s20, s18, s2
	s_addc_u32 s2, s19, s3
	s_add_u32 s24, s20, s4
	s_addc_u32 s3, s2, s5
	s_and_b32 s21, s2, 0xffff
	s_and_b32 s25, s3, 0xffff
	s_mov_b32 s11, 0x20000
	s_add_u32 s28, s0, 48
	s_mov_b32 s15, s11
	v_mov_b32_e32 v3, 0
	s_addc_u32 s29, s1, 0
	s_mov_b64 s[30:31], 0
	s_mov_b32 s22, s14
	s_mov_b32 s23, s11
	s_mov_b32 s35, 0
	s_mov_b32 s33, 0xbfb8aa3b
	s_mov_b32 s36, 0x42ce8ed0
	s_mov_b32 s37, 0xc2b17218
	v_mov_b32_e32 v0, 0x7f800000
	s_mov_b32 s38, 0x7060302
	s_mov_b32 s26, s14
	s_mov_b32 s27, s11
	s_mov_b32 s18, s14
	s_mov_b32 s19, s11
.LBB165_8:                              ; =>This Inner Loop Header: Depth=1
	v_lshlrev_b32_e32 v1, 2, v2
	buffer_load_dwordx4 v[4:7], v1, s[20:23], 0 offen
	buffer_load_dwordx4 v[8:11], v1, s[24:27], 0 offen
	;; [unrolled: 1-line block ×4, first 2 shown]
	s_waitcnt vmcnt(1)
	v_pk_add_f32 v[6:7], v[6:7], v[14:15]
	v_pk_add_f32 v[4:5], v[4:5], v[12:13]
	v_mul_f32_e32 v13, 0xbfb8aa3b, v6
	v_mul_f32_e32 v1, 0xbfb8aa3b, v4
	;; [unrolled: 1-line block ×4, first 2 shown]
	s_waitcnt vmcnt(0)
	v_pk_add_f32 v[10:11], v[10:11], v[18:19]
	v_pk_add_f32 v[8:9], v[8:9], v[16:17]
	v_fma_f32 v15, v4, s33, -v1
	v_rndne_f32_e32 v16, v1
	v_fma_f32 v17, v5, s33, -v12
	v_rndne_f32_e32 v18, v12
	v_fma_f32 v19, v6, s33, -v13
	v_rndne_f32_e32 v20, v13
	v_fma_f32 v21, v7, s33, -v14
	v_rndne_f32_e32 v22, v14
	v_fmac_f32_e32 v15, 0xb2a5705f, v4
	v_sub_f32_e32 v1, v1, v16
	v_fmac_f32_e32 v17, 0xb2a5705f, v5
	v_sub_f32_e32 v12, v12, v18
	;; [unrolled: 2-line block ×4, first 2 shown]
	v_add_f32_e32 v1, v1, v15
	v_add_f32_e32 v12, v12, v17
	;; [unrolled: 1-line block ×4, first 2 shown]
	v_cvt_i32_f32_e32 v16, v16
	v_cvt_i32_f32_e32 v18, v18
	;; [unrolled: 1-line block ×4, first 2 shown]
	v_exp_f32_e32 v1, v1
	v_exp_f32_e32 v12, v12
	;; [unrolled: 1-line block ×4, first 2 shown]
	v_ldexp_f32 v1, v1, v16
	v_ldexp_f32 v12, v12, v18
	v_cmp_nlt_f32_e32 vcc, s36, v5
	v_ldexp_f32 v13, v13, v20
	v_cmp_nlt_f32_e64 s[0:1], s36, v6
	v_ldexp_f32 v14, v14, v22
	v_cmp_nlt_f32_e64 s[2:3], s36, v7
	v_cmp_nlt_f32_e64 s[4:5], s36, v4
	v_cndmask_b32_e32 v12, 0, v12, vcc
	v_cmp_ngt_f32_e32 vcc, s37, v5
	v_cndmask_b32_e64 v1, 0, v1, s[4:5]
	v_cndmask_b32_e64 v13, 0, v13, s[0:1]
	v_cmp_ngt_f32_e64 s[0:1], s37, v6
	v_cndmask_b32_e64 v14, 0, v14, s[2:3]
	v_cmp_ngt_f32_e64 s[2:3], s37, v7
	v_cmp_ngt_f32_e64 s[4:5], s37, v4
	v_cndmask_b32_e32 v12, v0, v12, vcc
	v_cndmask_b32_e64 v13, v0, v13, s[0:1]
	v_cndmask_b32_e64 v1, v0, v1, s[4:5]
	;; [unrolled: 1-line block ×3, first 2 shown]
	v_add_f32_e32 v1, 1.0, v1
	v_add_f32_e32 v15, 1.0, v12
	;; [unrolled: 1-line block ×4, first 2 shown]
	v_rcp_f32_e32 v12, v1
	v_rcp_f32_e32 v13, v15
	;; [unrolled: 1-line block ×4, first 2 shown]
	v_lshlrev_b32_e32 v1, 1, v2
	v_pk_mul_f32 v[4:5], v[4:5], v[12:13]
	v_pk_mul_f32 v[6:7], v[6:7], v[14:15]
	;;#ASMSTART
	v_pk_mul_f32 v[4:5], v[4:5], v[8:9]
	;;#ASMEND
	s_nop 0
	;;#ASMSTART
	v_pk_mul_f32 v[6:7], v[6:7], v[10:11]
	;;#ASMEND
	s_load_dword s0, s[28:29], 0xc
	v_perm_b32 v7, v7, v6, s38
	v_perm_b32 v6, v5, v4, s38
	buffer_store_dwordx2 v[6:7], v1, s[8:11], 0 offen
	s_waitcnt lgkmcnt(0)
	s_and_b32 s0, s0, 0xffff
	s_lshl_b32 s34, s0, 2
	v_lshl_add_u64 v[2:3], s[34:35], 0, v[2:3]
	v_cmp_le_i64_e32 vcc, s[6:7], v[2:3]
	s_or_b64 s[30:31], vcc, s[30:31]
	s_andn2_b64 exec, exec, s[30:31]
	s_cbranch_execnz .LBB165_8
.LBB165_9:
	s_endpgm
	.section	.rodata,"a",@progbits
	.p2align	6, 0x0
	.amdhsa_kernel _ZN5aiter23act_and_mul_bias_kernelIftifTnPFfRKT2_EXadL_ZNS_11silu_kernelIfEEfRKT_EELi4EEEvPT0_PS8_PKT1_PS2_il
		.amdhsa_group_segment_fixed_size 0
		.amdhsa_private_segment_fixed_size 0
		.amdhsa_kernarg_size 304
		.amdhsa_user_sgpr_count 2
		.amdhsa_user_sgpr_dispatch_ptr 0
		.amdhsa_user_sgpr_queue_ptr 0
		.amdhsa_user_sgpr_kernarg_segment_ptr 1
		.amdhsa_user_sgpr_dispatch_id 0
		.amdhsa_user_sgpr_kernarg_preload_length 0
		.amdhsa_user_sgpr_kernarg_preload_offset 0
		.amdhsa_user_sgpr_private_segment_size 0
		.amdhsa_uses_dynamic_stack 0
		.amdhsa_enable_private_segment 0
		.amdhsa_system_sgpr_workgroup_id_x 1
		.amdhsa_system_sgpr_workgroup_id_y 0
		.amdhsa_system_sgpr_workgroup_id_z 0
		.amdhsa_system_sgpr_workgroup_info 0
		.amdhsa_system_vgpr_workitem_id 0
		.amdhsa_next_free_vgpr 23
		.amdhsa_next_free_sgpr 39
		.amdhsa_accum_offset 24
		.amdhsa_reserve_vcc 1
		.amdhsa_float_round_mode_32 0
		.amdhsa_float_round_mode_16_64 0
		.amdhsa_float_denorm_mode_32 3
		.amdhsa_float_denorm_mode_16_64 3
		.amdhsa_dx10_clamp 1
		.amdhsa_ieee_mode 1
		.amdhsa_fp16_overflow 0
		.amdhsa_tg_split 0
		.amdhsa_exception_fp_ieee_invalid_op 0
		.amdhsa_exception_fp_denorm_src 0
		.amdhsa_exception_fp_ieee_div_zero 0
		.amdhsa_exception_fp_ieee_overflow 0
		.amdhsa_exception_fp_ieee_underflow 0
		.amdhsa_exception_fp_ieee_inexact 0
		.amdhsa_exception_int_div_zero 0
	.end_amdhsa_kernel
	.section	.text._ZN5aiter23act_and_mul_bias_kernelIftifTnPFfRKT2_EXadL_ZNS_11silu_kernelIfEEfRKT_EELi4EEEvPT0_PS8_PKT1_PS2_il,"axG",@progbits,_ZN5aiter23act_and_mul_bias_kernelIftifTnPFfRKT2_EXadL_ZNS_11silu_kernelIfEEfRKT_EELi4EEEvPT0_PS8_PKT1_PS2_il,comdat
.Lfunc_end165:
	.size	_ZN5aiter23act_and_mul_bias_kernelIftifTnPFfRKT2_EXadL_ZNS_11silu_kernelIfEEfRKT_EELi4EEEvPT0_PS8_PKT1_PS2_il, .Lfunc_end165-_ZN5aiter23act_and_mul_bias_kernelIftifTnPFfRKT2_EXadL_ZNS_11silu_kernelIfEEfRKT_EELi4EEEvPT0_PS8_PKT1_PS2_il
                                        ; -- End function
	.section	.AMDGPU.csdata,"",@progbits
; Kernel info:
; codeLenInByte = 1068
; NumSgprs: 45
; NumVgprs: 23
; NumAgprs: 0
; TotalNumVgprs: 23
; ScratchSize: 0
; MemoryBound: 0
; FloatMode: 240
; IeeeMode: 1
; LDSByteSize: 0 bytes/workgroup (compile time only)
; SGPRBlocks: 5
; VGPRBlocks: 2
; NumSGPRsForWavesPerEU: 45
; NumVGPRsForWavesPerEU: 23
; AccumOffset: 24
; Occupancy: 8
; WaveLimiterHint : 0
; COMPUTE_PGM_RSRC2:SCRATCH_EN: 0
; COMPUTE_PGM_RSRC2:USER_SGPR: 2
; COMPUTE_PGM_RSRC2:TRAP_HANDLER: 0
; COMPUTE_PGM_RSRC2:TGID_X_EN: 1
; COMPUTE_PGM_RSRC2:TGID_Y_EN: 0
; COMPUTE_PGM_RSRC2:TGID_Z_EN: 0
; COMPUTE_PGM_RSRC2:TIDIG_COMP_CNT: 0
; COMPUTE_PGM_RSRC3_GFX90A:ACCUM_OFFSET: 5
; COMPUTE_PGM_RSRC3_GFX90A:TG_SPLIT: 0
	.section	.text._ZN5aiter23act_and_mul_bias_kernelIftifTnPFfRKT2_EXadL_ZNS_11silu_kernelIfEEfRKT_EELi2EEEvPT0_PS8_PKT1_PS2_il,"axG",@progbits,_ZN5aiter23act_and_mul_bias_kernelIftifTnPFfRKT2_EXadL_ZNS_11silu_kernelIfEEfRKT_EELi2EEEvPT0_PS8_PKT1_PS2_il,comdat
	.protected	_ZN5aiter23act_and_mul_bias_kernelIftifTnPFfRKT2_EXadL_ZNS_11silu_kernelIfEEfRKT_EELi2EEEvPT0_PS8_PKT1_PS2_il ; -- Begin function _ZN5aiter23act_and_mul_bias_kernelIftifTnPFfRKT2_EXadL_ZNS_11silu_kernelIfEEfRKT_EELi2EEEvPT0_PS8_PKT1_PS2_il
	.globl	_ZN5aiter23act_and_mul_bias_kernelIftifTnPFfRKT2_EXadL_ZNS_11silu_kernelIfEEfRKT_EELi2EEEvPT0_PS8_PKT1_PS2_il
	.p2align	8
	.type	_ZN5aiter23act_and_mul_bias_kernelIftifTnPFfRKT2_EXadL_ZNS_11silu_kernelIfEEfRKT_EELi2EEEvPT0_PS8_PKT1_PS2_il,@function
_ZN5aiter23act_and_mul_bias_kernelIftifTnPFfRKT2_EXadL_ZNS_11silu_kernelIfEEfRKT_EELi2EEEvPT0_PS8_PKT1_PS2_il: ; @_ZN5aiter23act_and_mul_bias_kernelIftifTnPFfRKT2_EXadL_ZNS_11silu_kernelIfEEfRKT_EELi2EEEvPT0_PS8_PKT1_PS2_il
; %bb.0:
	s_load_dwordx2 s[4:5], s[0:1], 0x10
	s_load_dword s24, s[0:1], 0x20
	s_load_dwordx2 s[12:13], s[0:1], 0x28
	s_mov_b32 s3, 0
	s_lshl_b64 s[6:7], s[2:3], 2
	s_waitcnt lgkmcnt(0)
	s_add_u32 s4, s4, s6
	s_addc_u32 s5, s5, s7
	s_load_dword s8, s[4:5], 0x0
	s_load_dwordx2 s[6:7], s[0:1], 0x0
	s_ashr_i32 s25, s24, 31
	s_mul_hi_u32 s3, s24, s2
	s_mul_i32 s4, s25, s2
	s_add_i32 s5, s3, s4
	s_mul_i32 s4, s24, s2
	s_waitcnt lgkmcnt(0)
	s_ashr_i32 s9, s8, 31
	s_lshl_b64 s[4:5], s[4:5], 1
	s_add_u32 s4, s6, s4
	s_addc_u32 s3, s7, s5
	s_add_i32 s5, s24, 1
	s_lshr_b32 s6, s5, 31
	v_mov_b64_e32 v[2:3], s[12:13]
	v_cmp_gt_i64_e64 s[14:15], s[8:9], -1
	s_add_i32 s5, s5, s6
	v_cmp_lt_i64_e32 vcc, s[8:9], v[2:3]
	s_lshl_b32 s5, s5, 1
	s_and_b64 s[12:13], s[14:15], vcc
	s_mov_b64 s[10:11], -1
	s_and_b32 s6, s5, -4
	s_and_b32 s5, s3, 0xffff
	s_and_b64 vcc, exec, s[12:13]
	v_lshlrev_b32_e32 v2, 1, v0
	s_cbranch_vccnz .LBB166_5
; %bb.1:
	v_cmp_gt_i32_e32 vcc, s24, v2
	s_and_saveexec_b64 s[10:11], vcc
	s_cbranch_execz .LBB166_4
; %bb.2:
	s_load_dword s3, s[0:1], 0x3c
	v_mov_b32_e32 v3, 0
	s_mov_b32 s13, 0
	v_lshlrev_b32_e32 v4, 2, v0
	s_mov_b64 s[14:15], 0
	s_waitcnt lgkmcnt(0)
	s_and_b32 s3, s3, 0xffff
	s_lshl_b32 s12, s3, 1
	s_lshl_b32 s3, s3, 2
	s_mov_b32 s7, 0x20000
	v_mov_b64_e32 v[0:1], v[2:3]
.LBB166_3:                              ; =>This Inner Loop Header: Depth=1
	v_lshl_add_u64 v[0:1], s[12:13], 0, v[0:1]
	v_cmp_le_i64_e32 vcc, s[24:25], v[0:1]
	buffer_store_dword v3, v4, s[4:7], 0 offen
	s_or_b64 s[14:15], vcc, s[14:15]
	v_add_u32_e32 v4, s3, v4
	s_andn2_b64 exec, exec, s[14:15]
	s_cbranch_execnz .LBB166_3
.LBB166_4:
	s_or_b64 exec, exec, s[10:11]
	s_mov_b64 s[10:11], 0
.LBB166_5:
	s_andn2_b64 vcc, exec, s[10:11]
	s_cbranch_vccnz .LBB166_9
; %bb.6:
	v_cmp_gt_i32_e32 vcc, s24, v2
	s_and_saveexec_b64 s[10:11], vcc
	s_cbranch_execz .LBB166_9
; %bb.7:
	s_load_dwordx2 s[14:15], s[0:1], 0x8
	s_load_dwordx2 s[12:13], s[0:1], 0x18
	s_mul_hi_i32 s9, s24, s8
	s_mul_i32 s8, s24, s8
	s_lshl_b32 s10, s24, 2
	s_lshl_b64 s[8:9], s[8:9], 3
	s_waitcnt lgkmcnt(0)
	s_add_u32 s12, s12, s8
	s_addc_u32 s3, s13, s9
	s_lshl_b64 s[18:19], s[24:25], 2
	s_add_u32 s8, s12, s18
	s_addc_u32 s9, s3, s19
	s_and_b32 s13, s3, 0xffff
	s_mul_i32 s3, s2, s25
	s_mul_hi_u32 s16, s2, s24
	s_add_i32 s3, s16, s3
	s_mul_i32 s2, s2, s24
	s_and_b32 s9, s9, 0xffff
	s_lshl_b64 s[2:3], s[2:3], 3
	s_add_u32 s16, s14, s2
	s_addc_u32 s2, s15, s3
	s_add_u32 s20, s16, s18
	s_addc_u32 s3, s2, s19
	s_and_b32 s17, s2, 0xffff
	s_and_b32 s21, s3, 0xffff
	s_mov_b32 s7, 0x20000
	s_add_u32 s2, s0, 48
	s_mov_b32 s11, s7
	v_mov_b32_e32 v3, 0
	s_addc_u32 s3, s1, 0
	s_mov_b64 s[26:27], 0
	s_mov_b32 s18, s10
	s_mov_b32 s19, s7
	;; [unrolled: 1-line block ×6, first 2 shown]
	v_mov_b32_e32 v0, 0x7f800000
	s_mov_b32 s34, 0x7060302
	s_mov_b32 s22, s10
	;; [unrolled: 1-line block ×5, first 2 shown]
.LBB166_8:                              ; =>This Inner Loop Header: Depth=1
	v_lshlrev_b32_e32 v1, 2, v2
	buffer_load_dwordx2 v[4:5], v1, s[12:15], 0 offen
	buffer_load_dwordx2 v[6:7], v1, s[16:19], 0 offen
	;; [unrolled: 1-line block ×4, first 2 shown]
	s_waitcnt vmcnt(2)
	v_pk_add_f32 v[4:5], v[6:7], v[4:5]
	s_nop 0
	v_mul_f32_e32 v1, 0xbfb8aa3b, v5
	v_mul_f32_e32 v6, 0xbfb8aa3b, v4
	v_fma_f32 v7, v5, s30, -v1
	v_rndne_f32_e32 v12, v1
	v_fma_f32 v13, v4, s30, -v6
	v_rndne_f32_e32 v14, v6
	v_fmac_f32_e32 v7, 0xb2a5705f, v5
	v_sub_f32_e32 v1, v1, v12
	v_fmac_f32_e32 v13, 0xb2a5705f, v4
	v_sub_f32_e32 v6, v6, v14
	v_add_f32_e32 v1, v1, v7
	v_add_f32_e32 v6, v6, v13
	v_cvt_i32_f32_e32 v12, v12
	v_cvt_i32_f32_e32 v14, v14
	v_exp_f32_e32 v1, v1
	v_exp_f32_e32 v6, v6
	v_cmp_nlt_f32_e32 vcc, s31, v4
	v_cmp_nlt_f32_e64 s[0:1], s31, v5
	v_ldexp_f32 v1, v1, v12
	v_ldexp_f32 v6, v6, v14
	v_cndmask_b32_e64 v1, 0, v1, s[0:1]
	v_cndmask_b32_e32 v6, 0, v6, vcc
	v_cmp_ngt_f32_e32 vcc, s33, v4
	v_cmp_ngt_f32_e64 s[0:1], s33, v5
	s_waitcnt vmcnt(0)
	v_pk_add_f32 v[8:9], v[8:9], v[10:11]
	v_cndmask_b32_e32 v6, v0, v6, vcc
	v_cndmask_b32_e64 v1, v0, v1, s[0:1]
	v_add_f32_e32 v1, 1.0, v1
	v_add_f32_e32 v6, 1.0, v6
	v_rcp_f32_e32 v7, v1
	v_rcp_f32_e32 v6, v6
	v_lshlrev_b32_e32 v1, 1, v2
	v_pk_mul_f32 v[4:5], v[4:5], v[6:7]
	s_nop 0
	;;#ASMSTART
	v_pk_mul_f32 v[4:5], v[4:5], v[8:9]
	;;#ASMEND
	s_load_dword s0, s[2:3], 0xc
	v_perm_b32 v4, v5, v4, s34
	buffer_store_dword v4, v1, s[4:7], 0 offen
	s_waitcnt lgkmcnt(0)
	s_and_b32 s0, s0, 0xffff
	s_lshl_b32 s28, s0, 1
	v_lshl_add_u64 v[2:3], s[28:29], 0, v[2:3]
	v_cmp_le_i64_e32 vcc, s[24:25], v[2:3]
	s_or_b64 s[26:27], vcc, s[26:27]
	s_andn2_b64 exec, exec, s[26:27]
	s_cbranch_execnz .LBB166_8
.LBB166_9:
	s_endpgm
	.section	.rodata,"a",@progbits
	.p2align	6, 0x0
	.amdhsa_kernel _ZN5aiter23act_and_mul_bias_kernelIftifTnPFfRKT2_EXadL_ZNS_11silu_kernelIfEEfRKT_EELi2EEEvPT0_PS8_PKT1_PS2_il
		.amdhsa_group_segment_fixed_size 0
		.amdhsa_private_segment_fixed_size 0
		.amdhsa_kernarg_size 304
		.amdhsa_user_sgpr_count 2
		.amdhsa_user_sgpr_dispatch_ptr 0
		.amdhsa_user_sgpr_queue_ptr 0
		.amdhsa_user_sgpr_kernarg_segment_ptr 1
		.amdhsa_user_sgpr_dispatch_id 0
		.amdhsa_user_sgpr_kernarg_preload_length 0
		.amdhsa_user_sgpr_kernarg_preload_offset 0
		.amdhsa_user_sgpr_private_segment_size 0
		.amdhsa_uses_dynamic_stack 0
		.amdhsa_enable_private_segment 0
		.amdhsa_system_sgpr_workgroup_id_x 1
		.amdhsa_system_sgpr_workgroup_id_y 0
		.amdhsa_system_sgpr_workgroup_id_z 0
		.amdhsa_system_sgpr_workgroup_info 0
		.amdhsa_system_vgpr_workitem_id 0
		.amdhsa_next_free_vgpr 15
		.amdhsa_next_free_sgpr 35
		.amdhsa_accum_offset 16
		.amdhsa_reserve_vcc 1
		.amdhsa_float_round_mode_32 0
		.amdhsa_float_round_mode_16_64 0
		.amdhsa_float_denorm_mode_32 3
		.amdhsa_float_denorm_mode_16_64 3
		.amdhsa_dx10_clamp 1
		.amdhsa_ieee_mode 1
		.amdhsa_fp16_overflow 0
		.amdhsa_tg_split 0
		.amdhsa_exception_fp_ieee_invalid_op 0
		.amdhsa_exception_fp_denorm_src 0
		.amdhsa_exception_fp_ieee_div_zero 0
		.amdhsa_exception_fp_ieee_overflow 0
		.amdhsa_exception_fp_ieee_underflow 0
		.amdhsa_exception_fp_ieee_inexact 0
		.amdhsa_exception_int_div_zero 0
	.end_amdhsa_kernel
	.section	.text._ZN5aiter23act_and_mul_bias_kernelIftifTnPFfRKT2_EXadL_ZNS_11silu_kernelIfEEfRKT_EELi2EEEvPT0_PS8_PKT1_PS2_il,"axG",@progbits,_ZN5aiter23act_and_mul_bias_kernelIftifTnPFfRKT2_EXadL_ZNS_11silu_kernelIfEEfRKT_EELi2EEEvPT0_PS8_PKT1_PS2_il,comdat
.Lfunc_end166:
	.size	_ZN5aiter23act_and_mul_bias_kernelIftifTnPFfRKT2_EXadL_ZNS_11silu_kernelIfEEfRKT_EELi2EEEvPT0_PS8_PKT1_PS2_il, .Lfunc_end166-_ZN5aiter23act_and_mul_bias_kernelIftifTnPFfRKT2_EXadL_ZNS_11silu_kernelIfEEfRKT_EELi2EEEvPT0_PS8_PKT1_PS2_il
                                        ; -- End function
	.section	.AMDGPU.csdata,"",@progbits
; Kernel info:
; codeLenInByte = 840
; NumSgprs: 41
; NumVgprs: 15
; NumAgprs: 0
; TotalNumVgprs: 15
; ScratchSize: 0
; MemoryBound: 0
; FloatMode: 240
; IeeeMode: 1
; LDSByteSize: 0 bytes/workgroup (compile time only)
; SGPRBlocks: 5
; VGPRBlocks: 1
; NumSGPRsForWavesPerEU: 41
; NumVGPRsForWavesPerEU: 15
; AccumOffset: 16
; Occupancy: 8
; WaveLimiterHint : 0
; COMPUTE_PGM_RSRC2:SCRATCH_EN: 0
; COMPUTE_PGM_RSRC2:USER_SGPR: 2
; COMPUTE_PGM_RSRC2:TRAP_HANDLER: 0
; COMPUTE_PGM_RSRC2:TGID_X_EN: 1
; COMPUTE_PGM_RSRC2:TGID_Y_EN: 0
; COMPUTE_PGM_RSRC2:TGID_Z_EN: 0
; COMPUTE_PGM_RSRC2:TIDIG_COMP_CNT: 0
; COMPUTE_PGM_RSRC3_GFX90A:ACCUM_OFFSET: 3
; COMPUTE_PGM_RSRC3_GFX90A:TG_SPLIT: 0
	.section	.text._ZN5aiter23act_and_mul_bias_kernelIftifTnPFfRKT2_EXadL_ZNS_11silu_kernelIfEEfRKT_EELi1EEEvPT0_PS8_PKT1_PS2_il,"axG",@progbits,_ZN5aiter23act_and_mul_bias_kernelIftifTnPFfRKT2_EXadL_ZNS_11silu_kernelIfEEfRKT_EELi1EEEvPT0_PS8_PKT1_PS2_il,comdat
	.protected	_ZN5aiter23act_and_mul_bias_kernelIftifTnPFfRKT2_EXadL_ZNS_11silu_kernelIfEEfRKT_EELi1EEEvPT0_PS8_PKT1_PS2_il ; -- Begin function _ZN5aiter23act_and_mul_bias_kernelIftifTnPFfRKT2_EXadL_ZNS_11silu_kernelIfEEfRKT_EELi1EEEvPT0_PS8_PKT1_PS2_il
	.globl	_ZN5aiter23act_and_mul_bias_kernelIftifTnPFfRKT2_EXadL_ZNS_11silu_kernelIfEEfRKT_EELi1EEEvPT0_PS8_PKT1_PS2_il
	.p2align	8
	.type	_ZN5aiter23act_and_mul_bias_kernelIftifTnPFfRKT2_EXadL_ZNS_11silu_kernelIfEEfRKT_EELi1EEEvPT0_PS8_PKT1_PS2_il,@function
_ZN5aiter23act_and_mul_bias_kernelIftifTnPFfRKT2_EXadL_ZNS_11silu_kernelIfEEfRKT_EELi1EEEvPT0_PS8_PKT1_PS2_il: ; @_ZN5aiter23act_and_mul_bias_kernelIftifTnPFfRKT2_EXadL_ZNS_11silu_kernelIfEEfRKT_EELi1EEEvPT0_PS8_PKT1_PS2_il
; %bb.0:
	s_load_dwordx2 s[4:5], s[0:1], 0x10
	s_load_dword s20, s[0:1], 0x20
	s_load_dwordx2 s[14:15], s[0:1], 0x28
	s_mov_b32 s3, 0
	s_lshl_b64 s[6:7], s[2:3], 2
	s_waitcnt lgkmcnt(0)
	s_add_u32 s4, s4, s6
	s_addc_u32 s5, s5, s7
	s_load_dword s12, s[4:5], 0x0
	s_load_dwordx2 s[8:9], s[0:1], 0x0
	s_ashr_i32 s21, s20, 31
	s_mul_hi_u32 s3, s20, s2
	s_mul_i32 s10, s21, s2
	s_add_i32 s11, s3, s10
	s_mul_i32 s10, s20, s2
	s_waitcnt lgkmcnt(0)
	s_ashr_i32 s13, s12, 31
	s_lshl_b64 s[10:11], s[10:11], 1
	s_add_u32 s8, s8, s10
	s_addc_u32 s3, s9, s11
	s_add_i32 s9, s20, 1
	s_lshr_b32 s10, s9, 31
	v_mov_b64_e32 v[2:3], s[14:15]
	v_cmp_gt_i64_e64 s[4:5], s[12:13], -1
	s_add_i32 s9, s9, s10
	v_cmp_lt_i64_e32 vcc, s[12:13], v[2:3]
	s_lshl_b32 s9, s9, 1
	s_and_b64 s[4:5], s[4:5], vcc
	s_mov_b64 s[6:7], -1
	s_and_b32 s10, s9, -4
	s_and_b32 s9, s3, 0xffff
	s_and_b64 vcc, exec, s[4:5]
	v_cmp_gt_i32_e64 s[4:5], s20, v0
	s_cbranch_vccnz .LBB167_5
; %bb.1:
	s_and_saveexec_b64 s[6:7], s[4:5]
	s_cbranch_execz .LBB167_4
; %bb.2:
	s_load_dword s3, s[0:1], 0x3c
	v_mov_b32_e32 v1, 0
	s_mov_b32 s5, 0
	v_lshlrev_b32_e32 v4, 1, v0
	s_mov_b64 s[14:15], 0
	s_waitcnt lgkmcnt(0)
	s_and_b32 s4, s3, 0xffff
	s_lshl_b32 s3, s4, 1
	s_mov_b32 s11, 0x20000
	v_mov_b64_e32 v[2:3], v[0:1]
.LBB167_3:                              ; =>This Inner Loop Header: Depth=1
	v_lshl_add_u64 v[2:3], v[2:3], 0, s[4:5]
	v_cmp_le_i64_e32 vcc, s[20:21], v[2:3]
	buffer_store_short v1, v4, s[8:11], 0 offen
	s_or_b64 s[14:15], vcc, s[14:15]
	v_add_u32_e32 v4, s3, v4
	s_andn2_b64 exec, exec, s[14:15]
	s_cbranch_execnz .LBB167_3
.LBB167_4:
	s_or_b64 exec, exec, s[6:7]
	s_mov_b64 s[6:7], 0
.LBB167_5:
	s_andn2_b64 vcc, exec, s[6:7]
	s_cbranch_vccnz .LBB167_9
; %bb.6:
	v_cmp_gt_i32_e32 vcc, s20, v0
	s_and_saveexec_b64 s[4:5], vcc
	s_cbranch_execz .LBB167_9
; %bb.7:
	s_load_dwordx2 s[14:15], s[0:1], 0x8
	s_load_dwordx2 s[4:5], s[0:1], 0x18
	s_mul_hi_i32 s13, s20, s12
	s_mul_i32 s12, s20, s12
	s_lshl_b32 s6, s20, 2
	s_lshl_b64 s[12:13], s[12:13], 3
	s_load_dword s18, s[0:1], 0x3c
	s_waitcnt lgkmcnt(0)
	s_add_u32 s0, s4, s12
	s_addc_u32 s1, s5, s13
	s_lshl_b64 s[16:17], s[20:21], 2
	s_add_u32 s4, s0, s16
	s_addc_u32 s3, s1, s17
	s_and_b32 s5, s3, 0xffff
	s_mul_i32 s3, s2, s21
	s_mul_hi_u32 s12, s2, s20
	s_add_i32 s3, s12, s3
	s_mul_i32 s2, s2, s20
	s_and_b32 s1, s1, 0xffff
	s_lshl_b64 s[2:3], s[2:3], 3
	s_add_u32 s12, s14, s2
	s_addc_u32 s2, s15, s3
	s_add_u32 s16, s12, s16
	s_mov_b32 s11, 0x20000
	s_addc_u32 s3, s2, s17
	s_and_b32 s22, s18, 0xffff
	s_mov_b32 s7, s11
	s_and_b32 s13, s2, 0xffff
	s_and_b32 s17, s3, 0xffff
	s_mov_b32 s23, 0
	v_mov_b32_e32 v1, 0
	v_lshlrev_b32_e32 v2, 1, v0
	s_lshl_b32 s26, s22, 1
	v_lshlrev_b32_e32 v3, 2, v0
	s_lshl_b32 s27, s22, 2
	s_mov_b64 s[24:25], 0
	s_mov_b32 s14, s6
	s_mov_b32 s15, s11
	;; [unrolled: 1-line block ×5, first 2 shown]
	v_mov_b32_e32 v4, 0x7f800000
	s_mov_b32 s18, s6
	s_mov_b32 s19, s11
	;; [unrolled: 1-line block ×4, first 2 shown]
.LBB167_8:                              ; =>This Inner Loop Header: Depth=1
	buffer_load_dword v7, v3, s[12:15], 0 offen
	buffer_load_dword v6, v3, s[16:19], 0 offen
	buffer_load_dword v9, v3, s[0:3], 0 offen
	buffer_load_dword v8, v3, s[4:7], 0 offen
	v_lshl_add_u64 v[0:1], v[0:1], 0, s[22:23]
	v_add_u32_e32 v3, s27, v3
	s_waitcnt vmcnt(0)
	v_pk_add_f32 v[6:7], v[6:7], v[8:9]
	s_nop 0
	v_mul_f32_e32 v5, 0xbfb8aa3b, v7
	v_fma_f32 v8, v7, s28, -v5
	v_rndne_f32_e32 v9, v5
	v_fmac_f32_e32 v8, 0xb2a5705f, v7
	v_sub_f32_e32 v5, v5, v9
	v_add_f32_e32 v5, v5, v8
	v_cvt_i32_f32_e32 v9, v9
	v_exp_f32_e32 v5, v5
	v_cmp_nlt_f32_e32 vcc, s29, v7
	v_ldexp_f32 v5, v5, v9
	s_nop 0
	v_cndmask_b32_e32 v5, 0, v5, vcc
	v_cmp_ngt_f32_e32 vcc, s30, v7
	s_nop 1
	v_cndmask_b32_e32 v5, v4, v5, vcc
	v_add_f32_e32 v5, 1.0, v5
	v_rcp_f32_e32 v5, v5
	v_cmp_le_i64_e32 vcc, s[20:21], v[0:1]
	s_or_b64 s[24:25], vcc, s[24:25]
	v_mul_f32_e32 v5, v7, v5
	v_mul_f32_e32 v5, v6, v5
	v_lshrrev_b32_e32 v5, 16, v5
	buffer_store_short v5, v2, s[8:11], 0 offen
	v_add_u32_e32 v2, s26, v2
	s_andn2_b64 exec, exec, s[24:25]
	s_cbranch_execnz .LBB167_8
.LBB167_9:
	s_endpgm
	.section	.rodata,"a",@progbits
	.p2align	6, 0x0
	.amdhsa_kernel _ZN5aiter23act_and_mul_bias_kernelIftifTnPFfRKT2_EXadL_ZNS_11silu_kernelIfEEfRKT_EELi1EEEvPT0_PS8_PKT1_PS2_il
		.amdhsa_group_segment_fixed_size 0
		.amdhsa_private_segment_fixed_size 0
		.amdhsa_kernarg_size 304
		.amdhsa_user_sgpr_count 2
		.amdhsa_user_sgpr_dispatch_ptr 0
		.amdhsa_user_sgpr_queue_ptr 0
		.amdhsa_user_sgpr_kernarg_segment_ptr 1
		.amdhsa_user_sgpr_dispatch_id 0
		.amdhsa_user_sgpr_kernarg_preload_length 0
		.amdhsa_user_sgpr_kernarg_preload_offset 0
		.amdhsa_user_sgpr_private_segment_size 0
		.amdhsa_uses_dynamic_stack 0
		.amdhsa_enable_private_segment 0
		.amdhsa_system_sgpr_workgroup_id_x 1
		.amdhsa_system_sgpr_workgroup_id_y 0
		.amdhsa_system_sgpr_workgroup_id_z 0
		.amdhsa_system_sgpr_workgroup_info 0
		.amdhsa_system_vgpr_workitem_id 0
		.amdhsa_next_free_vgpr 10
		.amdhsa_next_free_sgpr 31
		.amdhsa_accum_offset 12
		.amdhsa_reserve_vcc 1
		.amdhsa_float_round_mode_32 0
		.amdhsa_float_round_mode_16_64 0
		.amdhsa_float_denorm_mode_32 3
		.amdhsa_float_denorm_mode_16_64 3
		.amdhsa_dx10_clamp 1
		.amdhsa_ieee_mode 1
		.amdhsa_fp16_overflow 0
		.amdhsa_tg_split 0
		.amdhsa_exception_fp_ieee_invalid_op 0
		.amdhsa_exception_fp_denorm_src 0
		.amdhsa_exception_fp_ieee_div_zero 0
		.amdhsa_exception_fp_ieee_overflow 0
		.amdhsa_exception_fp_ieee_underflow 0
		.amdhsa_exception_fp_ieee_inexact 0
		.amdhsa_exception_int_div_zero 0
	.end_amdhsa_kernel
	.section	.text._ZN5aiter23act_and_mul_bias_kernelIftifTnPFfRKT2_EXadL_ZNS_11silu_kernelIfEEfRKT_EELi1EEEvPT0_PS8_PKT1_PS2_il,"axG",@progbits,_ZN5aiter23act_and_mul_bias_kernelIftifTnPFfRKT2_EXadL_ZNS_11silu_kernelIfEEfRKT_EELi1EEEvPT0_PS8_PKT1_PS2_il,comdat
.Lfunc_end167:
	.size	_ZN5aiter23act_and_mul_bias_kernelIftifTnPFfRKT2_EXadL_ZNS_11silu_kernelIfEEfRKT_EELi1EEEvPT0_PS8_PKT1_PS2_il, .Lfunc_end167-_ZN5aiter23act_and_mul_bias_kernelIftifTnPFfRKT2_EXadL_ZNS_11silu_kernelIfEEfRKT_EELi1EEEvPT0_PS8_PKT1_PS2_il
                                        ; -- End function
	.section	.AMDGPU.csdata,"",@progbits
; Kernel info:
; codeLenInByte = 716
; NumSgprs: 37
; NumVgprs: 10
; NumAgprs: 0
; TotalNumVgprs: 10
; ScratchSize: 0
; MemoryBound: 0
; FloatMode: 240
; IeeeMode: 1
; LDSByteSize: 0 bytes/workgroup (compile time only)
; SGPRBlocks: 4
; VGPRBlocks: 1
; NumSGPRsForWavesPerEU: 37
; NumVGPRsForWavesPerEU: 10
; AccumOffset: 12
; Occupancy: 8
; WaveLimiterHint : 0
; COMPUTE_PGM_RSRC2:SCRATCH_EN: 0
; COMPUTE_PGM_RSRC2:USER_SGPR: 2
; COMPUTE_PGM_RSRC2:TRAP_HANDLER: 0
; COMPUTE_PGM_RSRC2:TGID_X_EN: 1
; COMPUTE_PGM_RSRC2:TGID_Y_EN: 0
; COMPUTE_PGM_RSRC2:TGID_Z_EN: 0
; COMPUTE_PGM_RSRC2:TIDIG_COMP_CNT: 0
; COMPUTE_PGM_RSRC3_GFX90A:ACCUM_OFFSET: 2
; COMPUTE_PGM_RSRC3_GFX90A:TG_SPLIT: 0
	.section	.text._ZN5aiter23act_and_mul_bias_kernelIfDF16_ifTnPFfRKT2_EXadL_ZNS_11silu_kernelIfEEfRKT_EELi16EEEvPT0_PS8_PKT1_PS2_il,"axG",@progbits,_ZN5aiter23act_and_mul_bias_kernelIfDF16_ifTnPFfRKT2_EXadL_ZNS_11silu_kernelIfEEfRKT_EELi16EEEvPT0_PS8_PKT1_PS2_il,comdat
	.protected	_ZN5aiter23act_and_mul_bias_kernelIfDF16_ifTnPFfRKT2_EXadL_ZNS_11silu_kernelIfEEfRKT_EELi16EEEvPT0_PS8_PKT1_PS2_il ; -- Begin function _ZN5aiter23act_and_mul_bias_kernelIfDF16_ifTnPFfRKT2_EXadL_ZNS_11silu_kernelIfEEfRKT_EELi16EEEvPT0_PS8_PKT1_PS2_il
	.globl	_ZN5aiter23act_and_mul_bias_kernelIfDF16_ifTnPFfRKT2_EXadL_ZNS_11silu_kernelIfEEfRKT_EELi16EEEvPT0_PS8_PKT1_PS2_il
	.p2align	8
	.type	_ZN5aiter23act_and_mul_bias_kernelIfDF16_ifTnPFfRKT2_EXadL_ZNS_11silu_kernelIfEEfRKT_EELi16EEEvPT0_PS8_PKT1_PS2_il,@function
_ZN5aiter23act_and_mul_bias_kernelIfDF16_ifTnPFfRKT2_EXadL_ZNS_11silu_kernelIfEEfRKT_EELi16EEEvPT0_PS8_PKT1_PS2_il: ; @_ZN5aiter23act_and_mul_bias_kernelIfDF16_ifTnPFfRKT2_EXadL_ZNS_11silu_kernelIfEEfRKT_EELi16EEEvPT0_PS8_PKT1_PS2_il
; %bb.0:
	s_load_dwordx2 s[4:5], s[0:1], 0x10
	s_load_dword s30, s[0:1], 0x20
	s_load_dwordx2 s[8:9], s[0:1], 0x28
	s_mov_b32 s3, 0
	s_lshl_b64 s[6:7], s[2:3], 2
	s_waitcnt lgkmcnt(0)
	s_add_u32 s6, s4, s6
	s_addc_u32 s7, s5, s7
	s_load_dword s4, s[6:7], 0x0
	s_load_dwordx2 s[10:11], s[0:1], 0x0
	s_ashr_i32 s31, s30, 31
	s_mul_hi_u32 s3, s30, s2
	s_mul_i32 s14, s31, s2
	s_add_i32 s15, s3, s14
	s_mul_i32 s14, s30, s2
	s_waitcnt lgkmcnt(0)
	s_ashr_i32 s5, s4, 31
	s_lshl_b64 s[14:15], s[14:15], 1
	s_add_u32 s36, s10, s14
	s_addc_u32 s3, s11, s15
	s_add_i32 s10, s30, 1
	s_lshr_b32 s11, s10, 31
	v_mov_b64_e32 v[2:3], s[8:9]
	v_cmp_gt_i64_e64 s[12:13], s[4:5], -1
	s_add_i32 s10, s10, s11
	v_cmp_lt_i64_e32 vcc, s[4:5], v[2:3]
	s_lshl_b32 s10, s10, 1
	s_and_b64 s[8:9], s[12:13], vcc
	s_mov_b64 s[6:7], -1
	s_and_b32 s38, s10, -4
	s_and_b32 s37, s3, 0xffff
	s_and_b64 vcc, exec, s[8:9]
	v_lshlrev_b32_e32 v56, 4, v0
	s_cbranch_vccnz .LBB168_5
; %bb.1:
	v_cmp_gt_i32_e32 vcc, s30, v56
	s_and_saveexec_b64 s[6:7], vcc
	s_cbranch_execz .LBB168_4
; %bb.2:
	s_load_dword s3, s[0:1], 0x3c
	s_mov_b32 s9, 0
	s_mov_b32 s12, s9
	;; [unrolled: 1-line block ×3, first 2 shown]
	v_mov_b32_e32 v57, 0
	v_lshlrev_b32_e32 v6, 5, v0
	s_waitcnt lgkmcnt(0)
	s_and_b32 s3, s3, 0xffff
	s_mov_b32 s14, s9
	s_mov_b32 s15, s9
	v_mov_b64_e32 v[0:1], s[12:13]
	s_lshl_b32 s8, s3, 4
	s_lshl_b32 s3, s3, 5
	s_mov_b64 s[10:11], 0
	s_mov_b32 s39, 0x20000
	v_mov_b64_e32 v[2:3], s[14:15]
	v_mov_b64_e32 v[4:5], v[56:57]
.LBB168_3:                              ; =>This Inner Loop Header: Depth=1
	v_lshl_add_u64 v[4:5], s[8:9], 0, v[4:5]
	v_cmp_le_i64_e32 vcc, s[30:31], v[4:5]
	buffer_store_dwordx4 v[0:3], v6, s[36:39], 0 offen
	buffer_store_dwordx4 v[0:3], v6, s[36:39], 16 offen
	s_or_b64 s[10:11], vcc, s[10:11]
	v_add_u32_e32 v6, s3, v6
	s_andn2_b64 exec, exec, s[10:11]
	s_cbranch_execnz .LBB168_3
.LBB168_4:
	s_or_b64 exec, exec, s[6:7]
	s_mov_b64 s[6:7], 0
.LBB168_5:
	s_andn2_b64 vcc, exec, s[6:7]
	s_cbranch_vccnz .LBB168_9
; %bb.6:
	v_cmp_gt_i32_e32 vcc, s30, v56
	s_and_saveexec_b64 s[6:7], vcc
	s_cbranch_execz .LBB168_9
; %bb.7:
	s_load_dwordx2 s[6:7], s[0:1], 0x8
	s_load_dwordx2 s[8:9], s[0:1], 0x18
	s_mul_hi_i32 s5, s30, s4
	s_mul_i32 s4, s30, s4
	s_lshl_b32 s42, s30, 2
	s_lshl_b64 s[4:5], s[4:5], 3
	s_waitcnt lgkmcnt(0)
	s_add_u32 s44, s8, s4
	s_addc_u32 s3, s9, s5
	s_lshl_b64 s[4:5], s[30:31], 2
	s_add_u32 s40, s44, s4
	s_addc_u32 s8, s3, s5
	s_and_b32 s45, s3, 0xffff
	s_and_b32 s41, s8, 0xffff
	s_mul_i32 s3, s2, s31
	s_mul_hi_u32 s8, s2, s30
	s_add_i32 s3, s8, s3
	s_mul_i32 s2, s2, s30
	s_lshl_b64 s[2:3], s[2:3], 3
	s_add_u32 s48, s6, s2
	s_addc_u32 s2, s7, s3
	s_add_u32 s52, s48, s4
	s_addc_u32 s3, s2, s5
	s_and_b32 s49, s2, 0xffff
	s_and_b32 s53, s3, 0xffff
	s_mov_b32 s39, 0x20000
	s_add_u32 s34, s0, 48
	s_mov_b32 s43, s39
	v_mov_b32_e32 v57, 0
	s_addc_u32 s35, s1, 0
	s_mov_b64 s[56:57], 0
	s_mov_b32 s50, s42
	s_mov_b32 s51, s39
	;; [unrolled: 1-line block ×6, first 2 shown]
	v_mov_b32_e32 v58, 0x7f800000
	s_mov_b32 s54, s42
	s_mov_b32 s55, s39
	;; [unrolled: 1-line block ×4, first 2 shown]
.LBB168_8:                              ; =>This Inner Loop Header: Depth=1
	v_lshlrev_b32_e32 v59, 2, v56
	buffer_load_dwordx4 v[24:27], v59, s[40:43], 0 offen
	buffer_load_dwordx4 v[36:39], v59, s[52:55], 0 offen
	;; [unrolled: 1-line block ×15, first 2 shown]
	s_waitcnt vmcnt(13)
	v_pk_add_f32 v[38:39], v[38:39], v[26:27]
	v_pk_add_f32 v[36:37], v[36:37], v[24:25]
	buffer_load_dwordx4 v[24:27], v59, s[44:47], 48 offen
	s_waitcnt vmcnt(11)
	v_pk_add_f32 v[28:29], v[28:29], v[44:45]
	s_waitcnt vmcnt(10)
	v_pk_add_f32 v[32:33], v[48:49], v[32:33]
	v_pk_add_f32 v[34:35], v[50:51], v[34:35]
	s_waitcnt vmcnt(8)
	v_pk_add_f32 v[42:43], v[42:43], v[54:55]
	v_pk_add_f32 v[40:41], v[40:41], v[52:53]
	;; [unrolled: 1-line block ×3, first 2 shown]
	v_cmp_nlt_f32_e32 vcc, s60, v34
	s_waitcnt vmcnt(4)
	v_pk_add_f32 v[6:7], v[6:7], v[22:23]
	s_waitcnt vmcnt(3)
	v_pk_add_f32 v[2:3], v[2:3], v[14:15]
	v_pk_add_f32 v[4:5], v[4:5], v[20:21]
	;; [unrolled: 1-line block ×3, first 2 shown]
	v_mul_f32_e32 v20, 0xbfb8aa3b, v40
	v_mul_f32_e32 v21, 0xbfb8aa3b, v41
	;; [unrolled: 1-line block ×4, first 2 shown]
	s_waitcnt vmcnt(2)
	v_pk_add_f32 v[10:11], v[62:63], v[10:11]
	v_pk_add_f32 v[8:9], v[60:61], v[8:9]
	v_fma_f32 v59, v40, s33, -v20
	v_rndne_f32_e32 v60, v20
	v_fma_f32 v61, v41, s33, -v21
	v_rndne_f32_e32 v62, v21
	;; [unrolled: 2-line block ×4, first 2 shown]
	v_fmac_f32_e32 v59, 0xb2a5705f, v40
	v_sub_f32_e32 v20, v20, v60
	v_fmac_f32_e32 v61, 0xb2a5705f, v41
	v_sub_f32_e32 v21, v21, v62
	v_fmac_f32_e32 v63, 0xb2a5705f, v42
	v_sub_f32_e32 v22, v22, v64
	v_fmac_f32_e32 v65, 0xb2a5705f, v43
	v_sub_f32_e32 v23, v23, v66
	v_add_f32_e32 v20, v20, v59
	v_add_f32_e32 v21, v21, v61
	v_add_f32_e32 v22, v22, v63
	v_add_f32_e32 v23, v23, v65
	v_cvt_i32_f32_e32 v60, v60
	v_cvt_i32_f32_e32 v62, v62
	;; [unrolled: 1-line block ×4, first 2 shown]
	v_exp_f32_e32 v20, v20
	v_exp_f32_e32 v21, v21
	;; [unrolled: 1-line block ×4, first 2 shown]
	v_ldexp_f32 v20, v20, v60
	v_ldexp_f32 v21, v21, v62
	;; [unrolled: 1-line block ×4, first 2 shown]
	v_cmp_nlt_f32_e64 s[0:1], s60, v35
	v_cmp_nlt_f32_e64 s[2:3], s60, v40
	;; [unrolled: 1-line block ×11, first 2 shown]
	v_cndmask_b32_e64 v20, 0, v20, s[2:3]
	v_cmp_ngt_f32_e64 s[2:3], s61, v40
	v_cndmask_b32_e64 v21, 0, v21, s[4:5]
	v_cmp_ngt_f32_e64 s[4:5], s61, v41
	;; [unrolled: 2-line block ×4, first 2 shown]
	v_cndmask_b32_e64 v20, v58, v20, s[2:3]
	v_cndmask_b32_e64 v21, v58, v21, s[4:5]
	;; [unrolled: 1-line block ×4, first 2 shown]
	s_waitcnt vmcnt(0)
	v_pk_add_f32 v[14:15], v[16:17], v[24:25]
	v_mul_f32_e32 v16, 0xbfb8aa3b, v32
	v_pk_add_f32 v[12:13], v[18:19], v[26:27]
	v_mul_f32_e32 v17, 0xbfb8aa3b, v33
	v_mul_f32_e32 v18, 0xbfb8aa3b, v34
	;; [unrolled: 1-line block ×3, first 2 shown]
	v_fma_f32 v48, v32, s33, -v16
	v_rndne_f32_e32 v49, v16
	v_fma_f32 v50, v33, s33, -v17
	v_rndne_f32_e32 v51, v17
	;; [unrolled: 2-line block ×4, first 2 shown]
	v_fmac_f32_e32 v48, 0xb2a5705f, v32
	v_sub_f32_e32 v16, v16, v49
	v_mul_f32_e32 v25, 0xbfb8aa3b, v9
	v_mul_f32_e32 v26, 0xbfb8aa3b, v10
	;; [unrolled: 1-line block ×4, first 2 shown]
	v_add_f32_e32 v48, v16, v48
	v_fmac_f32_e32 v50, 0xb2a5705f, v33
	v_sub_f32_e32 v16, v17, v51
	v_fmac_f32_e32 v52, 0xb2a5705f, v34
	v_sub_f32_e32 v18, v18, v53
	;; [unrolled: 2-line block ×3, first 2 shown]
	v_add_f32_e32 v17, v16, v50
	v_fma_f32 v16, v9, s33, -v25
	v_add_f32_e32 v18, v18, v52
	v_rndne_f32_e32 v50, v25
	v_add_f32_e32 v19, v19, v54
	v_fma_f32 v52, v10, s33, -v26
	v_rndne_f32_e32 v54, v26
	v_fma_f32 v59, v11, s33, -v27
	v_rndne_f32_e32 v61, v27
	;; [unrolled: 2-line block ×3, first 2 shown]
	v_mul_f32_e32 v45, 0xbfb8aa3b, v15
	v_mul_f32_e32 v46, 0xbfb8aa3b, v12
	v_fmac_f32_e32 v16, 0xb2a5705f, v9
	v_sub_f32_e32 v25, v25, v50
	v_fmac_f32_e32 v52, 0xb2a5705f, v10
	v_sub_f32_e32 v26, v26, v54
	;; [unrolled: 2-line block ×4, first 2 shown]
	v_add_f32_e32 v25, v25, v16
	v_fma_f32 v16, v15, s33, -v45
	v_add_f32_e32 v26, v26, v52
	v_rndne_f32_e32 v52, v45
	v_add_f32_e32 v27, v27, v59
	v_fma_f32 v59, v12, s33, -v46
	v_add_f32_e32 v44, v44, v63
	v_rndne_f32_e32 v63, v46
	v_mul_f32_e32 v24, 0xbfb8aa3b, v8
	v_mul_f32_e32 v47, 0xbfb8aa3b, v13
	v_fmac_f32_e32 v16, 0xb2a5705f, v15
	v_sub_f32_e32 v45, v45, v52
	v_fmac_f32_e32 v59, 0xb2a5705f, v12
	v_sub_f32_e32 v46, v46, v63
	v_fma_f32 v67, v8, s33, -v24
	v_rndne_f32_e32 v68, v24
	v_add_f32_e32 v45, v45, v16
	v_fma_f32 v16, v13, s33, -v47
	v_add_f32_e32 v46, v46, v59
	v_rndne_f32_e32 v59, v47
	v_fmac_f32_e32 v67, 0xb2a5705f, v8
	v_sub_f32_e32 v24, v24, v68
	v_fmac_f32_e32 v16, 0xb2a5705f, v13
	v_sub_f32_e32 v47, v47, v59
	v_add_f32_e32 v24, v24, v67
	v_add_f32_e32 v47, v47, v16
	v_cvt_i32_f32_e32 v49, v49
	v_cvt_i32_f32_e32 v51, v51
	;; [unrolled: 1-line block ×4, first 2 shown]
	v_exp_f32_e32 v48, v48
	v_exp_f32_e32 v17, v17
	v_exp_f32_e32 v18, v18
	v_exp_f32_e32 v19, v19
	v_cvt_i32_f32_e32 v67, v68
	v_cvt_i32_f32_e32 v50, v50
	;; [unrolled: 1-line block ×8, first 2 shown]
	v_exp_f32_e32 v24, v24
	v_exp_f32_e32 v25, v25
	;; [unrolled: 1-line block ×8, first 2 shown]
	v_ldexp_f32 v48, v48, v49
	v_ldexp_f32 v17, v17, v51
	;; [unrolled: 1-line block ×11, first 2 shown]
	v_cmp_nlt_f32_e64 s[18:19], s60, v14
	v_cmp_nlt_f32_e64 s[20:21], s60, v15
	;; [unrolled: 1-line block ×3, first 2 shown]
	v_ldexp_f32 v47, v47, v59
	v_cmp_nlt_f32_e64 s[24:25], s60, v13
	v_cndmask_b32_e64 v17, 0, v17, s[28:29]
	v_cmp_ngt_f32_e64 s[28:29], s61, v33
	v_cndmask_b32_e32 v18, 0, v18, vcc
	v_cmp_ngt_f32_e32 vcc, s61, v34
	v_cndmask_b32_e64 v19, 0, v19, s[0:1]
	v_cmp_ngt_f32_e64 s[0:1], s61, v35
	v_cndmask_b32_e64 v48, 0, v48, s[26:27]
	v_cmp_ngt_f32_e64 s[26:27], s61, v32
	;; [unrolled: 2-line block ×10, first 2 shown]
	v_cndmask_b32_e64 v48, v58, v48, s[26:27]
	v_cndmask_b32_e64 v17, v58, v17, s[28:29]
	v_cndmask_b32_e32 v18, v58, v18, vcc
	v_cndmask_b32_e64 v19, v58, v19, s[0:1]
	v_cndmask_b32_e64 v24, v58, v24, s[10:11]
	;; [unrolled: 1-line block ×9, first 2 shown]
	v_add_f32_e32 v48, 1.0, v48
	v_add_f32_e32 v17, 1.0, v17
	v_add_f32_e32 v49, 1.0, v18
	v_add_f32_e32 v50, 1.0, v19
	v_add_f32_e32 v51, 1.0, v20
	v_add_f32_e32 v52, 1.0, v21
	v_add_f32_e32 v53, 1.0, v22
	v_add_f32_e32 v54, 1.0, v23
	v_add_f32_e32 v55, 1.0, v24
	v_add_f32_e32 v59, 1.0, v25
	v_add_f32_e32 v60, 1.0, v26
	v_add_f32_e32 v61, 1.0, v27
	v_add_f32_e32 v62, 1.0, v44
	v_add_f32_e32 v63, 1.0, v45
	v_add_f32_e32 v64, 1.0, v46
	v_add_f32_e32 v65, 1.0, v47
	v_rcp_f32_e32 v18, v48
	v_rcp_f32_e32 v19, v17
	;; [unrolled: 1-line block ×16, first 2 shown]
	v_pk_mul_f32 v[18:19], v[32:33], v[18:19]
	v_pk_mul_f32 v[20:21], v[34:35], v[20:21]
	;; [unrolled: 1-line block ×8, first 2 shown]
	;;#ASMSTART
	v_pk_mul_f32 v[18:19], v[18:19], v[36:37]
	;;#ASMEND
	;;#ASMSTART
	v_pk_mul_f32 v[20:21], v[20:21], v[38:39]
	;;#ASMEND
	;; [unrolled: 3-line block ×7, first 2 shown]
	s_nop 0
	;;#ASMSTART
	v_pk_mul_f32 v[2:3], v[12:13], v[2:3]
	;;#ASMEND
	s_load_dword s0, s[34:35], 0xc
	v_cvt_f16_f32_e32 v8, v18
	v_cvt_f16_f32_e32 v9, v19
	;; [unrolled: 1-line block ×16, first 2 shown]
	s_waitcnt lgkmcnt(0)
	s_and_b32 s0, s0, 0xffff
	s_lshl_b32 s58, s0, 4
	v_lshlrev_b32_e32 v16, 1, v56
	v_lshl_add_u64 v[56:57], s[58:59], 0, v[56:57]
	v_cmp_le_i64_e32 vcc, s[30:31], v[56:57]
	v_pack_b32_f16 v1, v10, v11
	v_pack_b32_f16 v3, v14, v15
	;; [unrolled: 1-line block ×8, first 2 shown]
	s_or_b64 s[56:57], vcc, s[56:57]
	buffer_store_dwordx4 v[0:3], v16, s[36:39], 0 offen
	buffer_store_dwordx4 v[4:7], v16, s[36:39], 16 offen
	s_andn2_b64 exec, exec, s[56:57]
	s_cbranch_execnz .LBB168_8
.LBB168_9:
	s_endpgm
	.section	.rodata,"a",@progbits
	.p2align	6, 0x0
	.amdhsa_kernel _ZN5aiter23act_and_mul_bias_kernelIfDF16_ifTnPFfRKT2_EXadL_ZNS_11silu_kernelIfEEfRKT_EELi16EEEvPT0_PS8_PKT1_PS2_il
		.amdhsa_group_segment_fixed_size 0
		.amdhsa_private_segment_fixed_size 0
		.amdhsa_kernarg_size 304
		.amdhsa_user_sgpr_count 2
		.amdhsa_user_sgpr_dispatch_ptr 0
		.amdhsa_user_sgpr_queue_ptr 0
		.amdhsa_user_sgpr_kernarg_segment_ptr 1
		.amdhsa_user_sgpr_dispatch_id 0
		.amdhsa_user_sgpr_kernarg_preload_length 0
		.amdhsa_user_sgpr_kernarg_preload_offset 0
		.amdhsa_user_sgpr_private_segment_size 0
		.amdhsa_uses_dynamic_stack 0
		.amdhsa_enable_private_segment 0
		.amdhsa_system_sgpr_workgroup_id_x 1
		.amdhsa_system_sgpr_workgroup_id_y 0
		.amdhsa_system_sgpr_workgroup_id_z 0
		.amdhsa_system_sgpr_workgroup_info 0
		.amdhsa_system_vgpr_workitem_id 0
		.amdhsa_next_free_vgpr 69
		.amdhsa_next_free_sgpr 62
		.amdhsa_accum_offset 72
		.amdhsa_reserve_vcc 1
		.amdhsa_float_round_mode_32 0
		.amdhsa_float_round_mode_16_64 0
		.amdhsa_float_denorm_mode_32 3
		.amdhsa_float_denorm_mode_16_64 3
		.amdhsa_dx10_clamp 1
		.amdhsa_ieee_mode 1
		.amdhsa_fp16_overflow 0
		.amdhsa_tg_split 0
		.amdhsa_exception_fp_ieee_invalid_op 0
		.amdhsa_exception_fp_denorm_src 0
		.amdhsa_exception_fp_ieee_div_zero 0
		.amdhsa_exception_fp_ieee_overflow 0
		.amdhsa_exception_fp_ieee_underflow 0
		.amdhsa_exception_fp_ieee_inexact 0
		.amdhsa_exception_int_div_zero 0
	.end_amdhsa_kernel
	.section	.text._ZN5aiter23act_and_mul_bias_kernelIfDF16_ifTnPFfRKT2_EXadL_ZNS_11silu_kernelIfEEfRKT_EELi16EEEvPT0_PS8_PKT1_PS2_il,"axG",@progbits,_ZN5aiter23act_and_mul_bias_kernelIfDF16_ifTnPFfRKT2_EXadL_ZNS_11silu_kernelIfEEfRKT_EELi16EEEvPT0_PS8_PKT1_PS2_il,comdat
.Lfunc_end168:
	.size	_ZN5aiter23act_and_mul_bias_kernelIfDF16_ifTnPFfRKT2_EXadL_ZNS_11silu_kernelIfEEfRKT_EELi16EEEvPT0_PS8_PKT1_PS2_il, .Lfunc_end168-_ZN5aiter23act_and_mul_bias_kernelIfDF16_ifTnPFfRKT2_EXadL_ZNS_11silu_kernelIfEEfRKT_EELi16EEEvPT0_PS8_PKT1_PS2_il
                                        ; -- End function
	.section	.AMDGPU.csdata,"",@progbits
; Kernel info:
; codeLenInByte = 2620
; NumSgprs: 68
; NumVgprs: 69
; NumAgprs: 0
; TotalNumVgprs: 69
; ScratchSize: 0
; MemoryBound: 0
; FloatMode: 240
; IeeeMode: 1
; LDSByteSize: 0 bytes/workgroup (compile time only)
; SGPRBlocks: 8
; VGPRBlocks: 8
; NumSGPRsForWavesPerEU: 68
; NumVGPRsForWavesPerEU: 69
; AccumOffset: 72
; Occupancy: 7
; WaveLimiterHint : 0
; COMPUTE_PGM_RSRC2:SCRATCH_EN: 0
; COMPUTE_PGM_RSRC2:USER_SGPR: 2
; COMPUTE_PGM_RSRC2:TRAP_HANDLER: 0
; COMPUTE_PGM_RSRC2:TGID_X_EN: 1
; COMPUTE_PGM_RSRC2:TGID_Y_EN: 0
; COMPUTE_PGM_RSRC2:TGID_Z_EN: 0
; COMPUTE_PGM_RSRC2:TIDIG_COMP_CNT: 0
; COMPUTE_PGM_RSRC3_GFX90A:ACCUM_OFFSET: 17
; COMPUTE_PGM_RSRC3_GFX90A:TG_SPLIT: 0
	.section	.text._ZN5aiter23act_and_mul_bias_kernelIfDF16_ifTnPFfRKT2_EXadL_ZNS_11silu_kernelIfEEfRKT_EELi8EEEvPT0_PS8_PKT1_PS2_il,"axG",@progbits,_ZN5aiter23act_and_mul_bias_kernelIfDF16_ifTnPFfRKT2_EXadL_ZNS_11silu_kernelIfEEfRKT_EELi8EEEvPT0_PS8_PKT1_PS2_il,comdat
	.protected	_ZN5aiter23act_and_mul_bias_kernelIfDF16_ifTnPFfRKT2_EXadL_ZNS_11silu_kernelIfEEfRKT_EELi8EEEvPT0_PS8_PKT1_PS2_il ; -- Begin function _ZN5aiter23act_and_mul_bias_kernelIfDF16_ifTnPFfRKT2_EXadL_ZNS_11silu_kernelIfEEfRKT_EELi8EEEvPT0_PS8_PKT1_PS2_il
	.globl	_ZN5aiter23act_and_mul_bias_kernelIfDF16_ifTnPFfRKT2_EXadL_ZNS_11silu_kernelIfEEfRKT_EELi8EEEvPT0_PS8_PKT1_PS2_il
	.p2align	8
	.type	_ZN5aiter23act_and_mul_bias_kernelIfDF16_ifTnPFfRKT2_EXadL_ZNS_11silu_kernelIfEEfRKT_EELi8EEEvPT0_PS8_PKT1_PS2_il,@function
_ZN5aiter23act_and_mul_bias_kernelIfDF16_ifTnPFfRKT2_EXadL_ZNS_11silu_kernelIfEEfRKT_EELi8EEEvPT0_PS8_PKT1_PS2_il: ; @_ZN5aiter23act_and_mul_bias_kernelIfDF16_ifTnPFfRKT2_EXadL_ZNS_11silu_kernelIfEEfRKT_EELi8EEEvPT0_PS8_PKT1_PS2_il
; %bb.0:
	s_load_dwordx2 s[4:5], s[0:1], 0x10
	s_load_dword s14, s[0:1], 0x20
	s_load_dwordx2 s[8:9], s[0:1], 0x28
	s_mov_b32 s3, 0
	s_lshl_b64 s[6:7], s[2:3], 2
	s_waitcnt lgkmcnt(0)
	s_add_u32 s6, s4, s6
	s_addc_u32 s7, s5, s7
	s_load_dword s4, s[6:7], 0x0
	s_load_dwordx2 s[10:11], s[0:1], 0x0
	s_ashr_i32 s15, s14, 31
	s_mul_hi_u32 s3, s14, s2
	s_mul_i32 s16, s15, s2
	s_add_i32 s17, s3, s16
	s_mul_i32 s16, s14, s2
	s_waitcnt lgkmcnt(0)
	s_ashr_i32 s5, s4, 31
	s_lshl_b64 s[16:17], s[16:17], 1
	s_add_u32 s16, s10, s16
	s_addc_u32 s3, s11, s17
	s_add_i32 s10, s14, 1
	s_lshr_b32 s11, s10, 31
	v_mov_b64_e32 v[2:3], s[8:9]
	v_cmp_gt_i64_e64 s[12:13], s[4:5], -1
	s_add_i32 s10, s10, s11
	v_cmp_lt_i64_e32 vcc, s[4:5], v[2:3]
	s_lshl_b32 s10, s10, 1
	s_and_b64 s[8:9], s[12:13], vcc
	s_mov_b64 s[6:7], -1
	s_and_b32 s18, s10, -4
	s_and_b32 s17, s3, 0xffff
	s_and_b64 vcc, exec, s[8:9]
	v_lshlrev_b32_e32 v4, 3, v0
	s_cbranch_vccnz .LBB169_5
; %bb.1:
	v_cmp_gt_i32_e32 vcc, s14, v4
	s_and_saveexec_b64 s[6:7], vcc
	s_cbranch_execz .LBB169_4
; %bb.2:
	s_load_dword s3, s[0:1], 0x3c
	v_mov_b32_e32 v5, 0
	s_mov_b32 s9, 0
	v_lshlrev_b32_e32 v8, 4, v0
	s_mov_b64 s[10:11], 0
	s_waitcnt lgkmcnt(0)
	s_and_b32 s3, s3, 0xffff
	s_lshl_b32 s8, s3, 3
	s_lshl_b32 s3, s3, 4
	s_mov_b32 s19, 0x20000
	v_mov_b32_e32 v0, v5
	v_mov_b32_e32 v1, v5
	;; [unrolled: 1-line block ×4, first 2 shown]
	v_mov_b64_e32 v[6:7], v[4:5]
.LBB169_3:                              ; =>This Inner Loop Header: Depth=1
	v_lshl_add_u64 v[6:7], s[8:9], 0, v[6:7]
	v_cmp_le_i64_e32 vcc, s[14:15], v[6:7]
	buffer_store_dwordx4 v[0:3], v8, s[16:19], 0 offen
	s_or_b64 s[10:11], vcc, s[10:11]
	v_add_u32_e32 v8, s3, v8
	s_andn2_b64 exec, exec, s[10:11]
	s_cbranch_execnz .LBB169_3
.LBB169_4:
	s_or_b64 exec, exec, s[6:7]
	s_mov_b64 s[6:7], 0
.LBB169_5:
	s_andn2_b64 vcc, exec, s[6:7]
	s_cbranch_vccnz .LBB169_9
; %bb.6:
	v_cmp_gt_i32_e32 vcc, s14, v4
	s_and_saveexec_b64 s[6:7], vcc
	s_cbranch_execz .LBB169_9
; %bb.7:
	s_load_dwordx2 s[6:7], s[0:1], 0x8
	s_load_dwordx2 s[8:9], s[0:1], 0x18
	s_mul_hi_i32 s5, s14, s4
	s_mul_i32 s4, s14, s4
	s_lshl_b32 s22, s14, 2
	s_lshl_b64 s[4:5], s[4:5], 3
	s_waitcnt lgkmcnt(0)
	s_add_u32 s24, s8, s4
	s_addc_u32 s3, s9, s5
	s_lshl_b64 s[4:5], s[14:15], 2
	s_add_u32 s20, s24, s4
	s_addc_u32 s8, s3, s5
	s_and_b32 s25, s3, 0xffff
	s_and_b32 s21, s8, 0xffff
	s_mul_i32 s3, s2, s15
	s_mul_hi_u32 s8, s2, s14
	s_add_i32 s3, s8, s3
	s_mul_i32 s2, s2, s14
	s_lshl_b64 s[2:3], s[2:3], 3
	s_add_u32 s28, s6, s2
	s_addc_u32 s2, s7, s3
	s_add_u32 s36, s28, s4
	s_addc_u32 s3, s2, s5
	s_and_b32 s29, s2, 0xffff
	s_and_b32 s37, s3, 0xffff
	s_mov_b32 s19, 0x20000
	s_add_u32 s34, s0, 48
	s_mov_b32 s23, s19
	v_mov_b32_e32 v5, 0
	s_addc_u32 s35, s1, 0
	s_mov_b64 s[40:41], 0
	s_mov_b32 s30, s22
	s_mov_b32 s31, s19
	;; [unrolled: 1-line block ×6, first 2 shown]
	v_mov_b32_e32 v10, 0x7f800000
	s_mov_b32 s38, s22
	s_mov_b32 s39, s19
	;; [unrolled: 1-line block ×4, first 2 shown]
.LBB169_8:                              ; =>This Inner Loop Header: Depth=1
	v_lshlrev_b32_e32 v0, 2, v4
	buffer_load_dwordx4 v[6:9], v0, s[20:23], 0 offen
	buffer_load_dwordx4 v[12:15], v0, s[36:39], 0 offen
	;; [unrolled: 1-line block ×8, first 2 shown]
	v_lshlrev_b32_e32 v11, 1, v4
	s_waitcnt vmcnt(6)
	v_pk_add_f32 v[0:1], v[14:15], v[8:9]
	v_pk_add_f32 v[2:3], v[12:13], v[6:7]
	s_waitcnt vmcnt(4)
	v_pk_add_f32 v[12:13], v[18:19], v[22:23]
	v_pk_add_f32 v[14:15], v[16:17], v[20:21]
	;; [unrolled: 3-line block ×4, first 2 shown]
	v_mul_f32_e32 v20, 0xbfb8aa3b, v14
	v_mul_f32_e32 v21, 0xbfb8aa3b, v15
	;; [unrolled: 1-line block ×8, first 2 shown]
	v_fma_f32 v28, v14, s33, -v20
	v_rndne_f32_e32 v29, v20
	v_fma_f32 v30, v15, s33, -v21
	v_rndne_f32_e32 v31, v21
	;; [unrolled: 2-line block ×8, first 2 shown]
	v_fmac_f32_e32 v28, 0xb2a5705f, v14
	v_sub_f32_e32 v20, v20, v29
	v_fmac_f32_e32 v30, 0xb2a5705f, v15
	v_sub_f32_e32 v21, v21, v31
	;; [unrolled: 2-line block ×8, first 2 shown]
	v_add_f32_e32 v20, v20, v28
	v_add_f32_e32 v21, v21, v30
	;; [unrolled: 1-line block ×8, first 2 shown]
	v_cvt_i32_f32_e32 v29, v29
	v_cvt_i32_f32_e32 v31, v31
	;; [unrolled: 1-line block ×8, first 2 shown]
	v_exp_f32_e32 v20, v20
	v_exp_f32_e32 v21, v21
	;; [unrolled: 1-line block ×8, first 2 shown]
	v_ldexp_f32 v20, v20, v29
	v_ldexp_f32 v21, v21, v31
	v_cmp_nlt_f32_e32 vcc, s44, v15
	v_ldexp_f32 v22, v22, v33
	v_cmp_nlt_f32_e64 s[0:1], s44, v12
	v_ldexp_f32 v23, v23, v35
	v_cmp_nlt_f32_e64 s[2:3], s44, v13
	;; [unrolled: 2-line block ×6, first 2 shown]
	v_cmp_nlt_f32_e64 s[12:13], s44, v14
	v_cndmask_b32_e32 v21, 0, v21, vcc
	v_cmp_ngt_f32_e32 vcc, s45, v15
	v_cndmask_b32_e64 v20, 0, v20, s[12:13]
	v_cndmask_b32_e64 v22, 0, v22, s[0:1]
	v_cmp_ngt_f32_e64 s[0:1], s45, v12
	v_cndmask_b32_e64 v23, 0, v23, s[2:3]
	v_cmp_ngt_f32_e64 s[2:3], s45, v13
	;; [unrolled: 2-line block ×6, first 2 shown]
	v_cmp_ngt_f32_e64 s[12:13], s45, v14
	v_cndmask_b32_e32 v21, v10, v21, vcc
	v_cndmask_b32_e64 v22, v10, v22, s[0:1]
	v_cndmask_b32_e64 v20, v10, v20, s[12:13]
	;; [unrolled: 1-line block ×7, first 2 shown]
	v_add_f32_e32 v20, 1.0, v20
	v_add_f32_e32 v21, 1.0, v21
	;; [unrolled: 1-line block ×8, first 2 shown]
	v_rcp_f32_e32 v20, v20
	v_rcp_f32_e32 v21, v21
	;; [unrolled: 1-line block ×8, first 2 shown]
	v_pk_mul_f32 v[14:15], v[14:15], v[20:21]
	v_pk_mul_f32 v[12:13], v[12:13], v[22:23]
	v_pk_mul_f32 v[18:19], v[18:19], v[24:25]
	v_pk_mul_f32 v[16:17], v[16:17], v[26:27]
	;;#ASMSTART
	v_pk_mul_f32 v[2:3], v[14:15], v[2:3]
	;;#ASMEND
	;;#ASMSTART
	v_pk_mul_f32 v[0:1], v[12:13], v[0:1]
	;;#ASMEND
	;; [unrolled: 3-line block ×3, first 2 shown]
	s_nop 0
	;;#ASMSTART
	v_pk_mul_f32 v[6:7], v[16:17], v[6:7]
	;;#ASMEND
	s_load_dword s0, s[34:35], 0xc
	v_cvt_f16_f32_e32 v2, v2
	v_cvt_f16_f32_e32 v12, v3
	;; [unrolled: 1-line block ×8, first 2 shown]
	s_waitcnt lgkmcnt(0)
	s_and_b32 s0, s0, 0xffff
	s_lshl_b32 s42, s0, 3
	v_lshl_add_u64 v[4:5], s[42:43], 0, v[4:5]
	v_cmp_le_i64_e32 vcc, s[14:15], v[4:5]
	v_pack_b32_f16 v1, v0, v1
	v_pack_b32_f16 v3, v3, v6
	;; [unrolled: 1-line block ×4, first 2 shown]
	s_or_b64 s[40:41], vcc, s[40:41]
	buffer_store_dwordx4 v[0:3], v11, s[16:19], 0 offen
	s_andn2_b64 exec, exec, s[40:41]
	s_cbranch_execnz .LBB169_8
.LBB169_9:
	s_endpgm
	.section	.rodata,"a",@progbits
	.p2align	6, 0x0
	.amdhsa_kernel _ZN5aiter23act_and_mul_bias_kernelIfDF16_ifTnPFfRKT2_EXadL_ZNS_11silu_kernelIfEEfRKT_EELi8EEEvPT0_PS8_PKT1_PS2_il
		.amdhsa_group_segment_fixed_size 0
		.amdhsa_private_segment_fixed_size 0
		.amdhsa_kernarg_size 304
		.amdhsa_user_sgpr_count 2
		.amdhsa_user_sgpr_dispatch_ptr 0
		.amdhsa_user_sgpr_queue_ptr 0
		.amdhsa_user_sgpr_kernarg_segment_ptr 1
		.amdhsa_user_sgpr_dispatch_id 0
		.amdhsa_user_sgpr_kernarg_preload_length 0
		.amdhsa_user_sgpr_kernarg_preload_offset 0
		.amdhsa_user_sgpr_private_segment_size 0
		.amdhsa_uses_dynamic_stack 0
		.amdhsa_enable_private_segment 0
		.amdhsa_system_sgpr_workgroup_id_x 1
		.amdhsa_system_sgpr_workgroup_id_y 0
		.amdhsa_system_sgpr_workgroup_id_z 0
		.amdhsa_system_sgpr_workgroup_info 0
		.amdhsa_system_vgpr_workitem_id 0
		.amdhsa_next_free_vgpr 44
		.amdhsa_next_free_sgpr 46
		.amdhsa_accum_offset 44
		.amdhsa_reserve_vcc 1
		.amdhsa_float_round_mode_32 0
		.amdhsa_float_round_mode_16_64 0
		.amdhsa_float_denorm_mode_32 3
		.amdhsa_float_denorm_mode_16_64 3
		.amdhsa_dx10_clamp 1
		.amdhsa_ieee_mode 1
		.amdhsa_fp16_overflow 0
		.amdhsa_tg_split 0
		.amdhsa_exception_fp_ieee_invalid_op 0
		.amdhsa_exception_fp_denorm_src 0
		.amdhsa_exception_fp_ieee_div_zero 0
		.amdhsa_exception_fp_ieee_overflow 0
		.amdhsa_exception_fp_ieee_underflow 0
		.amdhsa_exception_fp_ieee_inexact 0
		.amdhsa_exception_int_div_zero 0
	.end_amdhsa_kernel
	.section	.text._ZN5aiter23act_and_mul_bias_kernelIfDF16_ifTnPFfRKT2_EXadL_ZNS_11silu_kernelIfEEfRKT_EELi8EEEvPT0_PS8_PKT1_PS2_il,"axG",@progbits,_ZN5aiter23act_and_mul_bias_kernelIfDF16_ifTnPFfRKT2_EXadL_ZNS_11silu_kernelIfEEfRKT_EELi8EEEvPT0_PS8_PKT1_PS2_il,comdat
.Lfunc_end169:
	.size	_ZN5aiter23act_and_mul_bias_kernelIfDF16_ifTnPFfRKT2_EXadL_ZNS_11silu_kernelIfEEfRKT_EELi8EEEvPT0_PS8_PKT1_PS2_il, .Lfunc_end169-_ZN5aiter23act_and_mul_bias_kernelIfDF16_ifTnPFfRKT2_EXadL_ZNS_11silu_kernelIfEEfRKT_EELi8EEEvPT0_PS8_PKT1_PS2_il
                                        ; -- End function
	.section	.AMDGPU.csdata,"",@progbits
; Kernel info:
; codeLenInByte = 1588
; NumSgprs: 52
; NumVgprs: 44
; NumAgprs: 0
; TotalNumVgprs: 44
; ScratchSize: 0
; MemoryBound: 0
; FloatMode: 240
; IeeeMode: 1
; LDSByteSize: 0 bytes/workgroup (compile time only)
; SGPRBlocks: 6
; VGPRBlocks: 5
; NumSGPRsForWavesPerEU: 52
; NumVGPRsForWavesPerEU: 44
; AccumOffset: 44
; Occupancy: 8
; WaveLimiterHint : 0
; COMPUTE_PGM_RSRC2:SCRATCH_EN: 0
; COMPUTE_PGM_RSRC2:USER_SGPR: 2
; COMPUTE_PGM_RSRC2:TRAP_HANDLER: 0
; COMPUTE_PGM_RSRC2:TGID_X_EN: 1
; COMPUTE_PGM_RSRC2:TGID_Y_EN: 0
; COMPUTE_PGM_RSRC2:TGID_Z_EN: 0
; COMPUTE_PGM_RSRC2:TIDIG_COMP_CNT: 0
; COMPUTE_PGM_RSRC3_GFX90A:ACCUM_OFFSET: 10
; COMPUTE_PGM_RSRC3_GFX90A:TG_SPLIT: 0
	.section	.text._ZN5aiter23act_and_mul_bias_kernelIfDF16_ifTnPFfRKT2_EXadL_ZNS_11silu_kernelIfEEfRKT_EELi4EEEvPT0_PS8_PKT1_PS2_il,"axG",@progbits,_ZN5aiter23act_and_mul_bias_kernelIfDF16_ifTnPFfRKT2_EXadL_ZNS_11silu_kernelIfEEfRKT_EELi4EEEvPT0_PS8_PKT1_PS2_il,comdat
	.protected	_ZN5aiter23act_and_mul_bias_kernelIfDF16_ifTnPFfRKT2_EXadL_ZNS_11silu_kernelIfEEfRKT_EELi4EEEvPT0_PS8_PKT1_PS2_il ; -- Begin function _ZN5aiter23act_and_mul_bias_kernelIfDF16_ifTnPFfRKT2_EXadL_ZNS_11silu_kernelIfEEfRKT_EELi4EEEvPT0_PS8_PKT1_PS2_il
	.globl	_ZN5aiter23act_and_mul_bias_kernelIfDF16_ifTnPFfRKT2_EXadL_ZNS_11silu_kernelIfEEfRKT_EELi4EEEvPT0_PS8_PKT1_PS2_il
	.p2align	8
	.type	_ZN5aiter23act_and_mul_bias_kernelIfDF16_ifTnPFfRKT2_EXadL_ZNS_11silu_kernelIfEEfRKT_EELi4EEEvPT0_PS8_PKT1_PS2_il,@function
_ZN5aiter23act_and_mul_bias_kernelIfDF16_ifTnPFfRKT2_EXadL_ZNS_11silu_kernelIfEEfRKT_EELi4EEEvPT0_PS8_PKT1_PS2_il: ; @_ZN5aiter23act_and_mul_bias_kernelIfDF16_ifTnPFfRKT2_EXadL_ZNS_11silu_kernelIfEEfRKT_EELi4EEEvPT0_PS8_PKT1_PS2_il
; %bb.0:
	s_load_dwordx2 s[4:5], s[0:1], 0x10
	s_load_dword s6, s[0:1], 0x20
	s_load_dwordx2 s[14:15], s[0:1], 0x28
	s_mov_b32 s3, 0
	s_lshl_b64 s[8:9], s[2:3], 2
	s_waitcnt lgkmcnt(0)
	s_add_u32 s8, s4, s8
	s_addc_u32 s9, s5, s9
	s_load_dword s4, s[8:9], 0x0
	s_load_dwordx2 s[10:11], s[0:1], 0x0
	s_ashr_i32 s7, s6, 31
	s_mul_hi_u32 s3, s6, s2
	s_mul_i32 s8, s7, s2
	s_add_i32 s9, s3, s8
	s_mul_i32 s8, s6, s2
	s_waitcnt lgkmcnt(0)
	s_ashr_i32 s5, s4, 31
	s_lshl_b64 s[8:9], s[8:9], 1
	s_add_u32 s8, s10, s8
	s_addc_u32 s3, s11, s9
	s_add_i32 s9, s6, 1
	s_lshr_b32 s10, s9, 31
	v_mov_b64_e32 v[2:3], s[14:15]
	v_cmp_gt_i64_e64 s[16:17], s[4:5], -1
	s_add_i32 s9, s9, s10
	v_cmp_lt_i64_e32 vcc, s[4:5], v[2:3]
	s_lshl_b32 s9, s9, 1
	s_and_b64 s[14:15], s[16:17], vcc
	s_mov_b64 s[12:13], -1
	s_and_b32 s10, s9, -4
	s_and_b32 s9, s3, 0xffff
	s_and_b64 vcc, exec, s[14:15]
	v_lshlrev_b32_e32 v2, 2, v0
	s_cbranch_vccnz .LBB170_5
; %bb.1:
	v_cmp_gt_i32_e32 vcc, s6, v2
	s_and_saveexec_b64 s[12:13], vcc
	s_cbranch_execz .LBB170_4
; %bb.2:
	s_load_dword s3, s[0:1], 0x3c
	v_mov_b32_e32 v3, 0
	s_mov_b32 s15, 0
	v_lshlrev_b32_e32 v6, 3, v0
	s_mov_b64 s[16:17], 0
	s_waitcnt lgkmcnt(0)
	s_and_b32 s3, s3, 0xffff
	s_lshl_b32 s14, s3, 2
	s_lshl_b32 s3, s3, 3
	s_mov_b32 s11, 0x20000
	v_mov_b32_e32 v0, v3
	v_mov_b32_e32 v1, v3
	v_mov_b64_e32 v[4:5], v[2:3]
.LBB170_3:                              ; =>This Inner Loop Header: Depth=1
	v_lshl_add_u64 v[4:5], s[14:15], 0, v[4:5]
	v_cmp_le_i64_e32 vcc, s[6:7], v[4:5]
	buffer_store_dwordx2 v[0:1], v6, s[8:11], 0 offen
	s_or_b64 s[16:17], vcc, s[16:17]
	v_add_u32_e32 v6, s3, v6
	s_andn2_b64 exec, exec, s[16:17]
	s_cbranch_execnz .LBB170_3
.LBB170_4:
	s_or_b64 exec, exec, s[12:13]
	s_mov_b64 s[12:13], 0
.LBB170_5:
	s_andn2_b64 vcc, exec, s[12:13]
	s_cbranch_vccnz .LBB170_9
; %bb.6:
	v_cmp_gt_i32_e32 vcc, s6, v2
	s_and_saveexec_b64 s[12:13], vcc
	s_cbranch_execz .LBB170_9
; %bb.7:
	s_load_dwordx2 s[18:19], s[0:1], 0x8
	s_load_dwordx2 s[12:13], s[0:1], 0x18
	s_mul_hi_i32 s5, s6, s4
	s_mul_i32 s4, s6, s4
	s_lshl_b32 s14, s6, 2
	s_lshl_b64 s[4:5], s[4:5], 3
	s_waitcnt lgkmcnt(0)
	s_add_u32 s16, s12, s4
	s_addc_u32 s3, s13, s5
	s_lshl_b64 s[4:5], s[6:7], 2
	s_add_u32 s12, s16, s4
	s_addc_u32 s13, s3, s5
	s_and_b32 s17, s3, 0xffff
	s_mul_i32 s3, s2, s7
	s_mul_hi_u32 s20, s2, s6
	s_add_i32 s3, s20, s3
	s_mul_i32 s2, s2, s6
	s_and_b32 s13, s13, 0xffff
	s_lshl_b64 s[2:3], s[2:3], 3
	s_add_u32 s20, s18, s2
	s_addc_u32 s2, s19, s3
	s_add_u32 s24, s20, s4
	s_addc_u32 s3, s2, s5
	s_and_b32 s21, s2, 0xffff
	s_and_b32 s25, s3, 0xffff
	s_mov_b32 s11, 0x20000
	s_add_u32 s28, s0, 48
	s_mov_b32 s15, s11
	v_mov_b32_e32 v3, 0
	s_addc_u32 s29, s1, 0
	s_mov_b64 s[30:31], 0
	s_mov_b32 s22, s14
	s_mov_b32 s23, s11
	;; [unrolled: 1-line block ×6, first 2 shown]
	v_mov_b32_e32 v0, 0x7f800000
	s_mov_b32 s26, s14
	s_mov_b32 s27, s11
	;; [unrolled: 1-line block ×4, first 2 shown]
.LBB170_8:                              ; =>This Inner Loop Header: Depth=1
	v_lshlrev_b32_e32 v1, 2, v2
	buffer_load_dwordx4 v[4:7], v1, s[20:23], 0 offen
	buffer_load_dwordx4 v[8:11], v1, s[24:27], 0 offen
	;; [unrolled: 1-line block ×4, first 2 shown]
	v_lshlrev_b32_e32 v1, 1, v2
	s_waitcnt vmcnt(1)
	v_pk_add_f32 v[6:7], v[6:7], v[14:15]
	v_pk_add_f32 v[4:5], v[4:5], v[12:13]
	v_mul_f32_e32 v14, 0xbfb8aa3b, v6
	v_mul_f32_e32 v12, 0xbfb8aa3b, v4
	;; [unrolled: 1-line block ×4, first 2 shown]
	s_waitcnt vmcnt(0)
	v_pk_add_f32 v[10:11], v[10:11], v[18:19]
	v_pk_add_f32 v[8:9], v[8:9], v[16:17]
	v_fma_f32 v16, v4, s33, -v12
	v_rndne_f32_e32 v17, v12
	v_fma_f32 v18, v5, s33, -v13
	v_rndne_f32_e32 v19, v13
	;; [unrolled: 2-line block ×4, first 2 shown]
	v_fmac_f32_e32 v16, 0xb2a5705f, v4
	v_sub_f32_e32 v12, v12, v17
	v_fmac_f32_e32 v18, 0xb2a5705f, v5
	v_sub_f32_e32 v13, v13, v19
	v_fmac_f32_e32 v20, 0xb2a5705f, v6
	v_sub_f32_e32 v14, v14, v21
	v_fmac_f32_e32 v22, 0xb2a5705f, v7
	v_sub_f32_e32 v15, v15, v23
	v_add_f32_e32 v12, v12, v16
	v_add_f32_e32 v13, v13, v18
	;; [unrolled: 1-line block ×4, first 2 shown]
	v_cvt_i32_f32_e32 v17, v17
	v_cvt_i32_f32_e32 v19, v19
	;; [unrolled: 1-line block ×4, first 2 shown]
	v_exp_f32_e32 v12, v12
	v_exp_f32_e32 v13, v13
	v_exp_f32_e32 v14, v14
	v_exp_f32_e32 v15, v15
	v_ldexp_f32 v12, v12, v17
	v_ldexp_f32 v13, v13, v19
	v_cmp_nlt_f32_e32 vcc, s36, v5
	v_ldexp_f32 v14, v14, v21
	v_cmp_nlt_f32_e64 s[0:1], s36, v6
	v_ldexp_f32 v15, v15, v23
	v_cmp_nlt_f32_e64 s[2:3], s36, v7
	v_cmp_nlt_f32_e64 s[4:5], s36, v4
	v_cndmask_b32_e32 v13, 0, v13, vcc
	v_cmp_ngt_f32_e32 vcc, s37, v5
	v_cndmask_b32_e64 v12, 0, v12, s[4:5]
	v_cndmask_b32_e64 v14, 0, v14, s[0:1]
	v_cmp_ngt_f32_e64 s[0:1], s37, v6
	v_cndmask_b32_e64 v15, 0, v15, s[2:3]
	v_cmp_ngt_f32_e64 s[2:3], s37, v7
	v_cmp_ngt_f32_e64 s[4:5], s37, v4
	v_cndmask_b32_e32 v13, v0, v13, vcc
	v_cndmask_b32_e64 v14, v0, v14, s[0:1]
	v_cndmask_b32_e64 v12, v0, v12, s[4:5]
	;; [unrolled: 1-line block ×3, first 2 shown]
	v_add_f32_e32 v12, 1.0, v12
	v_add_f32_e32 v13, 1.0, v13
	v_add_f32_e32 v14, 1.0, v14
	v_add_f32_e32 v15, 1.0, v15
	v_rcp_f32_e32 v12, v12
	v_rcp_f32_e32 v13, v13
	v_rcp_f32_e32 v14, v14
	v_rcp_f32_e32 v15, v15
	v_pk_mul_f32 v[4:5], v[4:5], v[12:13]
	s_nop 0
	;;#ASMSTART
	v_pk_mul_f32 v[4:5], v[4:5], v[8:9]
	;;#ASMEND
	v_pk_mul_f32 v[6:7], v[6:7], v[14:15]
	v_cvt_f16_f32_e32 v4, v4
	;;#ASMSTART
	v_pk_mul_f32 v[6:7], v[6:7], v[10:11]
	;;#ASMEND
	s_load_dword s0, s[28:29], 0xc
	v_cvt_f16_f32_e32 v6, v6
	v_cvt_f16_f32_e32 v7, v7
	;; [unrolled: 1-line block ×3, first 2 shown]
	s_waitcnt lgkmcnt(0)
	s_and_b32 s0, s0, 0xffff
	s_lshl_b32 s34, s0, 2
	v_lshl_add_u64 v[2:3], s[34:35], 0, v[2:3]
	v_cmp_le_i64_e32 vcc, s[6:7], v[2:3]
	v_pack_b32_f16 v5, v6, v7
	v_pack_b32_f16 v4, v4, v8
	s_or_b64 s[30:31], vcc, s[30:31]
	buffer_store_dwordx2 v[4:5], v1, s[8:11], 0 offen
	s_andn2_b64 exec, exec, s[30:31]
	s_cbranch_execnz .LBB170_8
.LBB170_9:
	s_endpgm
	.section	.rodata,"a",@progbits
	.p2align	6, 0x0
	.amdhsa_kernel _ZN5aiter23act_and_mul_bias_kernelIfDF16_ifTnPFfRKT2_EXadL_ZNS_11silu_kernelIfEEfRKT_EELi4EEEvPT0_PS8_PKT1_PS2_il
		.amdhsa_group_segment_fixed_size 0
		.amdhsa_private_segment_fixed_size 0
		.amdhsa_kernarg_size 304
		.amdhsa_user_sgpr_count 2
		.amdhsa_user_sgpr_dispatch_ptr 0
		.amdhsa_user_sgpr_queue_ptr 0
		.amdhsa_user_sgpr_kernarg_segment_ptr 1
		.amdhsa_user_sgpr_dispatch_id 0
		.amdhsa_user_sgpr_kernarg_preload_length 0
		.amdhsa_user_sgpr_kernarg_preload_offset 0
		.amdhsa_user_sgpr_private_segment_size 0
		.amdhsa_uses_dynamic_stack 0
		.amdhsa_enable_private_segment 0
		.amdhsa_system_sgpr_workgroup_id_x 1
		.amdhsa_system_sgpr_workgroup_id_y 0
		.amdhsa_system_sgpr_workgroup_id_z 0
		.amdhsa_system_sgpr_workgroup_info 0
		.amdhsa_system_vgpr_workitem_id 0
		.amdhsa_next_free_vgpr 24
		.amdhsa_next_free_sgpr 38
		.amdhsa_accum_offset 24
		.amdhsa_reserve_vcc 1
		.amdhsa_float_round_mode_32 0
		.amdhsa_float_round_mode_16_64 0
		.amdhsa_float_denorm_mode_32 3
		.amdhsa_float_denorm_mode_16_64 3
		.amdhsa_dx10_clamp 1
		.amdhsa_ieee_mode 1
		.amdhsa_fp16_overflow 0
		.amdhsa_tg_split 0
		.amdhsa_exception_fp_ieee_invalid_op 0
		.amdhsa_exception_fp_denorm_src 0
		.amdhsa_exception_fp_ieee_div_zero 0
		.amdhsa_exception_fp_ieee_overflow 0
		.amdhsa_exception_fp_ieee_underflow 0
		.amdhsa_exception_fp_ieee_inexact 0
		.amdhsa_exception_int_div_zero 0
	.end_amdhsa_kernel
	.section	.text._ZN5aiter23act_and_mul_bias_kernelIfDF16_ifTnPFfRKT2_EXadL_ZNS_11silu_kernelIfEEfRKT_EELi4EEEvPT0_PS8_PKT1_PS2_il,"axG",@progbits,_ZN5aiter23act_and_mul_bias_kernelIfDF16_ifTnPFfRKT2_EXadL_ZNS_11silu_kernelIfEEfRKT_EELi4EEEvPT0_PS8_PKT1_PS2_il,comdat
.Lfunc_end170:
	.size	_ZN5aiter23act_and_mul_bias_kernelIfDF16_ifTnPFfRKT2_EXadL_ZNS_11silu_kernelIfEEfRKT_EELi4EEEvPT0_PS8_PKT1_PS2_il, .Lfunc_end170-_ZN5aiter23act_and_mul_bias_kernelIfDF16_ifTnPFfRKT2_EXadL_ZNS_11silu_kernelIfEEfRKT_EELi4EEEvPT0_PS8_PKT1_PS2_il
                                        ; -- End function
	.section	.AMDGPU.csdata,"",@progbits
; Kernel info:
; codeLenInByte = 1076
; NumSgprs: 44
; NumVgprs: 24
; NumAgprs: 0
; TotalNumVgprs: 24
; ScratchSize: 0
; MemoryBound: 0
; FloatMode: 240
; IeeeMode: 1
; LDSByteSize: 0 bytes/workgroup (compile time only)
; SGPRBlocks: 5
; VGPRBlocks: 2
; NumSGPRsForWavesPerEU: 44
; NumVGPRsForWavesPerEU: 24
; AccumOffset: 24
; Occupancy: 8
; WaveLimiterHint : 0
; COMPUTE_PGM_RSRC2:SCRATCH_EN: 0
; COMPUTE_PGM_RSRC2:USER_SGPR: 2
; COMPUTE_PGM_RSRC2:TRAP_HANDLER: 0
; COMPUTE_PGM_RSRC2:TGID_X_EN: 1
; COMPUTE_PGM_RSRC2:TGID_Y_EN: 0
; COMPUTE_PGM_RSRC2:TGID_Z_EN: 0
; COMPUTE_PGM_RSRC2:TIDIG_COMP_CNT: 0
; COMPUTE_PGM_RSRC3_GFX90A:ACCUM_OFFSET: 5
; COMPUTE_PGM_RSRC3_GFX90A:TG_SPLIT: 0
	.section	.text._ZN5aiter23act_and_mul_bias_kernelIfDF16_ifTnPFfRKT2_EXadL_ZNS_11silu_kernelIfEEfRKT_EELi2EEEvPT0_PS8_PKT1_PS2_il,"axG",@progbits,_ZN5aiter23act_and_mul_bias_kernelIfDF16_ifTnPFfRKT2_EXadL_ZNS_11silu_kernelIfEEfRKT_EELi2EEEvPT0_PS8_PKT1_PS2_il,comdat
	.protected	_ZN5aiter23act_and_mul_bias_kernelIfDF16_ifTnPFfRKT2_EXadL_ZNS_11silu_kernelIfEEfRKT_EELi2EEEvPT0_PS8_PKT1_PS2_il ; -- Begin function _ZN5aiter23act_and_mul_bias_kernelIfDF16_ifTnPFfRKT2_EXadL_ZNS_11silu_kernelIfEEfRKT_EELi2EEEvPT0_PS8_PKT1_PS2_il
	.globl	_ZN5aiter23act_and_mul_bias_kernelIfDF16_ifTnPFfRKT2_EXadL_ZNS_11silu_kernelIfEEfRKT_EELi2EEEvPT0_PS8_PKT1_PS2_il
	.p2align	8
	.type	_ZN5aiter23act_and_mul_bias_kernelIfDF16_ifTnPFfRKT2_EXadL_ZNS_11silu_kernelIfEEfRKT_EELi2EEEvPT0_PS8_PKT1_PS2_il,@function
_ZN5aiter23act_and_mul_bias_kernelIfDF16_ifTnPFfRKT2_EXadL_ZNS_11silu_kernelIfEEfRKT_EELi2EEEvPT0_PS8_PKT1_PS2_il: ; @_ZN5aiter23act_and_mul_bias_kernelIfDF16_ifTnPFfRKT2_EXadL_ZNS_11silu_kernelIfEEfRKT_EELi2EEEvPT0_PS8_PKT1_PS2_il
; %bb.0:
	s_load_dwordx2 s[4:5], s[0:1], 0x10
	s_load_dword s24, s[0:1], 0x20
	s_load_dwordx2 s[12:13], s[0:1], 0x28
	s_mov_b32 s3, 0
	s_lshl_b64 s[6:7], s[2:3], 2
	s_waitcnt lgkmcnt(0)
	s_add_u32 s4, s4, s6
	s_addc_u32 s5, s5, s7
	s_load_dword s8, s[4:5], 0x0
	s_load_dwordx2 s[6:7], s[0:1], 0x0
	s_ashr_i32 s25, s24, 31
	s_mul_hi_u32 s3, s24, s2
	s_mul_i32 s4, s25, s2
	s_add_i32 s5, s3, s4
	s_mul_i32 s4, s24, s2
	s_waitcnt lgkmcnt(0)
	s_ashr_i32 s9, s8, 31
	s_lshl_b64 s[4:5], s[4:5], 1
	s_add_u32 s4, s6, s4
	s_addc_u32 s3, s7, s5
	s_add_i32 s5, s24, 1
	s_lshr_b32 s6, s5, 31
	v_mov_b64_e32 v[2:3], s[12:13]
	v_cmp_gt_i64_e64 s[14:15], s[8:9], -1
	s_add_i32 s5, s5, s6
	v_cmp_lt_i64_e32 vcc, s[8:9], v[2:3]
	s_lshl_b32 s5, s5, 1
	s_and_b64 s[12:13], s[14:15], vcc
	s_mov_b64 s[10:11], -1
	s_and_b32 s6, s5, -4
	s_and_b32 s5, s3, 0xffff
	s_and_b64 vcc, exec, s[12:13]
	v_lshlrev_b32_e32 v2, 1, v0
	s_cbranch_vccnz .LBB171_5
; %bb.1:
	v_cmp_gt_i32_e32 vcc, s24, v2
	s_and_saveexec_b64 s[10:11], vcc
	s_cbranch_execz .LBB171_4
; %bb.2:
	s_load_dword s3, s[0:1], 0x3c
	v_mov_b32_e32 v3, 0
	s_mov_b32 s13, 0
	v_lshlrev_b32_e32 v4, 2, v0
	s_mov_b64 s[14:15], 0
	s_waitcnt lgkmcnt(0)
	s_and_b32 s3, s3, 0xffff
	s_lshl_b32 s12, s3, 1
	s_lshl_b32 s3, s3, 2
	s_mov_b32 s7, 0x20000
	v_mov_b64_e32 v[0:1], v[2:3]
.LBB171_3:                              ; =>This Inner Loop Header: Depth=1
	v_lshl_add_u64 v[0:1], s[12:13], 0, v[0:1]
	v_cmp_le_i64_e32 vcc, s[24:25], v[0:1]
	buffer_store_dword v3, v4, s[4:7], 0 offen
	s_or_b64 s[14:15], vcc, s[14:15]
	v_add_u32_e32 v4, s3, v4
	s_andn2_b64 exec, exec, s[14:15]
	s_cbranch_execnz .LBB171_3
.LBB171_4:
	s_or_b64 exec, exec, s[10:11]
	s_mov_b64 s[10:11], 0
.LBB171_5:
	s_andn2_b64 vcc, exec, s[10:11]
	s_cbranch_vccnz .LBB171_9
; %bb.6:
	v_cmp_gt_i32_e32 vcc, s24, v2
	s_and_saveexec_b64 s[10:11], vcc
	s_cbranch_execz .LBB171_9
; %bb.7:
	s_load_dwordx2 s[14:15], s[0:1], 0x8
	s_load_dwordx2 s[12:13], s[0:1], 0x18
	s_mul_hi_i32 s9, s24, s8
	s_mul_i32 s8, s24, s8
	s_lshl_b32 s10, s24, 2
	s_lshl_b64 s[8:9], s[8:9], 3
	s_waitcnt lgkmcnt(0)
	s_add_u32 s12, s12, s8
	s_addc_u32 s3, s13, s9
	s_lshl_b64 s[18:19], s[24:25], 2
	s_add_u32 s8, s12, s18
	s_addc_u32 s9, s3, s19
	s_and_b32 s13, s3, 0xffff
	s_mul_i32 s3, s2, s25
	s_mul_hi_u32 s16, s2, s24
	s_add_i32 s3, s16, s3
	s_mul_i32 s2, s2, s24
	s_and_b32 s9, s9, 0xffff
	s_lshl_b64 s[2:3], s[2:3], 3
	s_add_u32 s16, s14, s2
	s_addc_u32 s2, s15, s3
	s_add_u32 s20, s16, s18
	s_addc_u32 s3, s2, s19
	s_and_b32 s17, s2, 0xffff
	s_and_b32 s21, s3, 0xffff
	s_mov_b32 s7, 0x20000
	s_add_u32 s2, s0, 48
	s_mov_b32 s11, s7
	v_mov_b32_e32 v3, 0
	s_addc_u32 s3, s1, 0
	s_mov_b64 s[26:27], 0
	s_mov_b32 s18, s10
	s_mov_b32 s19, s7
	;; [unrolled: 1-line block ×6, first 2 shown]
	v_mov_b32_e32 v0, 0x7f800000
	s_mov_b32 s22, s10
	s_mov_b32 s23, s7
	;; [unrolled: 1-line block ×4, first 2 shown]
.LBB171_8:                              ; =>This Inner Loop Header: Depth=1
	v_lshlrev_b32_e32 v1, 2, v2
	buffer_load_dwordx2 v[4:5], v1, s[16:19], 0 offen
	buffer_load_dwordx2 v[6:7], v1, s[20:23], 0 offen
	;; [unrolled: 1-line block ×4, first 2 shown]
	v_lshlrev_b32_e32 v1, 1, v2
	s_waitcnt vmcnt(1)
	v_pk_add_f32 v[4:5], v[4:5], v[8:9]
	s_nop 0
	v_mul_f32_e32 v8, 0xbfb8aa3b, v5
	v_mul_f32_e32 v9, 0xbfb8aa3b, v4
	s_waitcnt vmcnt(0)
	v_pk_add_f32 v[6:7], v[6:7], v[10:11]
	v_fma_f32 v10, v5, s30, -v8
	v_rndne_f32_e32 v11, v8
	v_fma_f32 v12, v4, s30, -v9
	v_rndne_f32_e32 v13, v9
	v_fmac_f32_e32 v10, 0xb2a5705f, v5
	v_sub_f32_e32 v8, v8, v11
	v_fmac_f32_e32 v12, 0xb2a5705f, v4
	v_sub_f32_e32 v9, v9, v13
	v_add_f32_e32 v8, v8, v10
	v_add_f32_e32 v9, v9, v12
	v_cvt_i32_f32_e32 v11, v11
	v_cvt_i32_f32_e32 v13, v13
	v_exp_f32_e32 v8, v8
	v_exp_f32_e32 v9, v9
	v_cmp_nlt_f32_e32 vcc, s31, v4
	v_cmp_nlt_f32_e64 s[0:1], s31, v5
	v_ldexp_f32 v8, v8, v11
	v_ldexp_f32 v9, v9, v13
	v_cndmask_b32_e64 v8, 0, v8, s[0:1]
	v_cndmask_b32_e32 v9, 0, v9, vcc
	v_cmp_ngt_f32_e32 vcc, s33, v4
	v_cmp_ngt_f32_e64 s[0:1], s33, v5
	s_nop 0
	v_cndmask_b32_e32 v9, v0, v9, vcc
	v_cndmask_b32_e64 v8, v0, v8, s[0:1]
	v_add_f32_e32 v8, 1.0, v8
	v_add_f32_e32 v10, 1.0, v9
	v_rcp_f32_e32 v9, v8
	v_rcp_f32_e32 v8, v10
	s_nop 0
	v_pk_mul_f32 v[4:5], v[4:5], v[8:9]
	s_nop 0
	;;#ASMSTART
	v_pk_mul_f32 v[4:5], v[4:5], v[6:7]
	;;#ASMEND
	s_load_dword s0, s[2:3], 0xc
	v_cvt_f16_f32_e32 v4, v4
	v_cvt_f16_f32_e32 v5, v5
	s_waitcnt lgkmcnt(0)
	s_and_b32 s0, s0, 0xffff
	s_lshl_b32 s28, s0, 1
	v_lshl_add_u64 v[2:3], s[28:29], 0, v[2:3]
	v_cmp_le_i64_e32 vcc, s[24:25], v[2:3]
	v_pack_b32_f16 v4, v4, v5
	s_or_b64 s[26:27], vcc, s[26:27]
	buffer_store_dword v4, v1, s[4:7], 0 offen
	s_andn2_b64 exec, exec, s[26:27]
	s_cbranch_execnz .LBB171_8
.LBB171_9:
	s_endpgm
	.section	.rodata,"a",@progbits
	.p2align	6, 0x0
	.amdhsa_kernel _ZN5aiter23act_and_mul_bias_kernelIfDF16_ifTnPFfRKT2_EXadL_ZNS_11silu_kernelIfEEfRKT_EELi2EEEvPT0_PS8_PKT1_PS2_il
		.amdhsa_group_segment_fixed_size 0
		.amdhsa_private_segment_fixed_size 0
		.amdhsa_kernarg_size 304
		.amdhsa_user_sgpr_count 2
		.amdhsa_user_sgpr_dispatch_ptr 0
		.amdhsa_user_sgpr_queue_ptr 0
		.amdhsa_user_sgpr_kernarg_segment_ptr 1
		.amdhsa_user_sgpr_dispatch_id 0
		.amdhsa_user_sgpr_kernarg_preload_length 0
		.amdhsa_user_sgpr_kernarg_preload_offset 0
		.amdhsa_user_sgpr_private_segment_size 0
		.amdhsa_uses_dynamic_stack 0
		.amdhsa_enable_private_segment 0
		.amdhsa_system_sgpr_workgroup_id_x 1
		.amdhsa_system_sgpr_workgroup_id_y 0
		.amdhsa_system_sgpr_workgroup_id_z 0
		.amdhsa_system_sgpr_workgroup_info 0
		.amdhsa_system_vgpr_workitem_id 0
		.amdhsa_next_free_vgpr 14
		.amdhsa_next_free_sgpr 34
		.amdhsa_accum_offset 16
		.amdhsa_reserve_vcc 1
		.amdhsa_float_round_mode_32 0
		.amdhsa_float_round_mode_16_64 0
		.amdhsa_float_denorm_mode_32 3
		.amdhsa_float_denorm_mode_16_64 3
		.amdhsa_dx10_clamp 1
		.amdhsa_ieee_mode 1
		.amdhsa_fp16_overflow 0
		.amdhsa_tg_split 0
		.amdhsa_exception_fp_ieee_invalid_op 0
		.amdhsa_exception_fp_denorm_src 0
		.amdhsa_exception_fp_ieee_div_zero 0
		.amdhsa_exception_fp_ieee_overflow 0
		.amdhsa_exception_fp_ieee_underflow 0
		.amdhsa_exception_fp_ieee_inexact 0
		.amdhsa_exception_int_div_zero 0
	.end_amdhsa_kernel
	.section	.text._ZN5aiter23act_and_mul_bias_kernelIfDF16_ifTnPFfRKT2_EXadL_ZNS_11silu_kernelIfEEfRKT_EELi2EEEvPT0_PS8_PKT1_PS2_il,"axG",@progbits,_ZN5aiter23act_and_mul_bias_kernelIfDF16_ifTnPFfRKT2_EXadL_ZNS_11silu_kernelIfEEfRKT_EELi2EEEvPT0_PS8_PKT1_PS2_il,comdat
.Lfunc_end171:
	.size	_ZN5aiter23act_and_mul_bias_kernelIfDF16_ifTnPFfRKT2_EXadL_ZNS_11silu_kernelIfEEfRKT_EELi2EEEvPT0_PS8_PKT1_PS2_il, .Lfunc_end171-_ZN5aiter23act_and_mul_bias_kernelIfDF16_ifTnPFfRKT2_EXadL_ZNS_11silu_kernelIfEEfRKT_EELi2EEEvPT0_PS8_PKT1_PS2_il
                                        ; -- End function
	.section	.AMDGPU.csdata,"",@progbits
; Kernel info:
; codeLenInByte = 848
; NumSgprs: 40
; NumVgprs: 14
; NumAgprs: 0
; TotalNumVgprs: 14
; ScratchSize: 0
; MemoryBound: 0
; FloatMode: 240
; IeeeMode: 1
; LDSByteSize: 0 bytes/workgroup (compile time only)
; SGPRBlocks: 4
; VGPRBlocks: 1
; NumSGPRsForWavesPerEU: 40
; NumVGPRsForWavesPerEU: 14
; AccumOffset: 16
; Occupancy: 8
; WaveLimiterHint : 0
; COMPUTE_PGM_RSRC2:SCRATCH_EN: 0
; COMPUTE_PGM_RSRC2:USER_SGPR: 2
; COMPUTE_PGM_RSRC2:TRAP_HANDLER: 0
; COMPUTE_PGM_RSRC2:TGID_X_EN: 1
; COMPUTE_PGM_RSRC2:TGID_Y_EN: 0
; COMPUTE_PGM_RSRC2:TGID_Z_EN: 0
; COMPUTE_PGM_RSRC2:TIDIG_COMP_CNT: 0
; COMPUTE_PGM_RSRC3_GFX90A:ACCUM_OFFSET: 3
; COMPUTE_PGM_RSRC3_GFX90A:TG_SPLIT: 0
	.section	.text._ZN5aiter23act_and_mul_bias_kernelIfDF16_ifTnPFfRKT2_EXadL_ZNS_11silu_kernelIfEEfRKT_EELi1EEEvPT0_PS8_PKT1_PS2_il,"axG",@progbits,_ZN5aiter23act_and_mul_bias_kernelIfDF16_ifTnPFfRKT2_EXadL_ZNS_11silu_kernelIfEEfRKT_EELi1EEEvPT0_PS8_PKT1_PS2_il,comdat
	.protected	_ZN5aiter23act_and_mul_bias_kernelIfDF16_ifTnPFfRKT2_EXadL_ZNS_11silu_kernelIfEEfRKT_EELi1EEEvPT0_PS8_PKT1_PS2_il ; -- Begin function _ZN5aiter23act_and_mul_bias_kernelIfDF16_ifTnPFfRKT2_EXadL_ZNS_11silu_kernelIfEEfRKT_EELi1EEEvPT0_PS8_PKT1_PS2_il
	.globl	_ZN5aiter23act_and_mul_bias_kernelIfDF16_ifTnPFfRKT2_EXadL_ZNS_11silu_kernelIfEEfRKT_EELi1EEEvPT0_PS8_PKT1_PS2_il
	.p2align	8
	.type	_ZN5aiter23act_and_mul_bias_kernelIfDF16_ifTnPFfRKT2_EXadL_ZNS_11silu_kernelIfEEfRKT_EELi1EEEvPT0_PS8_PKT1_PS2_il,@function
_ZN5aiter23act_and_mul_bias_kernelIfDF16_ifTnPFfRKT2_EXadL_ZNS_11silu_kernelIfEEfRKT_EELi1EEEvPT0_PS8_PKT1_PS2_il: ; @_ZN5aiter23act_and_mul_bias_kernelIfDF16_ifTnPFfRKT2_EXadL_ZNS_11silu_kernelIfEEfRKT_EELi1EEEvPT0_PS8_PKT1_PS2_il
; %bb.0:
	s_load_dwordx2 s[4:5], s[0:1], 0x10
	s_load_dword s20, s[0:1], 0x20
	s_load_dwordx2 s[14:15], s[0:1], 0x28
	s_mov_b32 s3, 0
	s_lshl_b64 s[6:7], s[2:3], 2
	s_waitcnt lgkmcnt(0)
	s_add_u32 s4, s4, s6
	s_addc_u32 s5, s5, s7
	s_load_dword s12, s[4:5], 0x0
	s_load_dwordx2 s[8:9], s[0:1], 0x0
	s_ashr_i32 s21, s20, 31
	s_mul_hi_u32 s3, s20, s2
	s_mul_i32 s10, s21, s2
	s_add_i32 s11, s3, s10
	s_mul_i32 s10, s20, s2
	s_waitcnt lgkmcnt(0)
	s_ashr_i32 s13, s12, 31
	s_lshl_b64 s[10:11], s[10:11], 1
	s_add_u32 s8, s8, s10
	s_addc_u32 s3, s9, s11
	s_add_i32 s9, s20, 1
	s_lshr_b32 s10, s9, 31
	v_mov_b64_e32 v[2:3], s[14:15]
	v_cmp_gt_i64_e64 s[4:5], s[12:13], -1
	s_add_i32 s9, s9, s10
	v_cmp_lt_i64_e32 vcc, s[12:13], v[2:3]
	s_lshl_b32 s9, s9, 1
	s_and_b64 s[4:5], s[4:5], vcc
	s_mov_b64 s[6:7], -1
	s_and_b32 s10, s9, -4
	s_and_b32 s9, s3, 0xffff
	s_and_b64 vcc, exec, s[4:5]
	v_cmp_gt_i32_e64 s[4:5], s20, v0
	s_cbranch_vccnz .LBB172_5
; %bb.1:
	s_and_saveexec_b64 s[6:7], s[4:5]
	s_cbranch_execz .LBB172_4
; %bb.2:
	s_load_dword s3, s[0:1], 0x3c
	v_mov_b32_e32 v1, 0
	s_mov_b32 s5, 0
	v_lshlrev_b32_e32 v4, 1, v0
	s_mov_b64 s[14:15], 0
	s_waitcnt lgkmcnt(0)
	s_and_b32 s4, s3, 0xffff
	s_lshl_b32 s3, s4, 1
	s_mov_b32 s11, 0x20000
	v_mov_b64_e32 v[2:3], v[0:1]
.LBB172_3:                              ; =>This Inner Loop Header: Depth=1
	v_lshl_add_u64 v[2:3], v[2:3], 0, s[4:5]
	v_cmp_le_i64_e32 vcc, s[20:21], v[2:3]
	buffer_store_short v1, v4, s[8:11], 0 offen
	s_or_b64 s[14:15], vcc, s[14:15]
	v_add_u32_e32 v4, s3, v4
	s_andn2_b64 exec, exec, s[14:15]
	s_cbranch_execnz .LBB172_3
.LBB172_4:
	s_or_b64 exec, exec, s[6:7]
	s_mov_b64 s[6:7], 0
.LBB172_5:
	s_andn2_b64 vcc, exec, s[6:7]
	s_cbranch_vccnz .LBB172_9
; %bb.6:
	v_cmp_gt_i32_e32 vcc, s20, v0
	s_and_saveexec_b64 s[4:5], vcc
	s_cbranch_execz .LBB172_9
; %bb.7:
	s_load_dwordx2 s[14:15], s[0:1], 0x8
	s_load_dwordx2 s[4:5], s[0:1], 0x18
	s_mul_hi_i32 s13, s20, s12
	s_mul_i32 s12, s20, s12
	s_lshl_b32 s6, s20, 2
	s_lshl_b64 s[12:13], s[12:13], 3
	s_load_dword s18, s[0:1], 0x3c
	s_waitcnt lgkmcnt(0)
	s_add_u32 s0, s4, s12
	s_addc_u32 s1, s5, s13
	s_lshl_b64 s[16:17], s[20:21], 2
	s_add_u32 s4, s0, s16
	s_addc_u32 s3, s1, s17
	s_and_b32 s5, s3, 0xffff
	s_mul_i32 s3, s2, s21
	s_mul_hi_u32 s12, s2, s20
	s_add_i32 s3, s12, s3
	s_mul_i32 s2, s2, s20
	s_and_b32 s1, s1, 0xffff
	s_lshl_b64 s[2:3], s[2:3], 3
	s_add_u32 s12, s14, s2
	s_addc_u32 s2, s15, s3
	s_add_u32 s16, s12, s16
	s_mov_b32 s11, 0x20000
	s_addc_u32 s3, s2, s17
	s_and_b32 s22, s18, 0xffff
	s_mov_b32 s7, s11
	s_and_b32 s13, s2, 0xffff
	s_and_b32 s17, s3, 0xffff
	s_mov_b32 s23, 0
	v_mov_b32_e32 v1, 0
	v_lshlrev_b32_e32 v2, 1, v0
	s_lshl_b32 s26, s22, 1
	v_lshlrev_b32_e32 v3, 2, v0
	s_lshl_b32 s27, s22, 2
	s_mov_b64 s[24:25], 0
	s_mov_b32 s14, s6
	s_mov_b32 s15, s11
	;; [unrolled: 1-line block ×5, first 2 shown]
	v_mov_b32_e32 v4, 0x7f800000
	s_mov_b32 s18, s6
	s_mov_b32 s19, s11
	;; [unrolled: 1-line block ×4, first 2 shown]
.LBB172_8:                              ; =>This Inner Loop Header: Depth=1
	buffer_load_dword v7, v3, s[12:15], 0 offen
	buffer_load_dword v6, v3, s[16:19], 0 offen
	;; [unrolled: 1-line block ×4, first 2 shown]
	v_lshl_add_u64 v[0:1], v[0:1], 0, s[22:23]
	v_add_u32_e32 v3, s27, v3
	s_waitcnt vmcnt(0)
	v_pk_add_f32 v[6:7], v[6:7], v[8:9]
	s_nop 0
	v_mul_f32_e32 v5, 0xbfb8aa3b, v7
	v_fma_f32 v8, v7, s28, -v5
	v_rndne_f32_e32 v9, v5
	v_fmac_f32_e32 v8, 0xb2a5705f, v7
	v_sub_f32_e32 v5, v5, v9
	v_add_f32_e32 v5, v5, v8
	v_cvt_i32_f32_e32 v9, v9
	v_exp_f32_e32 v5, v5
	v_cmp_nlt_f32_e32 vcc, s29, v7
	v_ldexp_f32 v5, v5, v9
	s_nop 0
	v_cndmask_b32_e32 v5, 0, v5, vcc
	v_cmp_ngt_f32_e32 vcc, s30, v7
	s_nop 1
	v_cndmask_b32_e32 v5, v4, v5, vcc
	v_add_f32_e32 v5, 1.0, v5
	v_rcp_f32_e32 v5, v5
	v_cmp_le_i64_e32 vcc, s[20:21], v[0:1]
	s_or_b64 s[24:25], vcc, s[24:25]
	v_mul_f32_e32 v5, v7, v5
	v_fma_mixlo_f16 v5, v6, v5, 0
	buffer_store_short v5, v2, s[8:11], 0 offen
	v_add_u32_e32 v2, s26, v2
	s_andn2_b64 exec, exec, s[24:25]
	s_cbranch_execnz .LBB172_8
.LBB172_9:
	s_endpgm
	.section	.rodata,"a",@progbits
	.p2align	6, 0x0
	.amdhsa_kernel _ZN5aiter23act_and_mul_bias_kernelIfDF16_ifTnPFfRKT2_EXadL_ZNS_11silu_kernelIfEEfRKT_EELi1EEEvPT0_PS8_PKT1_PS2_il
		.amdhsa_group_segment_fixed_size 0
		.amdhsa_private_segment_fixed_size 0
		.amdhsa_kernarg_size 304
		.amdhsa_user_sgpr_count 2
		.amdhsa_user_sgpr_dispatch_ptr 0
		.amdhsa_user_sgpr_queue_ptr 0
		.amdhsa_user_sgpr_kernarg_segment_ptr 1
		.amdhsa_user_sgpr_dispatch_id 0
		.amdhsa_user_sgpr_kernarg_preload_length 0
		.amdhsa_user_sgpr_kernarg_preload_offset 0
		.amdhsa_user_sgpr_private_segment_size 0
		.amdhsa_uses_dynamic_stack 0
		.amdhsa_enable_private_segment 0
		.amdhsa_system_sgpr_workgroup_id_x 1
		.amdhsa_system_sgpr_workgroup_id_y 0
		.amdhsa_system_sgpr_workgroup_id_z 0
		.amdhsa_system_sgpr_workgroup_info 0
		.amdhsa_system_vgpr_workitem_id 0
		.amdhsa_next_free_vgpr 10
		.amdhsa_next_free_sgpr 31
		.amdhsa_accum_offset 12
		.amdhsa_reserve_vcc 1
		.amdhsa_float_round_mode_32 0
		.amdhsa_float_round_mode_16_64 0
		.amdhsa_float_denorm_mode_32 3
		.amdhsa_float_denorm_mode_16_64 3
		.amdhsa_dx10_clamp 1
		.amdhsa_ieee_mode 1
		.amdhsa_fp16_overflow 0
		.amdhsa_tg_split 0
		.amdhsa_exception_fp_ieee_invalid_op 0
		.amdhsa_exception_fp_denorm_src 0
		.amdhsa_exception_fp_ieee_div_zero 0
		.amdhsa_exception_fp_ieee_overflow 0
		.amdhsa_exception_fp_ieee_underflow 0
		.amdhsa_exception_fp_ieee_inexact 0
		.amdhsa_exception_int_div_zero 0
	.end_amdhsa_kernel
	.section	.text._ZN5aiter23act_and_mul_bias_kernelIfDF16_ifTnPFfRKT2_EXadL_ZNS_11silu_kernelIfEEfRKT_EELi1EEEvPT0_PS8_PKT1_PS2_il,"axG",@progbits,_ZN5aiter23act_and_mul_bias_kernelIfDF16_ifTnPFfRKT2_EXadL_ZNS_11silu_kernelIfEEfRKT_EELi1EEEvPT0_PS8_PKT1_PS2_il,comdat
.Lfunc_end172:
	.size	_ZN5aiter23act_and_mul_bias_kernelIfDF16_ifTnPFfRKT2_EXadL_ZNS_11silu_kernelIfEEfRKT_EELi1EEEvPT0_PS8_PKT1_PS2_il, .Lfunc_end172-_ZN5aiter23act_and_mul_bias_kernelIfDF16_ifTnPFfRKT2_EXadL_ZNS_11silu_kernelIfEEfRKT_EELi1EEEvPT0_PS8_PKT1_PS2_il
                                        ; -- End function
	.section	.AMDGPU.csdata,"",@progbits
; Kernel info:
; codeLenInByte = 716
; NumSgprs: 37
; NumVgprs: 10
; NumAgprs: 0
; TotalNumVgprs: 10
; ScratchSize: 0
; MemoryBound: 0
; FloatMode: 240
; IeeeMode: 1
; LDSByteSize: 0 bytes/workgroup (compile time only)
; SGPRBlocks: 4
; VGPRBlocks: 1
; NumSGPRsForWavesPerEU: 37
; NumVGPRsForWavesPerEU: 10
; AccumOffset: 12
; Occupancy: 8
; WaveLimiterHint : 0
; COMPUTE_PGM_RSRC2:SCRATCH_EN: 0
; COMPUTE_PGM_RSRC2:USER_SGPR: 2
; COMPUTE_PGM_RSRC2:TRAP_HANDLER: 0
; COMPUTE_PGM_RSRC2:TGID_X_EN: 1
; COMPUTE_PGM_RSRC2:TGID_Y_EN: 0
; COMPUTE_PGM_RSRC2:TGID_Z_EN: 0
; COMPUTE_PGM_RSRC2:TIDIG_COMP_CNT: 0
; COMPUTE_PGM_RSRC3_GFX90A:ACCUM_OFFSET: 2
; COMPUTE_PGM_RSRC3_GFX90A:TG_SPLIT: 0
	.section	.text._ZN5aiter23act_and_mul_bias_kernelIffifTnPFfRKT2_EXadL_ZNS_11silu_kernelIfEEfRKT_EELi16EEEvPT0_PS8_PKT1_PS2_il,"axG",@progbits,_ZN5aiter23act_and_mul_bias_kernelIffifTnPFfRKT2_EXadL_ZNS_11silu_kernelIfEEfRKT_EELi16EEEvPT0_PS8_PKT1_PS2_il,comdat
	.protected	_ZN5aiter23act_and_mul_bias_kernelIffifTnPFfRKT2_EXadL_ZNS_11silu_kernelIfEEfRKT_EELi16EEEvPT0_PS8_PKT1_PS2_il ; -- Begin function _ZN5aiter23act_and_mul_bias_kernelIffifTnPFfRKT2_EXadL_ZNS_11silu_kernelIfEEfRKT_EELi16EEEvPT0_PS8_PKT1_PS2_il
	.globl	_ZN5aiter23act_and_mul_bias_kernelIffifTnPFfRKT2_EXadL_ZNS_11silu_kernelIfEEfRKT_EELi16EEEvPT0_PS8_PKT1_PS2_il
	.p2align	8
	.type	_ZN5aiter23act_and_mul_bias_kernelIffifTnPFfRKT2_EXadL_ZNS_11silu_kernelIfEEfRKT_EELi16EEEvPT0_PS8_PKT1_PS2_il,@function
_ZN5aiter23act_and_mul_bias_kernelIffifTnPFfRKT2_EXadL_ZNS_11silu_kernelIfEEfRKT_EELi16EEEvPT0_PS8_PKT1_PS2_il: ; @_ZN5aiter23act_and_mul_bias_kernelIffifTnPFfRKT2_EXadL_ZNS_11silu_kernelIfEEfRKT_EELi16EEEvPT0_PS8_PKT1_PS2_il
; %bb.0:
	s_load_dword s30, s[0:1], 0x20
	s_load_dwordx2 s[4:5], s[0:1], 0x10
	s_load_dwordx2 s[8:9], s[0:1], 0x28
	s_mov_b32 s3, 0
	s_lshl_b64 s[6:7], s[2:3], 2
	s_waitcnt lgkmcnt(0)
	s_ashr_i32 s31, s30, 31
	s_add_u32 s6, s4, s6
	s_addc_u32 s7, s5, s7
	s_load_dword s4, s[6:7], 0x0
	s_load_dwordx2 s[10:11], s[0:1], 0x0
	s_mul_hi_u32 s3, s30, s2
	s_mul_i32 s14, s31, s2
	s_add_i32 s15, s3, s14
	s_mul_i32 s14, s30, s2
	s_waitcnt lgkmcnt(0)
	s_ashr_i32 s5, s4, 31
	s_lshl_b32 s38, s30, 2
	s_lshl_b64 s[14:15], s[14:15], 2
	v_mov_b64_e32 v[2:3], s[8:9]
	v_cmp_gt_i64_e64 s[12:13], s[4:5], -1
	s_add_u32 s36, s10, s14
	v_cmp_lt_i64_e32 vcc, s[4:5], v[2:3]
	s_addc_u32 s3, s11, s15
	s_and_b64 s[8:9], s[12:13], vcc
	s_mov_b64 s[6:7], -1
	s_and_b32 s37, s3, 0xffff
	s_and_b64 vcc, exec, s[8:9]
	v_lshlrev_b32_e32 v56, 4, v0
	s_cbranch_vccnz .LBB173_5
; %bb.1:
	v_cmp_gt_i32_e32 vcc, s30, v56
	s_and_saveexec_b64 s[6:7], vcc
	s_cbranch_execz .LBB173_4
; %bb.2:
	s_load_dword s3, s[0:1], 0x3c
	s_mov_b32 s9, 0
	s_mov_b32 s12, s9
	;; [unrolled: 1-line block ×3, first 2 shown]
	v_mov_b32_e32 v57, 0
	v_lshlrev_b32_e32 v6, 6, v0
	s_waitcnt lgkmcnt(0)
	s_and_b32 s3, s3, 0xffff
	s_mov_b32 s14, s9
	s_mov_b32 s15, s9
	v_mov_b64_e32 v[0:1], s[12:13]
	s_lshl_b32 s8, s3, 4
	s_lshl_b32 s3, s3, 6
	s_mov_b64 s[10:11], 0
	s_mov_b32 s39, 0x20000
	v_mov_b64_e32 v[2:3], s[14:15]
	v_mov_b64_e32 v[4:5], v[56:57]
.LBB173_3:                              ; =>This Inner Loop Header: Depth=1
	v_lshl_add_u64 v[4:5], s[8:9], 0, v[4:5]
	v_cmp_le_i64_e32 vcc, s[30:31], v[4:5]
	buffer_store_dwordx4 v[0:3], v6, s[36:39], 0 offen
	buffer_store_dwordx4 v[0:3], v6, s[36:39], 16 offen
	buffer_store_dwordx4 v[0:3], v6, s[36:39], 32 offen
	buffer_store_dwordx4 v[0:3], v6, s[36:39], 48 offen
	s_or_b64 s[10:11], vcc, s[10:11]
	v_add_u32_e32 v6, s3, v6
	s_andn2_b64 exec, exec, s[10:11]
	s_cbranch_execnz .LBB173_3
.LBB173_4:
	s_or_b64 exec, exec, s[6:7]
	s_mov_b64 s[6:7], 0
.LBB173_5:
	s_andn2_b64 vcc, exec, s[6:7]
	s_cbranch_vccnz .LBB173_9
; %bb.6:
	v_cmp_gt_i32_e32 vcc, s30, v56
	s_and_saveexec_b64 s[6:7], vcc
	s_cbranch_execz .LBB173_9
; %bb.7:
	s_load_dwordx2 s[6:7], s[0:1], 0x18
	s_load_dwordx2 s[8:9], s[0:1], 0x8
	s_mul_hi_i32 s5, s30, s4
	s_mul_i32 s4, s30, s4
	s_lshl_b64 s[4:5], s[4:5], 3
	s_waitcnt lgkmcnt(0)
	s_add_u32 s40, s6, s4
	s_addc_u32 s3, s7, s5
	s_lshl_b64 s[4:5], s[30:31], 2
	s_add_u32 s44, s40, s4
	s_addc_u32 s6, s3, s5
	s_and_b32 s41, s3, 0xffff
	s_and_b32 s45, s6, 0xffff
	s_mul_i32 s3, s2, s31
	s_mul_hi_u32 s6, s2, s30
	s_add_i32 s3, s6, s3
	s_mul_i32 s2, s2, s30
	s_lshl_b64 s[2:3], s[2:3], 3
	s_add_u32 s48, s8, s2
	s_addc_u32 s2, s9, s3
	s_add_u32 s52, s48, s4
	s_addc_u32 s3, s2, s5
	s_and_b32 s49, s2, 0xffff
	s_and_b32 s53, s3, 0xffff
	s_mov_b32 s39, 0x20000
	s_add_u32 s34, s0, 48
	v_mov_b32_e32 v57, 0
	s_addc_u32 s35, s1, 0
	s_mov_b64 s[56:57], 0
	s_mov_b32 s47, s39
	s_mov_b32 s46, s38
	;; [unrolled: 1-line block ×8, first 2 shown]
	v_mov_b32_e32 v58, 0x7f800000
	s_mov_b32 s54, s38
	s_mov_b32 s55, s39
	;; [unrolled: 1-line block ×4, first 2 shown]
.LBB173_8:                              ; =>This Inner Loop Header: Depth=1
	v_lshlrev_b32_e32 v59, 2, v56
	buffer_load_dwordx4 v[48:51], v59, s[44:47], 0 offen
	buffer_load_dwordx4 v[52:55], v59, s[52:55], 0 offen
	;; [unrolled: 1-line block ×15, first 2 shown]
	s_waitcnt vmcnt(13)
	v_pk_add_f32 v[50:51], v[54:55], v[50:51]
	v_pk_add_f32 v[48:49], v[52:53], v[48:49]
	buffer_load_dwordx4 v[52:55], v59, s[40:43], 48 offen
	s_waitcnt vmcnt(11)
	v_pk_add_f32 v[10:11], v[10:11], v[22:23]
	s_waitcnt vmcnt(10)
	v_pk_add_f32 v[26:27], v[26:27], v[14:15]
	v_pk_add_f32 v[24:25], v[24:25], v[12:13]
	s_waitcnt vmcnt(8)
	v_pk_add_f32 v[18:19], v[18:19], v[30:31]
	v_pk_add_f32 v[16:17], v[16:17], v[28:29]
	;; [unrolled: 1-line block ×3, first 2 shown]
	v_mul_f32_e32 v28, 0xbfb8aa3b, v24
	v_mul_f32_e32 v29, 0xbfb8aa3b, v25
	;; [unrolled: 1-line block ×3, first 2 shown]
	s_waitcnt vmcnt(2)
	v_pk_add_f32 v[20:21], v[34:35], v[62:63]
	v_pk_add_f32 v[22:23], v[32:33], v[60:61]
	v_mul_f32_e32 v31, 0xbfb8aa3b, v27
	v_mul_f32_e32 v32, 0xbfb8aa3b, v16
	;; [unrolled: 1-line block ×5, first 2 shown]
	s_waitcnt vmcnt(1)
	v_pk_add_f32 v[6:7], v[6:7], v[46:47]
	v_pk_add_f32 v[4:5], v[4:5], v[44:45]
	v_fma_f32 v44, v24, s33, -v28
	v_rndne_f32_e32 v45, v28
	v_fma_f32 v46, v25, s33, -v29
	v_rndne_f32_e32 v47, v29
	;; [unrolled: 2-line block ×6, first 2 shown]
	v_pk_add_f32 v[12:13], v[42:43], v[38:39]
	v_pk_add_f32 v[14:15], v[40:41], v[36:37]
	v_mul_f32_e32 v36, 0xbfb8aa3b, v22
	v_mul_f32_e32 v37, 0xbfb8aa3b, v23
	;; [unrolled: 1-line block ×4, first 2 shown]
	v_fmac_f32_e32 v44, 0xb2a5705f, v24
	v_sub_f32_e32 v28, v28, v45
	v_fmac_f32_e32 v46, 0xb2a5705f, v25
	v_sub_f32_e32 v29, v29, v47
	;; [unrolled: 2-line block ×6, first 2 shown]
	v_add_f32_e32 v28, v28, v44
	v_fma_f32 v44, v22, s33, -v36
	v_add_f32_e32 v29, v29, v46
	v_rndne_f32_e32 v46, v36
	v_add_f32_e32 v32, v32, v60
	v_fma_f32 v60, v20, s33, -v38
	v_add_f32_e32 v33, v33, v62
	v_rndne_f32_e32 v62, v38
	v_add_f32_e32 v34, v34, v64
	v_fma_f32 v64, v21, s33, -v39
	v_add_f32_e32 v35, v35, v66
	v_rndne_f32_e32 v66, v39
	v_fmac_f32_e32 v44, 0xb2a5705f, v22
	v_sub_f32_e32 v36, v36, v46
	v_fmac_f32_e32 v60, 0xb2a5705f, v20
	v_sub_f32_e32 v38, v38, v62
	;; [unrolled: 2-line block ×3, first 2 shown]
	v_add_f32_e32 v36, v36, v44
	v_add_f32_e32 v38, v38, v60
	;; [unrolled: 1-line block ×3, first 2 shown]
	v_exp_f32_e32 v32, v32
	v_exp_f32_e32 v33, v33
	v_cvt_i32_f32_e32 v46, v46
	v_cvt_i32_f32_e32 v62, v62
	;; [unrolled: 1-line block ×3, first 2 shown]
	v_exp_f32_e32 v28, v28
	v_exp_f32_e32 v29, v29
	;; [unrolled: 1-line block ×5, first 2 shown]
	s_waitcnt vmcnt(0)
	v_pk_add_f32 v[2:3], v[2:3], v[54:55]
	v_pk_add_f32 v[0:1], v[0:1], v[52:53]
	v_fma_f32 v52, v26, s33, -v30
	v_rndne_f32_e32 v53, v30
	v_fma_f32 v54, v27, s33, -v31
	v_rndne_f32_e32 v55, v31
	v_fmac_f32_e32 v52, 0xb2a5705f, v26
	v_sub_f32_e32 v30, v30, v53
	v_fmac_f32_e32 v54, 0xb2a5705f, v27
	v_sub_f32_e32 v31, v31, v55
	v_add_f32_e32 v30, v30, v52
	v_fma_f32 v52, v23, s33, -v37
	v_add_f32_e32 v31, v31, v54
	v_rndne_f32_e32 v54, v37
	v_mul_f32_e32 v40, 0xbfb8aa3b, v0
	v_mul_f32_e32 v41, 0xbfb8aa3b, v1
	v_fmac_f32_e32 v52, 0xb2a5705f, v23
	v_sub_f32_e32 v37, v37, v54
	v_fma_f32 v44, v0, s33, -v40
	v_add_f32_e32 v37, v37, v52
	v_rndne_f32_e32 v52, v40
	v_fma_f32 v60, v1, s33, -v41
	v_rndne_f32_e32 v64, v41
	v_mul_f32_e32 v42, 0xbfb8aa3b, v2
	v_fmac_f32_e32 v44, 0xb2a5705f, v0
	v_sub_f32_e32 v40, v40, v52
	v_fmac_f32_e32 v60, 0xb2a5705f, v1
	v_sub_f32_e32 v41, v41, v64
	v_add_f32_e32 v40, v40, v44
	v_fma_f32 v44, v2, s33, -v42
	v_add_f32_e32 v41, v41, v60
	v_rndne_f32_e32 v60, v42
	v_mul_f32_e32 v43, 0xbfb8aa3b, v3
	v_fmac_f32_e32 v44, 0xb2a5705f, v2
	v_sub_f32_e32 v42, v42, v60
	v_add_f32_e32 v42, v42, v44
	v_fma_f32 v44, v3, s33, -v43
	v_rndne_f32_e32 v68, v43
	v_fmac_f32_e32 v44, 0xb2a5705f, v3
	v_sub_f32_e32 v43, v43, v68
	v_add_f32_e32 v43, v43, v44
	v_cvt_i32_f32_e32 v44, v45
	v_cvt_i32_f32_e32 v45, v47
	;; [unrolled: 1-line block ×13, first 2 shown]
	v_exp_f32_e32 v30, v30
	v_exp_f32_e32 v31, v31
	;; [unrolled: 1-line block ×9, first 2 shown]
	v_ldexp_f32 v32, v32, v55
	v_ldexp_f32 v33, v33, v61
	v_cmp_nlt_f32_e64 s[2:3], s60, v16
	v_cmp_nlt_f32_e64 s[4:5], s60, v17
	v_ldexp_f32 v28, v28, v44
	v_ldexp_f32 v29, v29, v45
	v_ldexp_f32 v30, v30, v47
	v_ldexp_f32 v31, v31, v53
	v_ldexp_f32 v34, v34, v63
	v_ldexp_f32 v35, v35, v65
	v_ldexp_f32 v36, v36, v46
	v_ldexp_f32 v37, v37, v54
	v_ldexp_f32 v38, v38, v62
	v_ldexp_f32 v39, v39, v66
	v_ldexp_f32 v40, v40, v52
	v_ldexp_f32 v41, v41, v64
	v_ldexp_f32 v42, v42, v60
	v_cmp_nlt_f32_e32 vcc, s60, v26
	v_cmp_nlt_f32_e64 s[0:1], s60, v27
	v_cmp_nlt_f32_e64 s[6:7], s60, v18
	;; [unrolled: 1-line block ×10, first 2 shown]
	v_ldexp_f32 v43, v43, v67
	v_cmp_nlt_f32_e64 s[24:25], s60, v3
	v_cmp_nlt_f32_e64 s[26:27], s60, v24
	;; [unrolled: 1-line block ×3, first 2 shown]
	v_cndmask_b32_e64 v32, 0, v32, s[2:3]
	v_cmp_ngt_f32_e64 s[2:3], s61, v16
	v_cndmask_b32_e64 v33, 0, v33, s[4:5]
	v_cmp_ngt_f32_e64 s[4:5], s61, v17
	;; [unrolled: 2-line block ×3, first 2 shown]
	v_cndmask_b32_e32 v30, 0, v30, vcc
	v_cmp_ngt_f32_e32 vcc, s61, v26
	v_cndmask_b32_e64 v31, 0, v31, s[0:1]
	v_cmp_ngt_f32_e64 s[0:1], s61, v27
	v_cndmask_b32_e64 v28, 0, v28, s[26:27]
	v_cndmask_b32_e64 v34, 0, v34, s[6:7]
	v_cmp_ngt_f32_e64 s[6:7], s61, v18
	v_cndmask_b32_e64 v35, 0, v35, s[8:9]
	v_cmp_ngt_f32_e64 s[8:9], s61, v19
	;; [unrolled: 2-line block ×10, first 2 shown]
	v_cmp_ngt_f32_e64 s[26:27], s61, v24
	v_cndmask_b32_e64 v32, v58, v32, s[2:3]
	v_cndmask_b32_e64 v33, v58, v33, s[4:5]
	;; [unrolled: 1-line block ×4, first 2 shown]
	v_cndmask_b32_e32 v30, v58, v30, vcc
	v_cndmask_b32_e64 v31, v58, v31, s[0:1]
	v_cndmask_b32_e64 v34, v58, v34, s[6:7]
	;; [unrolled: 1-line block ×11, first 2 shown]
	v_add_f32_e32 v32, 1.0, v32
	v_add_f32_e32 v33, 1.0, v33
	;; [unrolled: 1-line block ×16, first 2 shown]
	v_rcp_f32_e32 v32, v32
	v_rcp_f32_e32 v33, v33
	;; [unrolled: 1-line block ×16, first 2 shown]
	v_pk_mul_f32 v[16:17], v[16:17], v[32:33]
	v_pk_mul_f32 v[24:25], v[24:25], v[28:29]
	;; [unrolled: 1-line block ×8, first 2 shown]
	;;#ASMSTART
	v_pk_mul_f32 v[0:1], v[24:25], v[48:49]
	;;#ASMEND
	;;#ASMSTART
	v_pk_mul_f32 v[2:3], v[26:27], v[50:51]
	;;#ASMEND
	;;#ASMSTART
	v_pk_mul_f32 v[8:9], v[16:17], v[8:9]
	;;#ASMEND
	;;#ASMSTART
	v_pk_mul_f32 v[10:11], v[18:19], v[10:11]
	;;#ASMEND
	;;#ASMSTART
	v_pk_mul_f32 v[14:15], v[22:23], v[14:15]
	;;#ASMEND
	;;#ASMSTART
	v_pk_mul_f32 v[16:17], v[20:21], v[12:13]
	;;#ASMEND
	;;#ASMSTART
	v_pk_mul_f32 v[4:5], v[28:29], v[4:5]
	;;#ASMEND
	s_nop 0
	;;#ASMSTART
	v_pk_mul_f32 v[6:7], v[30:31], v[6:7]
	;;#ASMEND
	s_load_dword s0, s[34:35], 0xc
	buffer_store_dwordx4 v[0:3], v59, s[36:39], 0 offen
	buffer_store_dwordx4 v[8:11], v59, s[36:39], 16 offen
	;; [unrolled: 1-line block ×4, first 2 shown]
	s_waitcnt lgkmcnt(0)
	s_and_b32 s0, s0, 0xffff
	s_lshl_b32 s58, s0, 4
	v_lshl_add_u64 v[56:57], s[58:59], 0, v[56:57]
	v_cmp_le_i64_e32 vcc, s[30:31], v[56:57]
	s_or_b64 s[56:57], vcc, s[56:57]
	s_andn2_b64 exec, exec, s[56:57]
	s_cbranch_execnz .LBB173_8
.LBB173_9:
	s_endpgm
	.section	.rodata,"a",@progbits
	.p2align	6, 0x0
	.amdhsa_kernel _ZN5aiter23act_and_mul_bias_kernelIffifTnPFfRKT2_EXadL_ZNS_11silu_kernelIfEEfRKT_EELi16EEEvPT0_PS8_PKT1_PS2_il
		.amdhsa_group_segment_fixed_size 0
		.amdhsa_private_segment_fixed_size 0
		.amdhsa_kernarg_size 304
		.amdhsa_user_sgpr_count 2
		.amdhsa_user_sgpr_dispatch_ptr 0
		.amdhsa_user_sgpr_queue_ptr 0
		.amdhsa_user_sgpr_kernarg_segment_ptr 1
		.amdhsa_user_sgpr_dispatch_id 0
		.amdhsa_user_sgpr_kernarg_preload_length 0
		.amdhsa_user_sgpr_kernarg_preload_offset 0
		.amdhsa_user_sgpr_private_segment_size 0
		.amdhsa_uses_dynamic_stack 0
		.amdhsa_enable_private_segment 0
		.amdhsa_system_sgpr_workgroup_id_x 1
		.amdhsa_system_sgpr_workgroup_id_y 0
		.amdhsa_system_sgpr_workgroup_id_z 0
		.amdhsa_system_sgpr_workgroup_info 0
		.amdhsa_system_vgpr_workitem_id 0
		.amdhsa_next_free_vgpr 69
		.amdhsa_next_free_sgpr 62
		.amdhsa_accum_offset 72
		.amdhsa_reserve_vcc 1
		.amdhsa_float_round_mode_32 0
		.amdhsa_float_round_mode_16_64 0
		.amdhsa_float_denorm_mode_32 3
		.amdhsa_float_denorm_mode_16_64 3
		.amdhsa_dx10_clamp 1
		.amdhsa_ieee_mode 1
		.amdhsa_fp16_overflow 0
		.amdhsa_tg_split 0
		.amdhsa_exception_fp_ieee_invalid_op 0
		.amdhsa_exception_fp_denorm_src 0
		.amdhsa_exception_fp_ieee_div_zero 0
		.amdhsa_exception_fp_ieee_overflow 0
		.amdhsa_exception_fp_ieee_underflow 0
		.amdhsa_exception_fp_ieee_inexact 0
		.amdhsa_exception_int_div_zero 0
	.end_amdhsa_kernel
	.section	.text._ZN5aiter23act_and_mul_bias_kernelIffifTnPFfRKT2_EXadL_ZNS_11silu_kernelIfEEfRKT_EELi16EEEvPT0_PS8_PKT1_PS2_il,"axG",@progbits,_ZN5aiter23act_and_mul_bias_kernelIffifTnPFfRKT2_EXadL_ZNS_11silu_kernelIfEEfRKT_EELi16EEEvPT0_PS8_PKT1_PS2_il,comdat
.Lfunc_end173:
	.size	_ZN5aiter23act_and_mul_bias_kernelIffifTnPFfRKT2_EXadL_ZNS_11silu_kernelIfEEfRKT_EELi16EEEvPT0_PS8_PKT1_PS2_il, .Lfunc_end173-_ZN5aiter23act_and_mul_bias_kernelIffifTnPFfRKT2_EXadL_ZNS_11silu_kernelIfEEfRKT_EELi16EEEvPT0_PS8_PKT1_PS2_il
                                        ; -- End function
	.section	.AMDGPU.csdata,"",@progbits
; Kernel info:
; codeLenInByte = 2500
; NumSgprs: 68
; NumVgprs: 69
; NumAgprs: 0
; TotalNumVgprs: 69
; ScratchSize: 0
; MemoryBound: 0
; FloatMode: 240
; IeeeMode: 1
; LDSByteSize: 0 bytes/workgroup (compile time only)
; SGPRBlocks: 8
; VGPRBlocks: 8
; NumSGPRsForWavesPerEU: 68
; NumVGPRsForWavesPerEU: 69
; AccumOffset: 72
; Occupancy: 7
; WaveLimiterHint : 0
; COMPUTE_PGM_RSRC2:SCRATCH_EN: 0
; COMPUTE_PGM_RSRC2:USER_SGPR: 2
; COMPUTE_PGM_RSRC2:TRAP_HANDLER: 0
; COMPUTE_PGM_RSRC2:TGID_X_EN: 1
; COMPUTE_PGM_RSRC2:TGID_Y_EN: 0
; COMPUTE_PGM_RSRC2:TGID_Z_EN: 0
; COMPUTE_PGM_RSRC2:TIDIG_COMP_CNT: 0
; COMPUTE_PGM_RSRC3_GFX90A:ACCUM_OFFSET: 17
; COMPUTE_PGM_RSRC3_GFX90A:TG_SPLIT: 0
	.section	.text._ZN5aiter23act_and_mul_bias_kernelIffifTnPFfRKT2_EXadL_ZNS_11silu_kernelIfEEfRKT_EELi8EEEvPT0_PS8_PKT1_PS2_il,"axG",@progbits,_ZN5aiter23act_and_mul_bias_kernelIffifTnPFfRKT2_EXadL_ZNS_11silu_kernelIfEEfRKT_EELi8EEEvPT0_PS8_PKT1_PS2_il,comdat
	.protected	_ZN5aiter23act_and_mul_bias_kernelIffifTnPFfRKT2_EXadL_ZNS_11silu_kernelIfEEfRKT_EELi8EEEvPT0_PS8_PKT1_PS2_il ; -- Begin function _ZN5aiter23act_and_mul_bias_kernelIffifTnPFfRKT2_EXadL_ZNS_11silu_kernelIfEEfRKT_EELi8EEEvPT0_PS8_PKT1_PS2_il
	.globl	_ZN5aiter23act_and_mul_bias_kernelIffifTnPFfRKT2_EXadL_ZNS_11silu_kernelIfEEfRKT_EELi8EEEvPT0_PS8_PKT1_PS2_il
	.p2align	8
	.type	_ZN5aiter23act_and_mul_bias_kernelIffifTnPFfRKT2_EXadL_ZNS_11silu_kernelIfEEfRKT_EELi8EEEvPT0_PS8_PKT1_PS2_il,@function
_ZN5aiter23act_and_mul_bias_kernelIffifTnPFfRKT2_EXadL_ZNS_11silu_kernelIfEEfRKT_EELi8EEEvPT0_PS8_PKT1_PS2_il: ; @_ZN5aiter23act_and_mul_bias_kernelIffifTnPFfRKT2_EXadL_ZNS_11silu_kernelIfEEfRKT_EELi8EEEvPT0_PS8_PKT1_PS2_il
; %bb.0:
	s_load_dword s14, s[0:1], 0x20
	s_load_dwordx2 s[4:5], s[0:1], 0x10
	s_load_dwordx2 s[8:9], s[0:1], 0x28
	s_mov_b32 s3, 0
	s_lshl_b64 s[6:7], s[2:3], 2
	s_waitcnt lgkmcnt(0)
	s_ashr_i32 s15, s14, 31
	s_add_u32 s6, s4, s6
	s_addc_u32 s7, s5, s7
	s_load_dword s4, s[6:7], 0x0
	s_load_dwordx2 s[10:11], s[0:1], 0x0
	s_mul_hi_u32 s3, s14, s2
	s_mul_i32 s16, s15, s2
	s_add_i32 s17, s3, s16
	s_mul_i32 s16, s14, s2
	s_waitcnt lgkmcnt(0)
	s_ashr_i32 s5, s4, 31
	s_lshl_b32 s18, s14, 2
	s_lshl_b64 s[16:17], s[16:17], 2
	v_mov_b64_e32 v[2:3], s[8:9]
	v_cmp_gt_i64_e64 s[12:13], s[4:5], -1
	s_add_u32 s16, s10, s16
	v_cmp_lt_i64_e32 vcc, s[4:5], v[2:3]
	s_addc_u32 s3, s11, s17
	s_and_b64 s[8:9], s[12:13], vcc
	s_mov_b64 s[6:7], -1
	s_and_b32 s17, s3, 0xffff
	s_and_b64 vcc, exec, s[8:9]
	v_lshlrev_b32_e32 v4, 3, v0
	s_cbranch_vccnz .LBB174_5
; %bb.1:
	v_cmp_gt_i32_e32 vcc, s14, v4
	s_and_saveexec_b64 s[6:7], vcc
	s_cbranch_execz .LBB174_4
; %bb.2:
	s_load_dword s3, s[0:1], 0x3c
	s_mov_b32 s9, 0
	s_mov_b32 s20, s9
	;; [unrolled: 1-line block ×3, first 2 shown]
	v_mov_b32_e32 v5, 0
	v_lshlrev_b32_e32 v8, 5, v0
	s_waitcnt lgkmcnt(0)
	s_and_b32 s3, s3, 0xffff
	s_mov_b32 s22, s9
	s_mov_b32 s23, s9
	v_mov_b64_e32 v[0:1], s[20:21]
	s_lshl_b32 s8, s3, 3
	s_lshl_b32 s3, s3, 5
	s_mov_b64 s[10:11], 0
	s_mov_b32 s19, 0x20000
	v_mov_b64_e32 v[2:3], s[22:23]
	v_mov_b64_e32 v[6:7], v[4:5]
.LBB174_3:                              ; =>This Inner Loop Header: Depth=1
	v_lshl_add_u64 v[6:7], s[8:9], 0, v[6:7]
	v_cmp_le_i64_e32 vcc, s[14:15], v[6:7]
	buffer_store_dwordx4 v[0:3], v8, s[16:19], 0 offen
	buffer_store_dwordx4 v[0:3], v8, s[16:19], 16 offen
	s_or_b64 s[10:11], vcc, s[10:11]
	v_add_u32_e32 v8, s3, v8
	s_andn2_b64 exec, exec, s[10:11]
	s_cbranch_execnz .LBB174_3
.LBB174_4:
	s_or_b64 exec, exec, s[6:7]
	s_mov_b64 s[6:7], 0
.LBB174_5:
	s_andn2_b64 vcc, exec, s[6:7]
	s_cbranch_vccnz .LBB174_9
; %bb.6:
	v_cmp_gt_i32_e32 vcc, s14, v4
	s_and_saveexec_b64 s[6:7], vcc
	s_cbranch_execz .LBB174_9
; %bb.7:
	s_load_dwordx2 s[6:7], s[0:1], 0x18
	s_load_dwordx2 s[8:9], s[0:1], 0x8
	s_mul_hi_i32 s5, s14, s4
	s_mul_i32 s4, s14, s4
	s_lshl_b64 s[4:5], s[4:5], 3
	s_waitcnt lgkmcnt(0)
	s_add_u32 s20, s6, s4
	s_addc_u32 s3, s7, s5
	s_lshl_b64 s[4:5], s[14:15], 2
	s_add_u32 s24, s20, s4
	s_addc_u32 s6, s3, s5
	s_and_b32 s21, s3, 0xffff
	s_and_b32 s25, s6, 0xffff
	s_mul_i32 s3, s2, s15
	s_mul_hi_u32 s6, s2, s14
	s_add_i32 s3, s6, s3
	s_mul_i32 s2, s2, s14
	s_lshl_b64 s[2:3], s[2:3], 3
	s_add_u32 s28, s8, s2
	s_addc_u32 s2, s9, s3
	s_add_u32 s36, s28, s4
	s_addc_u32 s3, s2, s5
	s_and_b32 s29, s2, 0xffff
	s_and_b32 s37, s3, 0xffff
	s_mov_b32 s19, 0x20000
	s_add_u32 s34, s0, 48
	v_mov_b32_e32 v5, 0
	s_addc_u32 s35, s1, 0
	s_mov_b64 s[40:41], 0
	s_mov_b32 s27, s19
	s_mov_b32 s26, s18
	;; [unrolled: 1-line block ×8, first 2 shown]
	v_mov_b32_e32 v18, 0x7f800000
	s_mov_b32 s38, s18
	s_mov_b32 s39, s19
	;; [unrolled: 1-line block ×4, first 2 shown]
.LBB174_8:                              ; =>This Inner Loop Header: Depth=1
	v_lshlrev_b32_e32 v19, 2, v4
	buffer_load_dwordx4 v[6:9], v19, s[24:27], 0 offen
	buffer_load_dwordx4 v[10:13], v19, s[36:39], 0 offen
	;; [unrolled: 1-line block ×8, first 2 shown]
	s_waitcnt vmcnt(6)
	v_pk_add_f32 v[0:1], v[12:13], v[8:9]
	v_pk_add_f32 v[2:3], v[10:11], v[6:7]
	s_waitcnt vmcnt(4)
	v_pk_add_f32 v[8:9], v[14:15], v[20:21]
	v_pk_add_f32 v[6:7], v[16:17], v[22:23]
	v_mul_f32_e32 v20, 0xbfb8aa3b, v8
	v_mul_f32_e32 v21, 0xbfb8aa3b, v9
	s_waitcnt vmcnt(0)
	v_pk_add_f32 v[14:15], v[34:35], v[38:39]
	v_pk_add_f32 v[16:17], v[32:33], v[36:37]
	;; [unrolled: 1-line block ×4, first 2 shown]
	v_mul_f32_e32 v22, 0xbfb8aa3b, v6
	v_mul_f32_e32 v23, 0xbfb8aa3b, v7
	;; [unrolled: 1-line block ×6, first 2 shown]
	v_fma_f32 v28, v8, s33, -v20
	v_rndne_f32_e32 v29, v20
	v_fma_f32 v30, v9, s33, -v21
	v_rndne_f32_e32 v31, v21
	v_fma_f32 v32, v6, s33, -v22
	v_rndne_f32_e32 v33, v22
	v_fma_f32 v34, v7, s33, -v23
	v_rndne_f32_e32 v35, v23
	v_fma_f32 v36, v16, s33, -v24
	v_rndne_f32_e32 v37, v24
	v_fma_f32 v38, v17, s33, -v25
	v_rndne_f32_e32 v39, v25
	v_fma_f32 v40, v14, s33, -v26
	v_rndne_f32_e32 v41, v26
	v_fma_f32 v42, v15, s33, -v27
	v_rndne_f32_e32 v43, v27
	v_fmac_f32_e32 v28, 0xb2a5705f, v8
	v_sub_f32_e32 v20, v20, v29
	v_fmac_f32_e32 v30, 0xb2a5705f, v9
	v_sub_f32_e32 v21, v21, v31
	v_fmac_f32_e32 v32, 0xb2a5705f, v6
	v_sub_f32_e32 v22, v22, v33
	v_fmac_f32_e32 v34, 0xb2a5705f, v7
	v_sub_f32_e32 v23, v23, v35
	v_fmac_f32_e32 v36, 0xb2a5705f, v16
	v_sub_f32_e32 v24, v24, v37
	v_fmac_f32_e32 v38, 0xb2a5705f, v17
	v_sub_f32_e32 v25, v25, v39
	v_fmac_f32_e32 v40, 0xb2a5705f, v14
	v_sub_f32_e32 v26, v26, v41
	v_fmac_f32_e32 v42, 0xb2a5705f, v15
	v_sub_f32_e32 v27, v27, v43
	v_add_f32_e32 v20, v20, v28
	v_add_f32_e32 v21, v21, v30
	v_cvt_i32_f32_e32 v29, v29
	v_cvt_i32_f32_e32 v31, v31
	v_add_f32_e32 v22, v22, v32
	v_add_f32_e32 v23, v23, v34
	;; [unrolled: 1-line block ×6, first 2 shown]
	v_exp_f32_e32 v20, v20
	v_exp_f32_e32 v21, v21
	v_cvt_i32_f32_e32 v33, v33
	v_cvt_i32_f32_e32 v35, v35
	v_cvt_i32_f32_e32 v37, v37
	v_cvt_i32_f32_e32 v39, v39
	v_cvt_i32_f32_e32 v41, v41
	v_cvt_i32_f32_e32 v43, v43
	v_exp_f32_e32 v22, v22
	v_exp_f32_e32 v23, v23
	;; [unrolled: 1-line block ×6, first 2 shown]
	v_ldexp_f32 v20, v20, v29
	v_ldexp_f32 v21, v21, v31
	v_cmp_nlt_f32_e32 vcc, s44, v9
	v_cmp_nlt_f32_e64 s[12:13], s44, v8
	v_ldexp_f32 v22, v22, v33
	v_cmp_nlt_f32_e64 s[0:1], s44, v6
	v_ldexp_f32 v23, v23, v35
	;; [unrolled: 2-line block ×6, first 2 shown]
	v_cmp_nlt_f32_e64 s[10:11], s44, v15
	v_cndmask_b32_e64 v20, 0, v20, s[12:13]
	v_cndmask_b32_e32 v21, 0, v21, vcc
	v_cmp_ngt_f32_e32 vcc, s45, v9
	v_cmp_ngt_f32_e64 s[12:13], s45, v8
	v_cndmask_b32_e64 v22, 0, v22, s[0:1]
	v_cmp_ngt_f32_e64 s[0:1], s45, v6
	v_cndmask_b32_e64 v23, 0, v23, s[2:3]
	;; [unrolled: 2-line block ×7, first 2 shown]
	v_cndmask_b32_e32 v21, v18, v21, vcc
	v_cndmask_b32_e64 v22, v18, v22, s[0:1]
	v_cndmask_b32_e64 v23, v18, v23, s[2:3]
	v_cndmask_b32_e64 v24, v18, v24, s[4:5]
	v_cndmask_b32_e64 v25, v18, v25, s[6:7]
	v_cndmask_b32_e64 v26, v18, v26, s[8:9]
	v_cndmask_b32_e64 v27, v18, v27, s[10:11]
	v_add_f32_e32 v20, 1.0, v20
	v_add_f32_e32 v21, 1.0, v21
	;; [unrolled: 1-line block ×8, first 2 shown]
	v_rcp_f32_e32 v20, v20
	v_rcp_f32_e32 v21, v21
	;; [unrolled: 1-line block ×8, first 2 shown]
	v_pk_mul_f32 v[8:9], v[8:9], v[20:21]
	v_pk_mul_f32 v[20:21], v[6:7], v[22:23]
	;; [unrolled: 1-line block ×4, first 2 shown]
	;;#ASMSTART
	v_pk_mul_f32 v[6:7], v[8:9], v[2:3]
	;;#ASMEND
	;;#ASMSTART
	v_pk_mul_f32 v[8:9], v[20:21], v[0:1]
	;;#ASMEND
	;; [unrolled: 3-line block ×3, first 2 shown]
	s_nop 0
	;;#ASMSTART
	v_pk_mul_f32 v[2:3], v[14:15], v[10:11]
	;;#ASMEND
	s_load_dword s0, s[34:35], 0xc
	buffer_store_dwordx4 v[6:9], v19, s[16:19], 0 offen
	buffer_store_dwordx4 v[0:3], v19, s[16:19], 16 offen
	s_waitcnt lgkmcnt(0)
	s_and_b32 s0, s0, 0xffff
	s_lshl_b32 s42, s0, 3
	v_lshl_add_u64 v[4:5], s[42:43], 0, v[4:5]
	v_cmp_le_i64_e32 vcc, s[14:15], v[4:5]
	s_or_b64 s[40:41], vcc, s[40:41]
	s_andn2_b64 exec, exec, s[40:41]
	s_cbranch_execnz .LBB174_8
.LBB174_9:
	s_endpgm
	.section	.rodata,"a",@progbits
	.p2align	6, 0x0
	.amdhsa_kernel _ZN5aiter23act_and_mul_bias_kernelIffifTnPFfRKT2_EXadL_ZNS_11silu_kernelIfEEfRKT_EELi8EEEvPT0_PS8_PKT1_PS2_il
		.amdhsa_group_segment_fixed_size 0
		.amdhsa_private_segment_fixed_size 0
		.amdhsa_kernarg_size 304
		.amdhsa_user_sgpr_count 2
		.amdhsa_user_sgpr_dispatch_ptr 0
		.amdhsa_user_sgpr_queue_ptr 0
		.amdhsa_user_sgpr_kernarg_segment_ptr 1
		.amdhsa_user_sgpr_dispatch_id 0
		.amdhsa_user_sgpr_kernarg_preload_length 0
		.amdhsa_user_sgpr_kernarg_preload_offset 0
		.amdhsa_user_sgpr_private_segment_size 0
		.amdhsa_uses_dynamic_stack 0
		.amdhsa_enable_private_segment 0
		.amdhsa_system_sgpr_workgroup_id_x 1
		.amdhsa_system_sgpr_workgroup_id_y 0
		.amdhsa_system_sgpr_workgroup_id_z 0
		.amdhsa_system_sgpr_workgroup_info 0
		.amdhsa_system_vgpr_workitem_id 0
		.amdhsa_next_free_vgpr 44
		.amdhsa_next_free_sgpr 46
		.amdhsa_accum_offset 44
		.amdhsa_reserve_vcc 1
		.amdhsa_float_round_mode_32 0
		.amdhsa_float_round_mode_16_64 0
		.amdhsa_float_denorm_mode_32 3
		.amdhsa_float_denorm_mode_16_64 3
		.amdhsa_dx10_clamp 1
		.amdhsa_ieee_mode 1
		.amdhsa_fp16_overflow 0
		.amdhsa_tg_split 0
		.amdhsa_exception_fp_ieee_invalid_op 0
		.amdhsa_exception_fp_denorm_src 0
		.amdhsa_exception_fp_ieee_div_zero 0
		.amdhsa_exception_fp_ieee_overflow 0
		.amdhsa_exception_fp_ieee_underflow 0
		.amdhsa_exception_fp_ieee_inexact 0
		.amdhsa_exception_int_div_zero 0
	.end_amdhsa_kernel
	.section	.text._ZN5aiter23act_and_mul_bias_kernelIffifTnPFfRKT2_EXadL_ZNS_11silu_kernelIfEEfRKT_EELi8EEEvPT0_PS8_PKT1_PS2_il,"axG",@progbits,_ZN5aiter23act_and_mul_bias_kernelIffifTnPFfRKT2_EXadL_ZNS_11silu_kernelIfEEfRKT_EELi8EEEvPT0_PS8_PKT1_PS2_il,comdat
.Lfunc_end174:
	.size	_ZN5aiter23act_and_mul_bias_kernelIffifTnPFfRKT2_EXadL_ZNS_11silu_kernelIfEEfRKT_EELi8EEEvPT0_PS8_PKT1_PS2_il, .Lfunc_end174-_ZN5aiter23act_and_mul_bias_kernelIffifTnPFfRKT2_EXadL_ZNS_11silu_kernelIfEEfRKT_EELi8EEEvPT0_PS8_PKT1_PS2_il
                                        ; -- End function
	.section	.AMDGPU.csdata,"",@progbits
; Kernel info:
; codeLenInByte = 1524
; NumSgprs: 52
; NumVgprs: 44
; NumAgprs: 0
; TotalNumVgprs: 44
; ScratchSize: 0
; MemoryBound: 0
; FloatMode: 240
; IeeeMode: 1
; LDSByteSize: 0 bytes/workgroup (compile time only)
; SGPRBlocks: 6
; VGPRBlocks: 5
; NumSGPRsForWavesPerEU: 52
; NumVGPRsForWavesPerEU: 44
; AccumOffset: 44
; Occupancy: 8
; WaveLimiterHint : 0
; COMPUTE_PGM_RSRC2:SCRATCH_EN: 0
; COMPUTE_PGM_RSRC2:USER_SGPR: 2
; COMPUTE_PGM_RSRC2:TRAP_HANDLER: 0
; COMPUTE_PGM_RSRC2:TGID_X_EN: 1
; COMPUTE_PGM_RSRC2:TGID_Y_EN: 0
; COMPUTE_PGM_RSRC2:TGID_Z_EN: 0
; COMPUTE_PGM_RSRC2:TIDIG_COMP_CNT: 0
; COMPUTE_PGM_RSRC3_GFX90A:ACCUM_OFFSET: 10
; COMPUTE_PGM_RSRC3_GFX90A:TG_SPLIT: 0
	.section	.text._ZN5aiter23act_and_mul_bias_kernelIffifTnPFfRKT2_EXadL_ZNS_11silu_kernelIfEEfRKT_EELi4EEEvPT0_PS8_PKT1_PS2_il,"axG",@progbits,_ZN5aiter23act_and_mul_bias_kernelIffifTnPFfRKT2_EXadL_ZNS_11silu_kernelIfEEfRKT_EELi4EEEvPT0_PS8_PKT1_PS2_il,comdat
	.protected	_ZN5aiter23act_and_mul_bias_kernelIffifTnPFfRKT2_EXadL_ZNS_11silu_kernelIfEEfRKT_EELi4EEEvPT0_PS8_PKT1_PS2_il ; -- Begin function _ZN5aiter23act_and_mul_bias_kernelIffifTnPFfRKT2_EXadL_ZNS_11silu_kernelIfEEfRKT_EELi4EEEvPT0_PS8_PKT1_PS2_il
	.globl	_ZN5aiter23act_and_mul_bias_kernelIffifTnPFfRKT2_EXadL_ZNS_11silu_kernelIfEEfRKT_EELi4EEEvPT0_PS8_PKT1_PS2_il
	.p2align	8
	.type	_ZN5aiter23act_and_mul_bias_kernelIffifTnPFfRKT2_EXadL_ZNS_11silu_kernelIfEEfRKT_EELi4EEEvPT0_PS8_PKT1_PS2_il,@function
_ZN5aiter23act_and_mul_bias_kernelIffifTnPFfRKT2_EXadL_ZNS_11silu_kernelIfEEfRKT_EELi4EEEvPT0_PS8_PKT1_PS2_il: ; @_ZN5aiter23act_and_mul_bias_kernelIffifTnPFfRKT2_EXadL_ZNS_11silu_kernelIfEEfRKT_EELi4EEEvPT0_PS8_PKT1_PS2_il
; %bb.0:
	s_load_dword s6, s[0:1], 0x20
	s_load_dwordx2 s[4:5], s[0:1], 0x10
	s_load_dwordx2 s[14:15], s[0:1], 0x28
	s_mov_b32 s3, 0
	s_lshl_b64 s[8:9], s[2:3], 2
	s_waitcnt lgkmcnt(0)
	s_ashr_i32 s7, s6, 31
	s_add_u32 s8, s4, s8
	s_addc_u32 s9, s5, s9
	s_load_dword s4, s[8:9], 0x0
	s_load_dwordx2 s[16:17], s[0:1], 0x0
	s_mul_hi_u32 s3, s6, s2
	s_mul_i32 s8, s7, s2
	s_add_i32 s9, s3, s8
	s_mul_i32 s8, s6, s2
	s_waitcnt lgkmcnt(0)
	s_ashr_i32 s5, s4, 31
	s_lshl_b32 s10, s6, 2
	s_lshl_b64 s[8:9], s[8:9], 2
	v_mov_b64_e32 v[2:3], s[14:15]
	v_cmp_gt_i64_e64 s[18:19], s[4:5], -1
	s_add_u32 s8, s16, s8
	v_cmp_lt_i64_e32 vcc, s[4:5], v[2:3]
	s_addc_u32 s3, s17, s9
	s_and_b64 s[14:15], s[18:19], vcc
	s_mov_b64 s[12:13], -1
	s_and_b32 s9, s3, 0xffff
	s_and_b64 vcc, exec, s[14:15]
	v_lshlrev_b32_e32 v4, 2, v0
	s_cbranch_vccnz .LBB175_5
; %bb.1:
	v_cmp_gt_i32_e32 vcc, s6, v4
	s_and_saveexec_b64 s[12:13], vcc
	s_cbranch_execz .LBB175_4
; %bb.2:
	s_load_dword s3, s[0:1], 0x3c
	v_mov_b32_e32 v5, 0
	s_mov_b32 s15, 0
	v_lshlrev_b32_e32 v8, 4, v0
	s_mov_b64 s[16:17], 0
	s_waitcnt lgkmcnt(0)
	s_and_b32 s3, s3, 0xffff
	s_lshl_b32 s14, s3, 2
	s_lshl_b32 s3, s3, 4
	s_mov_b32 s11, 0x20000
	v_mov_b32_e32 v0, v5
	v_mov_b32_e32 v1, v5
	;; [unrolled: 1-line block ×4, first 2 shown]
	v_mov_b64_e32 v[6:7], v[4:5]
.LBB175_3:                              ; =>This Inner Loop Header: Depth=1
	v_lshl_add_u64 v[6:7], s[14:15], 0, v[6:7]
	v_cmp_le_i64_e32 vcc, s[6:7], v[6:7]
	buffer_store_dwordx4 v[0:3], v8, s[8:11], 0 offen
	s_or_b64 s[16:17], vcc, s[16:17]
	v_add_u32_e32 v8, s3, v8
	s_andn2_b64 exec, exec, s[16:17]
	s_cbranch_execnz .LBB175_3
.LBB175_4:
	s_or_b64 exec, exec, s[12:13]
	s_mov_b64 s[12:13], 0
.LBB175_5:
	s_andn2_b64 vcc, exec, s[12:13]
	s_cbranch_vccnz .LBB175_9
; %bb.6:
	v_cmp_gt_i32_e32 vcc, s6, v4
	s_and_saveexec_b64 s[12:13], vcc
	s_cbranch_execz .LBB175_9
; %bb.7:
	s_load_dwordx2 s[12:13], s[0:1], 0x18
	s_load_dwordx2 s[14:15], s[0:1], 0x8
	s_mul_hi_i32 s5, s6, s4
	s_mul_i32 s4, s6, s4
	s_lshl_b64 s[4:5], s[4:5], 3
	s_waitcnt lgkmcnt(0)
	s_add_u32 s12, s12, s4
	s_addc_u32 s3, s13, s5
	s_lshl_b64 s[4:5], s[6:7], 2
	s_add_u32 s16, s12, s4
	s_addc_u32 s17, s3, s5
	s_and_b32 s13, s3, 0xffff
	s_mul_i32 s3, s2, s7
	s_mul_hi_u32 s18, s2, s6
	s_add_i32 s3, s18, s3
	s_mul_i32 s2, s2, s6
	s_and_b32 s17, s17, 0xffff
	s_lshl_b64 s[2:3], s[2:3], 3
	s_add_u32 s20, s14, s2
	s_addc_u32 s2, s15, s3
	s_add_u32 s24, s20, s4
	s_addc_u32 s3, s2, s5
	s_and_b32 s21, s2, 0xffff
	s_and_b32 s25, s3, 0xffff
	s_mov_b32 s11, 0x20000
	s_add_u32 s28, s0, 48
	v_mov_b32_e32 v5, 0
	s_addc_u32 s29, s1, 0
	s_mov_b64 s[30:31], 0
	s_mov_b32 s19, s11
	s_mov_b32 s18, s10
	;; [unrolled: 1-line block ×8, first 2 shown]
	v_mov_b32_e32 v0, 0x7f800000
	s_mov_b32 s26, s10
	s_mov_b32 s27, s11
	;; [unrolled: 1-line block ×4, first 2 shown]
.LBB175_8:                              ; =>This Inner Loop Header: Depth=1
	v_lshlrev_b32_e32 v1, 2, v4
	buffer_load_dwordx4 v[6:9], v1, s[20:23], 0 offen
	buffer_load_dwordx4 v[10:13], v1, s[24:27], 0 offen
	;; [unrolled: 1-line block ×4, first 2 shown]
	s_waitcnt vmcnt(1)
	v_pk_add_f32 v[8:9], v[8:9], v[16:17]
	v_pk_add_f32 v[6:7], v[6:7], v[14:15]
	s_waitcnt vmcnt(0)
	v_pk_add_f32 v[2:3], v[12:13], v[20:21]
	v_mul_f32_e32 v12, 0xbfb8aa3b, v6
	v_mul_f32_e32 v13, 0xbfb8aa3b, v7
	;; [unrolled: 1-line block ×4, first 2 shown]
	v_pk_add_f32 v[10:11], v[10:11], v[18:19]
	v_fma_f32 v16, v6, s33, -v12
	v_rndne_f32_e32 v17, v12
	v_fma_f32 v18, v7, s33, -v13
	v_rndne_f32_e32 v19, v13
	;; [unrolled: 2-line block ×4, first 2 shown]
	v_fmac_f32_e32 v16, 0xb2a5705f, v6
	v_sub_f32_e32 v12, v12, v17
	v_fmac_f32_e32 v18, 0xb2a5705f, v7
	v_sub_f32_e32 v13, v13, v19
	;; [unrolled: 2-line block ×4, first 2 shown]
	v_add_f32_e32 v12, v12, v16
	v_add_f32_e32 v13, v13, v18
	;; [unrolled: 1-line block ×4, first 2 shown]
	v_cvt_i32_f32_e32 v17, v17
	v_cvt_i32_f32_e32 v19, v19
	;; [unrolled: 1-line block ×4, first 2 shown]
	v_exp_f32_e32 v12, v12
	v_exp_f32_e32 v13, v13
	;; [unrolled: 1-line block ×4, first 2 shown]
	v_ldexp_f32 v12, v12, v17
	v_ldexp_f32 v13, v13, v19
	v_cmp_nlt_f32_e32 vcc, s36, v7
	v_ldexp_f32 v14, v14, v21
	v_cmp_nlt_f32_e64 s[0:1], s36, v8
	v_ldexp_f32 v15, v15, v23
	v_cmp_nlt_f32_e64 s[2:3], s36, v9
	v_cmp_nlt_f32_e64 s[4:5], s36, v6
	v_cndmask_b32_e32 v13, 0, v13, vcc
	v_cmp_ngt_f32_e32 vcc, s37, v7
	v_cndmask_b32_e64 v12, 0, v12, s[4:5]
	v_cndmask_b32_e64 v14, 0, v14, s[0:1]
	v_cmp_ngt_f32_e64 s[0:1], s37, v8
	v_cndmask_b32_e64 v15, 0, v15, s[2:3]
	v_cmp_ngt_f32_e64 s[2:3], s37, v9
	v_cmp_ngt_f32_e64 s[4:5], s37, v6
	v_cndmask_b32_e32 v13, v0, v13, vcc
	v_cndmask_b32_e64 v14, v0, v14, s[0:1]
	v_cndmask_b32_e64 v12, v0, v12, s[4:5]
	;; [unrolled: 1-line block ×3, first 2 shown]
	v_add_f32_e32 v12, 1.0, v12
	v_add_f32_e32 v13, 1.0, v13
	;; [unrolled: 1-line block ×4, first 2 shown]
	v_rcp_f32_e32 v12, v12
	v_rcp_f32_e32 v13, v13
	;; [unrolled: 1-line block ×4, first 2 shown]
	v_pk_mul_f32 v[6:7], v[6:7], v[12:13]
	s_nop 0
	;;#ASMSTART
	v_pk_mul_f32 v[6:7], v[6:7], v[10:11]
	;;#ASMEND
	v_pk_mul_f32 v[8:9], v[8:9], v[14:15]
	s_nop 0
	;;#ASMSTART
	v_pk_mul_f32 v[8:9], v[8:9], v[2:3]
	;;#ASMEND
	s_load_dword s0, s[28:29], 0xc
	buffer_store_dwordx4 v[6:9], v1, s[8:11], 0 offen
	s_waitcnt lgkmcnt(0)
	s_and_b32 s0, s0, 0xffff
	s_lshl_b32 s34, s0, 2
	v_lshl_add_u64 v[4:5], s[34:35], 0, v[4:5]
	v_cmp_le_i64_e32 vcc, s[6:7], v[4:5]
	s_or_b64 s[30:31], vcc, s[30:31]
	s_andn2_b64 exec, exec, s[30:31]
	s_cbranch_execnz .LBB175_8
.LBB175_9:
	s_endpgm
	.section	.rodata,"a",@progbits
	.p2align	6, 0x0
	.amdhsa_kernel _ZN5aiter23act_and_mul_bias_kernelIffifTnPFfRKT2_EXadL_ZNS_11silu_kernelIfEEfRKT_EELi4EEEvPT0_PS8_PKT1_PS2_il
		.amdhsa_group_segment_fixed_size 0
		.amdhsa_private_segment_fixed_size 0
		.amdhsa_kernarg_size 304
		.amdhsa_user_sgpr_count 2
		.amdhsa_user_sgpr_dispatch_ptr 0
		.amdhsa_user_sgpr_queue_ptr 0
		.amdhsa_user_sgpr_kernarg_segment_ptr 1
		.amdhsa_user_sgpr_dispatch_id 0
		.amdhsa_user_sgpr_kernarg_preload_length 0
		.amdhsa_user_sgpr_kernarg_preload_offset 0
		.amdhsa_user_sgpr_private_segment_size 0
		.amdhsa_uses_dynamic_stack 0
		.amdhsa_enable_private_segment 0
		.amdhsa_system_sgpr_workgroup_id_x 1
		.amdhsa_system_sgpr_workgroup_id_y 0
		.amdhsa_system_sgpr_workgroup_id_z 0
		.amdhsa_system_sgpr_workgroup_info 0
		.amdhsa_system_vgpr_workitem_id 0
		.amdhsa_next_free_vgpr 24
		.amdhsa_next_free_sgpr 38
		.amdhsa_accum_offset 24
		.amdhsa_reserve_vcc 1
		.amdhsa_float_round_mode_32 0
		.amdhsa_float_round_mode_16_64 0
		.amdhsa_float_denorm_mode_32 3
		.amdhsa_float_denorm_mode_16_64 3
		.amdhsa_dx10_clamp 1
		.amdhsa_ieee_mode 1
		.amdhsa_fp16_overflow 0
		.amdhsa_tg_split 0
		.amdhsa_exception_fp_ieee_invalid_op 0
		.amdhsa_exception_fp_denorm_src 0
		.amdhsa_exception_fp_ieee_div_zero 0
		.amdhsa_exception_fp_ieee_overflow 0
		.amdhsa_exception_fp_ieee_underflow 0
		.amdhsa_exception_fp_ieee_inexact 0
		.amdhsa_exception_int_div_zero 0
	.end_amdhsa_kernel
	.section	.text._ZN5aiter23act_and_mul_bias_kernelIffifTnPFfRKT2_EXadL_ZNS_11silu_kernelIfEEfRKT_EELi4EEEvPT0_PS8_PKT1_PS2_il,"axG",@progbits,_ZN5aiter23act_and_mul_bias_kernelIffifTnPFfRKT2_EXadL_ZNS_11silu_kernelIfEEfRKT_EELi4EEEvPT0_PS8_PKT1_PS2_il,comdat
.Lfunc_end175:
	.size	_ZN5aiter23act_and_mul_bias_kernelIffifTnPFfRKT2_EXadL_ZNS_11silu_kernelIfEEfRKT_EELi4EEEvPT0_PS8_PKT1_PS2_il, .Lfunc_end175-_ZN5aiter23act_and_mul_bias_kernelIffifTnPFfRKT2_EXadL_ZNS_11silu_kernelIfEEfRKT_EELi4EEEvPT0_PS8_PKT1_PS2_il
                                        ; -- End function
	.section	.AMDGPU.csdata,"",@progbits
; Kernel info:
; codeLenInByte = 1036
; NumSgprs: 44
; NumVgprs: 24
; NumAgprs: 0
; TotalNumVgprs: 24
; ScratchSize: 0
; MemoryBound: 0
; FloatMode: 240
; IeeeMode: 1
; LDSByteSize: 0 bytes/workgroup (compile time only)
; SGPRBlocks: 5
; VGPRBlocks: 2
; NumSGPRsForWavesPerEU: 44
; NumVGPRsForWavesPerEU: 24
; AccumOffset: 24
; Occupancy: 8
; WaveLimiterHint : 0
; COMPUTE_PGM_RSRC2:SCRATCH_EN: 0
; COMPUTE_PGM_RSRC2:USER_SGPR: 2
; COMPUTE_PGM_RSRC2:TRAP_HANDLER: 0
; COMPUTE_PGM_RSRC2:TGID_X_EN: 1
; COMPUTE_PGM_RSRC2:TGID_Y_EN: 0
; COMPUTE_PGM_RSRC2:TGID_Z_EN: 0
; COMPUTE_PGM_RSRC2:TIDIG_COMP_CNT: 0
; COMPUTE_PGM_RSRC3_GFX90A:ACCUM_OFFSET: 5
; COMPUTE_PGM_RSRC3_GFX90A:TG_SPLIT: 0
	.section	.text._ZN5aiter23act_and_mul_bias_kernelIffifTnPFfRKT2_EXadL_ZNS_11silu_kernelIfEEfRKT_EELi2EEEvPT0_PS8_PKT1_PS2_il,"axG",@progbits,_ZN5aiter23act_and_mul_bias_kernelIffifTnPFfRKT2_EXadL_ZNS_11silu_kernelIfEEfRKT_EELi2EEEvPT0_PS8_PKT1_PS2_il,comdat
	.protected	_ZN5aiter23act_and_mul_bias_kernelIffifTnPFfRKT2_EXadL_ZNS_11silu_kernelIfEEfRKT_EELi2EEEvPT0_PS8_PKT1_PS2_il ; -- Begin function _ZN5aiter23act_and_mul_bias_kernelIffifTnPFfRKT2_EXadL_ZNS_11silu_kernelIfEEfRKT_EELi2EEEvPT0_PS8_PKT1_PS2_il
	.globl	_ZN5aiter23act_and_mul_bias_kernelIffifTnPFfRKT2_EXadL_ZNS_11silu_kernelIfEEfRKT_EELi2EEEvPT0_PS8_PKT1_PS2_il
	.p2align	8
	.type	_ZN5aiter23act_and_mul_bias_kernelIffifTnPFfRKT2_EXadL_ZNS_11silu_kernelIfEEfRKT_EELi2EEEvPT0_PS8_PKT1_PS2_il,@function
_ZN5aiter23act_and_mul_bias_kernelIffifTnPFfRKT2_EXadL_ZNS_11silu_kernelIfEEfRKT_EELi2EEEvPT0_PS8_PKT1_PS2_il: ; @_ZN5aiter23act_and_mul_bias_kernelIffifTnPFfRKT2_EXadL_ZNS_11silu_kernelIfEEfRKT_EELi2EEEvPT0_PS8_PKT1_PS2_il
; %bb.0:
	s_load_dword s24, s[0:1], 0x20
	s_load_dwordx2 s[4:5], s[0:1], 0x10
	s_load_dwordx2 s[12:13], s[0:1], 0x28
	s_mov_b32 s3, 0
	s_lshl_b64 s[6:7], s[2:3], 2
	s_waitcnt lgkmcnt(0)
	s_ashr_i32 s25, s24, 31
	s_add_u32 s4, s4, s6
	s_addc_u32 s5, s5, s7
	s_load_dword s8, s[4:5], 0x0
	s_load_dwordx2 s[14:15], s[0:1], 0x0
	s_mul_hi_u32 s3, s24, s2
	s_mul_i32 s4, s25, s2
	s_add_i32 s5, s3, s4
	s_mul_i32 s4, s24, s2
	s_waitcnt lgkmcnt(0)
	s_ashr_i32 s9, s8, 31
	s_lshl_b32 s6, s24, 2
	s_lshl_b64 s[4:5], s[4:5], 2
	v_mov_b64_e32 v[2:3], s[12:13]
	v_cmp_gt_i64_e64 s[16:17], s[8:9], -1
	s_add_u32 s4, s14, s4
	v_cmp_lt_i64_e32 vcc, s[8:9], v[2:3]
	s_addc_u32 s3, s15, s5
	s_and_b64 s[12:13], s[16:17], vcc
	s_mov_b64 s[10:11], -1
	s_and_b32 s5, s3, 0xffff
	s_and_b64 vcc, exec, s[12:13]
	v_lshlrev_b32_e32 v2, 1, v0
	s_cbranch_vccnz .LBB176_5
; %bb.1:
	v_cmp_gt_i32_e32 vcc, s24, v2
	s_and_saveexec_b64 s[10:11], vcc
	s_cbranch_execz .LBB176_4
; %bb.2:
	s_load_dword s3, s[0:1], 0x3c
	v_mov_b32_e32 v3, 0
	s_mov_b32 s13, 0
	v_lshlrev_b32_e32 v6, 3, v0
	s_mov_b64 s[14:15], 0
	s_waitcnt lgkmcnt(0)
	s_and_b32 s3, s3, 0xffff
	s_lshl_b32 s12, s3, 1
	s_lshl_b32 s3, s3, 3
	s_mov_b32 s7, 0x20000
	v_mov_b32_e32 v0, v3
	v_mov_b32_e32 v1, v3
	v_mov_b64_e32 v[4:5], v[2:3]
.LBB176_3:                              ; =>This Inner Loop Header: Depth=1
	v_lshl_add_u64 v[4:5], s[12:13], 0, v[4:5]
	v_cmp_le_i64_e32 vcc, s[24:25], v[4:5]
	buffer_store_dwordx2 v[0:1], v6, s[4:7], 0 offen
	s_or_b64 s[14:15], vcc, s[14:15]
	v_add_u32_e32 v6, s3, v6
	s_andn2_b64 exec, exec, s[14:15]
	s_cbranch_execnz .LBB176_3
.LBB176_4:
	s_or_b64 exec, exec, s[10:11]
	s_mov_b64 s[10:11], 0
.LBB176_5:
	s_andn2_b64 vcc, exec, s[10:11]
	s_cbranch_vccnz .LBB176_9
; %bb.6:
	v_cmp_gt_i32_e32 vcc, s24, v2
	s_and_saveexec_b64 s[10:11], vcc
	s_cbranch_execz .LBB176_9
; %bb.7:
	s_load_dwordx2 s[10:11], s[0:1], 0x18
	s_load_dwordx2 s[14:15], s[0:1], 0x8
	s_mul_hi_i32 s9, s24, s8
	s_mul_i32 s8, s24, s8
	s_lshl_b64 s[8:9], s[8:9], 3
	s_waitcnt lgkmcnt(0)
	s_add_u32 s8, s10, s8
	s_addc_u32 s3, s11, s9
	s_lshl_b64 s[10:11], s[24:25], 2
	s_add_u32 s12, s8, s10
	s_addc_u32 s13, s3, s11
	s_and_b32 s9, s3, 0xffff
	s_mul_i32 s3, s2, s25
	s_mul_hi_u32 s16, s2, s24
	s_add_i32 s3, s16, s3
	s_mul_i32 s2, s2, s24
	s_and_b32 s13, s13, 0xffff
	s_lshl_b64 s[2:3], s[2:3], 3
	s_add_u32 s16, s14, s2
	s_addc_u32 s2, s15, s3
	s_add_u32 s20, s16, s10
	s_addc_u32 s3, s2, s11
	s_and_b32 s17, s2, 0xffff
	s_and_b32 s21, s3, 0xffff
	s_mov_b32 s7, 0x20000
	s_add_u32 s2, s0, 48
	v_mov_b32_e32 v3, 0
	s_addc_u32 s3, s1, 0
	s_mov_b64 s[26:27], 0
	s_mov_b32 s15, s7
	s_mov_b32 s14, s6
	;; [unrolled: 1-line block ×8, first 2 shown]
	v_mov_b32_e32 v0, 0x7f800000
	s_mov_b32 s22, s6
	s_mov_b32 s23, s7
	;; [unrolled: 1-line block ×4, first 2 shown]
.LBB176_8:                              ; =>This Inner Loop Header: Depth=1
	v_lshlrev_b32_e32 v1, 2, v2
	buffer_load_dwordx2 v[4:5], v1, s[8:11], 0 offen
	buffer_load_dwordx2 v[6:7], v1, s[16:19], 0 offen
	buffer_load_dwordx2 v[8:9], v1, s[20:23], 0 offen
	buffer_load_dwordx2 v[10:11], v1, s[12:15], 0 offen
	s_waitcnt vmcnt(2)
	v_pk_add_f32 v[4:5], v[6:7], v[4:5]
	s_nop 0
	v_mul_f32_e32 v6, 0xbfb8aa3b, v5
	v_mul_f32_e32 v7, 0xbfb8aa3b, v4
	v_fma_f32 v12, v5, s30, -v6
	v_rndne_f32_e32 v13, v6
	v_fma_f32 v14, v4, s30, -v7
	v_rndne_f32_e32 v15, v7
	v_fmac_f32_e32 v12, 0xb2a5705f, v5
	v_sub_f32_e32 v6, v6, v13
	v_fmac_f32_e32 v14, 0xb2a5705f, v4
	v_sub_f32_e32 v7, v7, v15
	v_add_f32_e32 v6, v6, v12
	v_add_f32_e32 v7, v7, v14
	v_cvt_i32_f32_e32 v13, v13
	v_cvt_i32_f32_e32 v15, v15
	v_exp_f32_e32 v6, v6
	v_exp_f32_e32 v7, v7
	v_cmp_nlt_f32_e32 vcc, s31, v4
	v_cmp_nlt_f32_e64 s[0:1], s31, v5
	v_ldexp_f32 v6, v6, v13
	v_ldexp_f32 v7, v7, v15
	v_cndmask_b32_e64 v6, 0, v6, s[0:1]
	v_cndmask_b32_e32 v7, 0, v7, vcc
	v_cmp_ngt_f32_e32 vcc, s33, v4
	v_cmp_ngt_f32_e64 s[0:1], s33, v5
	s_waitcnt vmcnt(0)
	v_pk_add_f32 v[8:9], v[8:9], v[10:11]
	v_cndmask_b32_e32 v7, v0, v7, vcc
	v_cndmask_b32_e64 v6, v0, v6, s[0:1]
	v_add_f32_e32 v6, 1.0, v6
	v_add_f32_e32 v12, 1.0, v7
	v_rcp_f32_e32 v7, v6
	v_rcp_f32_e32 v6, v12
	s_nop 0
	v_pk_mul_f32 v[4:5], v[4:5], v[6:7]
	s_nop 0
	;;#ASMSTART
	v_pk_mul_f32 v[4:5], v[4:5], v[8:9]
	;;#ASMEND
	s_load_dword s0, s[2:3], 0xc
	buffer_store_dwordx2 v[4:5], v1, s[4:7], 0 offen
	s_waitcnt lgkmcnt(0)
	s_and_b32 s0, s0, 0xffff
	s_lshl_b32 s28, s0, 1
	v_lshl_add_u64 v[2:3], s[28:29], 0, v[2:3]
	v_cmp_le_i64_e32 vcc, s[24:25], v[2:3]
	s_or_b64 s[26:27], vcc, s[26:27]
	s_andn2_b64 exec, exec, s[26:27]
	s_cbranch_execnz .LBB176_8
.LBB176_9:
	s_endpgm
	.section	.rodata,"a",@progbits
	.p2align	6, 0x0
	.amdhsa_kernel _ZN5aiter23act_and_mul_bias_kernelIffifTnPFfRKT2_EXadL_ZNS_11silu_kernelIfEEfRKT_EELi2EEEvPT0_PS8_PKT1_PS2_il
		.amdhsa_group_segment_fixed_size 0
		.amdhsa_private_segment_fixed_size 0
		.amdhsa_kernarg_size 304
		.amdhsa_user_sgpr_count 2
		.amdhsa_user_sgpr_dispatch_ptr 0
		.amdhsa_user_sgpr_queue_ptr 0
		.amdhsa_user_sgpr_kernarg_segment_ptr 1
		.amdhsa_user_sgpr_dispatch_id 0
		.amdhsa_user_sgpr_kernarg_preload_length 0
		.amdhsa_user_sgpr_kernarg_preload_offset 0
		.amdhsa_user_sgpr_private_segment_size 0
		.amdhsa_uses_dynamic_stack 0
		.amdhsa_enable_private_segment 0
		.amdhsa_system_sgpr_workgroup_id_x 1
		.amdhsa_system_sgpr_workgroup_id_y 0
		.amdhsa_system_sgpr_workgroup_id_z 0
		.amdhsa_system_sgpr_workgroup_info 0
		.amdhsa_system_vgpr_workitem_id 0
		.amdhsa_next_free_vgpr 16
		.amdhsa_next_free_sgpr 34
		.amdhsa_accum_offset 16
		.amdhsa_reserve_vcc 1
		.amdhsa_float_round_mode_32 0
		.amdhsa_float_round_mode_16_64 0
		.amdhsa_float_denorm_mode_32 3
		.amdhsa_float_denorm_mode_16_64 3
		.amdhsa_dx10_clamp 1
		.amdhsa_ieee_mode 1
		.amdhsa_fp16_overflow 0
		.amdhsa_tg_split 0
		.amdhsa_exception_fp_ieee_invalid_op 0
		.amdhsa_exception_fp_denorm_src 0
		.amdhsa_exception_fp_ieee_div_zero 0
		.amdhsa_exception_fp_ieee_overflow 0
		.amdhsa_exception_fp_ieee_underflow 0
		.amdhsa_exception_fp_ieee_inexact 0
		.amdhsa_exception_int_div_zero 0
	.end_amdhsa_kernel
	.section	.text._ZN5aiter23act_and_mul_bias_kernelIffifTnPFfRKT2_EXadL_ZNS_11silu_kernelIfEEfRKT_EELi2EEEvPT0_PS8_PKT1_PS2_il,"axG",@progbits,_ZN5aiter23act_and_mul_bias_kernelIffifTnPFfRKT2_EXadL_ZNS_11silu_kernelIfEEfRKT_EELi2EEEvPT0_PS8_PKT1_PS2_il,comdat
.Lfunc_end176:
	.size	_ZN5aiter23act_and_mul_bias_kernelIffifTnPFfRKT2_EXadL_ZNS_11silu_kernelIfEEfRKT_EELi2EEEvPT0_PS8_PKT1_PS2_il, .Lfunc_end176-_ZN5aiter23act_and_mul_bias_kernelIffifTnPFfRKT2_EXadL_ZNS_11silu_kernelIfEEfRKT_EELi2EEEvPT0_PS8_PKT1_PS2_il
                                        ; -- End function
	.section	.AMDGPU.csdata,"",@progbits
; Kernel info:
; codeLenInByte = 816
; NumSgprs: 40
; NumVgprs: 16
; NumAgprs: 0
; TotalNumVgprs: 16
; ScratchSize: 0
; MemoryBound: 0
; FloatMode: 240
; IeeeMode: 1
; LDSByteSize: 0 bytes/workgroup (compile time only)
; SGPRBlocks: 4
; VGPRBlocks: 1
; NumSGPRsForWavesPerEU: 40
; NumVGPRsForWavesPerEU: 16
; AccumOffset: 16
; Occupancy: 8
; WaveLimiterHint : 0
; COMPUTE_PGM_RSRC2:SCRATCH_EN: 0
; COMPUTE_PGM_RSRC2:USER_SGPR: 2
; COMPUTE_PGM_RSRC2:TRAP_HANDLER: 0
; COMPUTE_PGM_RSRC2:TGID_X_EN: 1
; COMPUTE_PGM_RSRC2:TGID_Y_EN: 0
; COMPUTE_PGM_RSRC2:TGID_Z_EN: 0
; COMPUTE_PGM_RSRC2:TIDIG_COMP_CNT: 0
; COMPUTE_PGM_RSRC3_GFX90A:ACCUM_OFFSET: 3
; COMPUTE_PGM_RSRC3_GFX90A:TG_SPLIT: 0
	.section	.text._ZN5aiter23act_and_mul_bias_kernelIffifTnPFfRKT2_EXadL_ZNS_11silu_kernelIfEEfRKT_EELi1EEEvPT0_PS8_PKT1_PS2_il,"axG",@progbits,_ZN5aiter23act_and_mul_bias_kernelIffifTnPFfRKT2_EXadL_ZNS_11silu_kernelIfEEfRKT_EELi1EEEvPT0_PS8_PKT1_PS2_il,comdat
	.protected	_ZN5aiter23act_and_mul_bias_kernelIffifTnPFfRKT2_EXadL_ZNS_11silu_kernelIfEEfRKT_EELi1EEEvPT0_PS8_PKT1_PS2_il ; -- Begin function _ZN5aiter23act_and_mul_bias_kernelIffifTnPFfRKT2_EXadL_ZNS_11silu_kernelIfEEfRKT_EELi1EEEvPT0_PS8_PKT1_PS2_il
	.globl	_ZN5aiter23act_and_mul_bias_kernelIffifTnPFfRKT2_EXadL_ZNS_11silu_kernelIfEEfRKT_EELi1EEEvPT0_PS8_PKT1_PS2_il
	.p2align	8
	.type	_ZN5aiter23act_and_mul_bias_kernelIffifTnPFfRKT2_EXadL_ZNS_11silu_kernelIfEEfRKT_EELi1EEEvPT0_PS8_PKT1_PS2_il,@function
_ZN5aiter23act_and_mul_bias_kernelIffifTnPFfRKT2_EXadL_ZNS_11silu_kernelIfEEfRKT_EELi1EEEvPT0_PS8_PKT1_PS2_il: ; @_ZN5aiter23act_and_mul_bias_kernelIffifTnPFfRKT2_EXadL_ZNS_11silu_kernelIfEEfRKT_EELi1EEEvPT0_PS8_PKT1_PS2_il
; %bb.0:
	s_load_dword s20, s[0:1], 0x20
	s_load_dwordx2 s[4:5], s[0:1], 0x10
	s_load_dwordx2 s[14:15], s[0:1], 0x28
	s_mov_b32 s3, 0
	s_lshl_b64 s[6:7], s[2:3], 2
	s_waitcnt lgkmcnt(0)
	s_ashr_i32 s21, s20, 31
	s_add_u32 s4, s4, s6
	s_addc_u32 s5, s5, s7
	s_load_dword s6, s[4:5], 0x0
	s_load_dwordx2 s[8:9], s[0:1], 0x0
	s_mul_hi_u32 s3, s20, s2
	s_mul_i32 s11, s21, s2
	s_add_i32 s17, s3, s11
	s_mul_i32 s16, s20, s2
	s_waitcnt lgkmcnt(0)
	s_ashr_i32 s7, s6, 31
	s_lshl_b32 s10, s20, 2
	s_lshl_b64 s[16:17], s[16:17], 2
	v_mov_b64_e32 v[2:3], s[14:15]
	v_cmp_gt_i64_e64 s[4:5], s[6:7], -1
	s_add_u32 s8, s8, s16
	v_cmp_lt_i64_e32 vcc, s[6:7], v[2:3]
	s_addc_u32 s3, s9, s17
	s_and_b64 s[4:5], s[4:5], vcc
	s_mov_b64 s[12:13], -1
	s_and_b32 s9, s3, 0xffff
	s_and_b64 vcc, exec, s[4:5]
	v_cmp_gt_i32_e64 s[4:5], s20, v0
	s_cbranch_vccnz .LBB177_5
; %bb.1:
	s_and_saveexec_b64 s[12:13], s[4:5]
	s_cbranch_execz .LBB177_4
; %bb.2:
	s_load_dword s3, s[0:1], 0x3c
	v_mov_b32_e32 v1, 0
	s_mov_b32 s5, 0
	v_lshlrev_b32_e32 v4, 2, v0
	s_mov_b64 s[14:15], 0
	s_waitcnt lgkmcnt(0)
	s_and_b32 s4, s3, 0xffff
	s_lshl_b32 s3, s4, 2
	s_mov_b32 s11, 0x20000
	v_mov_b64_e32 v[2:3], v[0:1]
.LBB177_3:                              ; =>This Inner Loop Header: Depth=1
	v_lshl_add_u64 v[2:3], v[2:3], 0, s[4:5]
	v_cmp_le_i64_e32 vcc, s[20:21], v[2:3]
	buffer_store_dword v1, v4, s[8:11], 0 offen
	s_or_b64 s[14:15], vcc, s[14:15]
	v_add_u32_e32 v4, s3, v4
	s_andn2_b64 exec, exec, s[14:15]
	s_cbranch_execnz .LBB177_3
.LBB177_4:
	s_or_b64 exec, exec, s[12:13]
	s_mov_b64 s[12:13], 0
.LBB177_5:
	s_andn2_b64 vcc, exec, s[12:13]
	s_cbranch_vccnz .LBB177_9
; %bb.6:
	v_cmp_gt_i32_e32 vcc, s20, v0
	s_and_saveexec_b64 s[4:5], vcc
	s_cbranch_execz .LBB177_9
; %bb.7:
	s_load_dwordx2 s[12:13], s[0:1], 0x8
	s_load_dwordx2 s[4:5], s[0:1], 0x18
	s_mul_hi_i32 s7, s20, s6
	s_mul_i32 s6, s20, s6
	s_lshl_b64 s[6:7], s[6:7], 3
	s_load_dword s14, s[0:1], 0x3c
	s_waitcnt lgkmcnt(0)
	s_add_u32 s0, s4, s6
	s_addc_u32 s1, s5, s7
	s_lshl_b64 s[6:7], s[20:21], 2
	s_add_u32 s4, s0, s6
	s_addc_u32 s3, s1, s7
	s_and_b32 s5, s3, 0xffff
	s_mul_i32 s3, s2, s21
	s_mul_hi_u32 s15, s2, s20
	s_add_i32 s3, s15, s3
	s_mul_i32 s2, s2, s20
	s_and_b32 s1, s1, 0xffff
	s_lshl_b64 s[2:3], s[2:3], 3
	s_add_u32 s12, s12, s2
	s_addc_u32 s2, s13, s3
	s_add_u32 s16, s12, s6
	s_mov_b32 s11, 0x20000
	s_addc_u32 s3, s2, s7
	s_and_b32 s22, s14, 0xffff
	s_and_b32 s13, s2, 0xffff
	;; [unrolled: 1-line block ×3, first 2 shown]
	s_mov_b32 s23, 0
	v_mov_b32_e32 v1, 0
	v_lshlrev_b32_e32 v2, 2, v0
	s_lshl_b32 s26, s22, 2
	s_mov_b64 s[24:25], 0
	s_mov_b32 s7, s11
	s_mov_b32 s6, s10
	s_mov_b32 s14, s10
	s_mov_b32 s15, s11
	s_mov_b32 s27, 0xbfb8aa3b
	s_mov_b32 s28, 0x42ce8ed0
	s_mov_b32 s29, 0xc2b17218
	v_mov_b32_e32 v3, 0x7f800000
	s_mov_b32 s18, s10
	s_mov_b32 s19, s11
	;; [unrolled: 1-line block ×4, first 2 shown]
.LBB177_8:                              ; =>This Inner Loop Header: Depth=1
	buffer_load_dword v5, v2, s[12:15], 0 offen
	buffer_load_dword v4, v2, s[16:19], 0 offen
	;; [unrolled: 1-line block ×4, first 2 shown]
	v_lshl_add_u64 v[0:1], v[0:1], 0, s[22:23]
	s_waitcnt vmcnt(0)
	v_pk_add_f32 v[4:5], v[4:5], v[6:7]
	s_nop 0
	v_mul_f32_e32 v6, 0xbfb8aa3b, v5
	v_fma_f32 v7, v5, s27, -v6
	v_rndne_f32_e32 v8, v6
	v_fmac_f32_e32 v7, 0xb2a5705f, v5
	v_sub_f32_e32 v6, v6, v8
	v_add_f32_e32 v6, v6, v7
	v_cvt_i32_f32_e32 v8, v8
	v_exp_f32_e32 v6, v6
	v_cmp_nlt_f32_e32 vcc, s28, v5
	v_ldexp_f32 v6, v6, v8
	s_nop 0
	v_cndmask_b32_e32 v6, 0, v6, vcc
	v_cmp_ngt_f32_e32 vcc, s29, v5
	s_nop 1
	v_cndmask_b32_e32 v6, v3, v6, vcc
	v_add_f32_e32 v6, 1.0, v6
	v_rcp_f32_e32 v6, v6
	v_cmp_le_i64_e32 vcc, s[20:21], v[0:1]
	s_or_b64 s[24:25], vcc, s[24:25]
	v_mul_f32_e32 v5, v5, v6
	v_mul_f32_e32 v4, v4, v5
	buffer_store_dword v4, v2, s[8:11], 0 offen
	v_add_u32_e32 v2, s26, v2
	s_andn2_b64 exec, exec, s[24:25]
	s_cbranch_execnz .LBB177_8
.LBB177_9:
	s_endpgm
	.section	.rodata,"a",@progbits
	.p2align	6, 0x0
	.amdhsa_kernel _ZN5aiter23act_and_mul_bias_kernelIffifTnPFfRKT2_EXadL_ZNS_11silu_kernelIfEEfRKT_EELi1EEEvPT0_PS8_PKT1_PS2_il
		.amdhsa_group_segment_fixed_size 0
		.amdhsa_private_segment_fixed_size 0
		.amdhsa_kernarg_size 304
		.amdhsa_user_sgpr_count 2
		.amdhsa_user_sgpr_dispatch_ptr 0
		.amdhsa_user_sgpr_queue_ptr 0
		.amdhsa_user_sgpr_kernarg_segment_ptr 1
		.amdhsa_user_sgpr_dispatch_id 0
		.amdhsa_user_sgpr_kernarg_preload_length 0
		.amdhsa_user_sgpr_kernarg_preload_offset 0
		.amdhsa_user_sgpr_private_segment_size 0
		.amdhsa_uses_dynamic_stack 0
		.amdhsa_enable_private_segment 0
		.amdhsa_system_sgpr_workgroup_id_x 1
		.amdhsa_system_sgpr_workgroup_id_y 0
		.amdhsa_system_sgpr_workgroup_id_z 0
		.amdhsa_system_sgpr_workgroup_info 0
		.amdhsa_system_vgpr_workitem_id 0
		.amdhsa_next_free_vgpr 9
		.amdhsa_next_free_sgpr 30
		.amdhsa_accum_offset 12
		.amdhsa_reserve_vcc 1
		.amdhsa_float_round_mode_32 0
		.amdhsa_float_round_mode_16_64 0
		.amdhsa_float_denorm_mode_32 3
		.amdhsa_float_denorm_mode_16_64 3
		.amdhsa_dx10_clamp 1
		.amdhsa_ieee_mode 1
		.amdhsa_fp16_overflow 0
		.amdhsa_tg_split 0
		.amdhsa_exception_fp_ieee_invalid_op 0
		.amdhsa_exception_fp_denorm_src 0
		.amdhsa_exception_fp_ieee_div_zero 0
		.amdhsa_exception_fp_ieee_overflow 0
		.amdhsa_exception_fp_ieee_underflow 0
		.amdhsa_exception_fp_ieee_inexact 0
		.amdhsa_exception_int_div_zero 0
	.end_amdhsa_kernel
	.section	.text._ZN5aiter23act_and_mul_bias_kernelIffifTnPFfRKT2_EXadL_ZNS_11silu_kernelIfEEfRKT_EELi1EEEvPT0_PS8_PKT1_PS2_il,"axG",@progbits,_ZN5aiter23act_and_mul_bias_kernelIffifTnPFfRKT2_EXadL_ZNS_11silu_kernelIfEEfRKT_EELi1EEEvPT0_PS8_PKT1_PS2_il,comdat
.Lfunc_end177:
	.size	_ZN5aiter23act_and_mul_bias_kernelIffifTnPFfRKT2_EXadL_ZNS_11silu_kernelIfEEfRKT_EELi1EEEvPT0_PS8_PKT1_PS2_il, .Lfunc_end177-_ZN5aiter23act_and_mul_bias_kernelIffifTnPFfRKT2_EXadL_ZNS_11silu_kernelIfEEfRKT_EELi1EEEvPT0_PS8_PKT1_PS2_il
                                        ; -- End function
	.section	.AMDGPU.csdata,"",@progbits
; Kernel info:
; codeLenInByte = 684
; NumSgprs: 36
; NumVgprs: 9
; NumAgprs: 0
; TotalNumVgprs: 9
; ScratchSize: 0
; MemoryBound: 0
; FloatMode: 240
; IeeeMode: 1
; LDSByteSize: 0 bytes/workgroup (compile time only)
; SGPRBlocks: 4
; VGPRBlocks: 1
; NumSGPRsForWavesPerEU: 36
; NumVGPRsForWavesPerEU: 9
; AccumOffset: 12
; Occupancy: 8
; WaveLimiterHint : 0
; COMPUTE_PGM_RSRC2:SCRATCH_EN: 0
; COMPUTE_PGM_RSRC2:USER_SGPR: 2
; COMPUTE_PGM_RSRC2:TRAP_HANDLER: 0
; COMPUTE_PGM_RSRC2:TGID_X_EN: 1
; COMPUTE_PGM_RSRC2:TGID_Y_EN: 0
; COMPUTE_PGM_RSRC2:TGID_Z_EN: 0
; COMPUTE_PGM_RSRC2:TIDIG_COMP_CNT: 0
; COMPUTE_PGM_RSRC3_GFX90A:ACCUM_OFFSET: 2
; COMPUTE_PGM_RSRC3_GFX90A:TG_SPLIT: 0
	.section	.text._ZN5aiter23act_and_mul_bias_kernelIDF16_DF16_ifTnPFfRKT2_EXadL_ZNS_11silu_kernelIfEEfRKT_EELi32EEEvPT0_PS8_PKT1_PS2_il,"axG",@progbits,_ZN5aiter23act_and_mul_bias_kernelIDF16_DF16_ifTnPFfRKT2_EXadL_ZNS_11silu_kernelIfEEfRKT_EELi32EEEvPT0_PS8_PKT1_PS2_il,comdat
	.protected	_ZN5aiter23act_and_mul_bias_kernelIDF16_DF16_ifTnPFfRKT2_EXadL_ZNS_11silu_kernelIfEEfRKT_EELi32EEEvPT0_PS8_PKT1_PS2_il ; -- Begin function _ZN5aiter23act_and_mul_bias_kernelIDF16_DF16_ifTnPFfRKT2_EXadL_ZNS_11silu_kernelIfEEfRKT_EELi32EEEvPT0_PS8_PKT1_PS2_il
	.globl	_ZN5aiter23act_and_mul_bias_kernelIDF16_DF16_ifTnPFfRKT2_EXadL_ZNS_11silu_kernelIfEEfRKT_EELi32EEEvPT0_PS8_PKT1_PS2_il
	.p2align	8
	.type	_ZN5aiter23act_and_mul_bias_kernelIDF16_DF16_ifTnPFfRKT2_EXadL_ZNS_11silu_kernelIfEEfRKT_EELi32EEEvPT0_PS8_PKT1_PS2_il,@function
_ZN5aiter23act_and_mul_bias_kernelIDF16_DF16_ifTnPFfRKT2_EXadL_ZNS_11silu_kernelIfEEfRKT_EELi32EEEvPT0_PS8_PKT1_PS2_il: ; @_ZN5aiter23act_and_mul_bias_kernelIDF16_DF16_ifTnPFfRKT2_EXadL_ZNS_11silu_kernelIfEEfRKT_EELi32EEEvPT0_PS8_PKT1_PS2_il
; %bb.0:
	s_load_dword s6, s[0:1], 0x20
	s_load_dwordx2 s[4:5], s[0:1], 0x10
	s_load_dwordx2 s[14:15], s[0:1], 0x28
	s_mov_b32 s3, 0
	s_lshl_b64 s[8:9], s[2:3], 2
	s_waitcnt lgkmcnt(0)
	s_ashr_i32 s7, s6, 31
	s_add_u32 s8, s4, s8
	s_addc_u32 s9, s5, s9
	s_add_i32 s3, s6, 1
	s_load_dword s4, s[8:9], 0x0
	s_load_dwordx2 s[16:17], s[0:1], 0x0
	s_lshr_b32 s8, s3, 31
	s_add_i32 s3, s3, s8
	s_lshl_b32 s3, s3, 1
	s_and_b32 s10, s3, -4
	s_mul_hi_u32 s3, s6, s2
	s_mul_i32 s8, s7, s2
	s_add_i32 s9, s3, s8
	s_mul_i32 s8, s6, s2
	s_waitcnt lgkmcnt(0)
	s_ashr_i32 s5, s4, 31
	s_lshl_b64 s[8:9], s[8:9], 1
	v_mov_b64_e32 v[2:3], s[14:15]
	v_cmp_gt_i64_e64 s[18:19], s[4:5], -1
	s_add_u32 s8, s16, s8
	v_cmp_lt_i64_e32 vcc, s[4:5], v[2:3]
	s_addc_u32 s3, s17, s9
	s_and_b64 s[14:15], s[18:19], vcc
	s_mov_b64 s[12:13], -1
	s_and_b32 s9, s3, 0xffff
	s_and_b64 vcc, exec, s[14:15]
	v_lshlrev_b32_e32 v4, 5, v0
	s_cbranch_vccnz .LBB178_5
; %bb.1:
	v_cmp_gt_i32_e32 vcc, s6, v4
	s_and_saveexec_b64 s[12:13], vcc
	s_cbranch_execz .LBB178_4
; %bb.2:
	s_load_dword s3, s[0:1], 0x3c
	s_mov_b32 s15, 0
	s_mov_b32 s20, s15
	s_mov_b32 s21, s15
	v_mov_b32_e32 v5, 0
	v_lshlrev_b32_e32 v8, 6, v0
	s_waitcnt lgkmcnt(0)
	s_and_b32 s3, s3, 0xffff
	s_mov_b32 s22, s15
	s_mov_b32 s23, s15
	v_mov_b64_e32 v[0:1], s[20:21]
	s_lshl_b32 s14, s3, 5
	s_lshl_b32 s3, s3, 6
	s_mov_b64 s[16:17], 0
	s_mov_b32 s11, 0x20000
	v_mov_b64_e32 v[2:3], s[22:23]
	v_mov_b64_e32 v[6:7], v[4:5]
.LBB178_3:                              ; =>This Inner Loop Header: Depth=1
	v_lshl_add_u64 v[6:7], s[14:15], 0, v[6:7]
	v_cmp_le_i64_e32 vcc, s[6:7], v[6:7]
	buffer_store_dwordx4 v[0:3], v8, s[8:11], 0 offen
	buffer_store_dwordx4 v[0:3], v8, s[8:11], 16 offen
	;; [unrolled: 1-line block ×4, first 2 shown]
	s_or_b64 s[16:17], vcc, s[16:17]
	v_add_u32_e32 v8, s3, v8
	s_andn2_b64 exec, exec, s[16:17]
	s_cbranch_execnz .LBB178_3
.LBB178_4:
	s_or_b64 exec, exec, s[12:13]
	s_mov_b64 s[12:13], 0
.LBB178_5:
	s_andn2_b64 vcc, exec, s[12:13]
	s_cbranch_vccnz .LBB178_9
; %bb.6:
	v_cmp_gt_i32_e32 vcc, s6, v4
	s_and_saveexec_b64 s[12:13], vcc
	s_cbranch_execz .LBB178_9
; %bb.7:
	s_load_dwordx2 s[12:13], s[0:1], 0x18
	s_load_dwordx2 s[18:19], s[0:1], 0x8
	s_mul_hi_i32 s5, s6, s4
	s_mul_i32 s4, s6, s4
	s_lshl_b64 s[4:5], s[4:5], 3
	s_waitcnt lgkmcnt(0)
	s_add_u32 s12, s12, s4
	s_addc_u32 s3, s13, s5
	s_lshl_b64 s[4:5], s[6:7], 2
	s_add_u32 s16, s12, s4
	s_addc_u32 s4, s3, s5
	s_and_b32 s13, s3, 0xffff
	s_and_b32 s17, s4, 0xffff
	s_mul_i32 s3, s2, s7
	s_mul_hi_u32 s4, s2, s6
	s_add_i32 s3, s4, s3
	s_mul_i32 s2, s2, s6
	s_lshl_b32 s14, s6, 2
	s_lshl_b64 s[2:3], s[2:3], 2
	s_add_u32 s20, s18, s2
	s_addc_u32 s4, s19, s3
	s_lshl_b64 s[2:3], s[6:7], 1
	s_add_u32 s24, s20, s2
	s_addc_u32 s2, s4, s3
	s_and_b32 s21, s4, 0xffff
	s_and_b32 s25, s2, 0xffff
	s_mov_b32 s11, 0x20000
	s_add_u32 s28, s0, 48
	s_mov_b32 s15, s11
	v_mov_b32_e32 v5, 0
	s_addc_u32 s29, s1, 0
	s_mov_b64 s[30:31], 0
	s_mov_b32 s22, s10
	s_mov_b32 s23, s11
	;; [unrolled: 1-line block ×3, first 2 shown]
	s_movk_i32 s33, 0x50
	s_movk_i32 s36, 0x60
	;; [unrolled: 1-line block ×3, first 2 shown]
	s_mov_b32 s38, 0xbfb8aa3b
	s_mov_b32 s39, 0x42ce8ed0
	;; [unrolled: 1-line block ×3, first 2 shown]
	v_mov_b32_e32 v76, 0x7f800000
	s_mov_b32 s26, s10
	s_mov_b32 s27, s11
.LBB178_8:                              ; =>This Inner Loop Header: Depth=1
	v_lshlrev_b32_e32 v77, 1, v4
	buffer_load_dwordx4 v[6:9], v77, s[24:27], 0 offen
	buffer_load_dwordx4 v[10:13], v77, s[20:23], 0 offen
	;; [unrolled: 1-line block ×8, first 2 shown]
	s_mov_b32 s18, s14
	s_mov_b32 s19, s15
	v_lshlrev_b32_e32 v82, 2, v4
	buffer_load_dwordx4 v[78:81], v82, s[16:19], 64 offen
	s_waitcnt vmcnt(8)
	v_cvt_f32_f16_e32 v0, v6
	v_cvt_f32_f16_sdwa v1, v6 dst_sel:DWORD dst_unused:UNUSED_PAD src0_sel:WORD_1
	v_cvt_f32_f16_e32 v2, v7
	v_cvt_f32_f16_sdwa v3, v7 dst_sel:DWORD dst_unused:UNUSED_PAD src0_sel:WORD_1
	s_waitcnt vmcnt(7)
	v_cvt_f32_f16_e32 v62, v10
	v_cvt_f32_f16_sdwa v63, v10 dst_sel:DWORD dst_unused:UNUSED_PAD src0_sel:WORD_1
	v_cvt_f32_f16_e32 v64, v11
	s_waitcnt vmcnt(1)
	v_cvt_f32_f16_e32 v42, v66
	v_cvt_f32_f16_sdwa v43, v66 dst_sel:DWORD dst_unused:UNUSED_PAD src0_sel:WORD_1
	v_cvt_f32_f16_e32 v44, v67
	v_cvt_f32_f16_sdwa v45, v67 dst_sel:DWORD dst_unused:UNUSED_PAD src0_sel:WORD_1
	;; [unrolled: 2-line block ×4, first 2 shown]
	buffer_load_dwordx4 v[66:69], v82, s[16:19], 0 offen
	v_cvt_f32_f16_sdwa v65, v11 dst_sel:DWORD dst_unused:UNUSED_PAD src0_sel:WORD_1
	v_cvt_f32_f16_e32 v6, v8
	v_cvt_f32_f16_sdwa v7, v8 dst_sel:DWORD dst_unused:UNUSED_PAD src0_sel:WORD_1
	v_cvt_f32_f16_e32 v8, v9
	;; [unrolled: 2-line block ×24, first 2 shown]
	v_cvt_f32_f16_sdwa v33, v33 dst_sel:DWORD dst_unused:UNUSED_PAD src0_sel:WORD_1
	s_waitcnt vmcnt(0)
	v_pk_add_f32 v[0:1], v[66:67], v[0:1]
	v_pk_add_f32 v[2:3], v[68:69], v[2:3]
	buffer_load_dwordx4 v[66:69], v82, s[12:15], 0 offen
	s_waitcnt vmcnt(0)
	v_pk_add_f32 v[74:75], v[66:67], v[62:63]
	v_pk_add_f32 v[72:73], v[68:69], v[64:65]
	buffer_load_dwordx4 v[62:65], v82, s[16:19], 16 offen
	v_cmp_nlt_f32_e32 vcc, s39, v75
	v_cmp_nlt_f32_e64 s[0:1], s39, v74
	v_cmp_ngt_f32_e64 s[2:3], s40, v75
	v_cmp_ngt_f32_e64 s[4:5], s40, v74
	s_waitcnt vmcnt(0)
	v_pk_add_f32 v[6:7], v[62:63], v[6:7]
	v_pk_add_f32 v[8:9], v[64:65], v[8:9]
	buffer_load_dwordx4 v[62:65], v82, s[12:15], 16 offen
	s_waitcnt vmcnt(0)
	v_pk_add_f32 v[70:71], v[62:63], v[10:11]
	v_pk_add_f32 v[68:69], v[64:65], v[56:57]
	buffer_load_dwordx4 v[62:65], v82, s[16:19], 32 offen
	;; [unrolled: 4-line block ×4, first 2 shown]
	s_waitcnt vmcnt(0)
	v_pk_add_f32 v[16:17], v[58:59], v[16:17]
	buffer_load_dwordx4 v[58:61], v82, s[12:15], 48 offen
	v_pk_add_f32 v[14:15], v[56:57], v[14:15]
	s_waitcnt vmcnt(0)
	v_pk_add_f32 v[58:59], v[58:59], v[18:19]
	v_pk_add_f32 v[62:63], v[60:61], v[46:47]
	;; [unrolled: 1-line block ×4, first 2 shown]
	buffer_load_dwordx4 v[46:49], v82, s[12:15], 64 offen
	s_waitcnt vmcnt(0)
	v_pk_add_f32 v[64:65], v[46:47], v[50:51]
	v_pk_add_f32 v[60:61], v[48:49], v[52:53]
	buffer_load_dwordx4 v[46:49], v82, s[16:19], s33 offen
	s_waitcnt vmcnt(0)
	v_pk_add_f32 v[22:23], v[46:47], v[22:23]
	v_pk_add_f32 v[24:25], v[48:49], v[24:25]
	;; [unrolled: 4-line block ×5, first 2 shown]
	buffer_load_dwordx4 v[38:41], v82, s[16:19], s37 offen
	buffer_load_dwordx4 v[44:47], v82, s[12:15], s37 offen
	s_waitcnt vmcnt(1)
	v_pk_add_f32 v[32:33], v[40:41], v[32:33]
	s_waitcnt vmcnt(0)
	v_pk_add_f32 v[40:41], v[44:45], v[36:37]
	v_mul_f32_e32 v36, 0xbfb8aa3b, v74
	v_pk_add_f32 v[30:31], v[38:39], v[30:31]
	v_fma_f32 v37, v74, s38, -v36
	v_rndne_f32_e32 v38, v36
	v_fmac_f32_e32 v37, 0xb2a5705f, v74
	v_sub_f32_e32 v36, v36, v38
	v_add_f32_e32 v36, v36, v37
	v_mul_f32_e32 v37, 0xbfb8aa3b, v75
	v_cvt_i32_f32_e32 v38, v38
	v_exp_f32_e32 v36, v36
	v_fma_f32 v39, v75, s38, -v37
	v_rndne_f32_e32 v44, v37
	v_fmac_f32_e32 v39, 0xb2a5705f, v75
	v_sub_f32_e32 v37, v37, v44
	v_add_f32_e32 v37, v37, v39
	v_ldexp_f32 v36, v36, v38
	v_cvt_i32_f32_e32 v38, v44
	v_exp_f32_e32 v37, v37
	v_pk_add_f32 v[34:35], v[46:47], v[34:35]
	v_cndmask_b32_e64 v36, 0, v36, s[0:1]
	v_cmp_nlt_f32_e64 s[0:1], s39, v72
	v_ldexp_f32 v37, v37, v38
	v_mul_f32_e32 v38, 0xbfb8aa3b, v72
	v_fma_f32 v39, v72, s38, -v38
	v_rndne_f32_e32 v44, v38
	v_fmac_f32_e32 v39, 0xb2a5705f, v72
	v_sub_f32_e32 v38, v38, v44
	v_add_f32_e32 v38, v38, v39
	v_mul_f32_e32 v39, 0xbfb8aa3b, v73
	v_cvt_i32_f32_e32 v44, v44
	v_exp_f32_e32 v38, v38
	v_fma_f32 v45, v73, s38, -v39
	v_rndne_f32_e32 v46, v39
	v_fmac_f32_e32 v45, 0xb2a5705f, v73
	v_sub_f32_e32 v39, v39, v46
	v_add_f32_e32 v39, v39, v45
	v_ldexp_f32 v38, v38, v44
	v_cvt_i32_f32_e32 v44, v46
	v_exp_f32_e32 v39, v39
	v_cndmask_b32_e32 v37, 0, v37, vcc
	v_cmp_nlt_f32_e32 vcc, s39, v73
	v_cndmask_b32_e64 v36, v76, v36, s[4:5]
	v_ldexp_f32 v39, v39, v44
	v_mul_f32_e32 v44, 0xbfb8aa3b, v70
	v_fma_f32 v45, v70, s38, -v44
	v_rndne_f32_e32 v46, v44
	v_fmac_f32_e32 v45, 0xb2a5705f, v70
	v_sub_f32_e32 v44, v44, v46
	v_add_f32_e32 v44, v44, v45
	v_mul_f32_e32 v45, 0xbfb8aa3b, v71
	v_cvt_i32_f32_e32 v46, v46
	v_exp_f32_e32 v44, v44
	v_fma_f32 v47, v71, s38, -v45
	v_rndne_f32_e32 v50, v45
	v_fmac_f32_e32 v47, 0xb2a5705f, v71
	v_sub_f32_e32 v45, v45, v50
	v_add_f32_e32 v45, v45, v47
	v_ldexp_f32 v44, v44, v46
	v_cvt_i32_f32_e32 v46, v50
	v_exp_f32_e32 v45, v45
	v_cndmask_b32_e64 v37, v76, v37, s[2:3]
	v_cmp_ngt_f32_e64 s[2:3], s40, v73
	v_cmp_ngt_f32_e64 s[4:5], s40, v72
	v_cndmask_b32_e64 v38, 0, v38, s[0:1]
	v_cndmask_b32_e32 v39, 0, v39, vcc
	v_ldexp_f32 v45, v45, v46
	v_cmp_nlt_f32_e32 vcc, s39, v71
	v_cmp_nlt_f32_e64 s[0:1], s39, v70
	v_cndmask_b32_e64 v38, v76, v38, s[4:5]
	v_cndmask_b32_e64 v39, v76, v39, s[2:3]
	v_cmp_ngt_f32_e64 s[2:3], s40, v71
	v_cmp_ngt_f32_e64 s[4:5], s40, v70
	v_cndmask_b32_e64 v44, 0, v44, s[0:1]
	v_cndmask_b32_e32 v45, 0, v45, vcc
	v_cndmask_b32_e64 v44, v76, v44, s[4:5]
	v_cndmask_b32_e64 v45, v76, v45, s[2:3]
	v_add_f32_e32 v44, 1.0, v44
	v_add_f32_e32 v45, 1.0, v45
	v_mul_f32_e32 v46, 0xbfb8aa3b, v68
	v_rcp_f32_e32 v44, v44
	v_rcp_f32_e32 v45, v45
	v_fma_f32 v47, v68, s38, -v46
	v_rndne_f32_e32 v50, v46
	v_fmac_f32_e32 v47, 0xb2a5705f, v68
	v_sub_f32_e32 v46, v46, v50
	v_add_f32_e32 v46, v46, v47
	v_mul_f32_e32 v47, 0xbfb8aa3b, v69
	v_cvt_i32_f32_e32 v50, v50
	v_exp_f32_e32 v46, v46
	v_pk_mul_f32 v[44:45], v[70:71], v[44:45]
	v_fma_f32 v51, v69, s38, -v47
	v_rndne_f32_e32 v70, v47
	v_fmac_f32_e32 v51, 0xb2a5705f, v69
	v_sub_f32_e32 v47, v47, v70
	v_add_f32_e32 v47, v47, v51
	v_ldexp_f32 v46, v46, v50
	v_cvt_i32_f32_e32 v50, v70
	v_exp_f32_e32 v47, v47
	v_cmp_nlt_f32_e32 vcc, s39, v69
	v_cmp_nlt_f32_e64 s[0:1], s39, v68
	v_cmp_ngt_f32_e64 s[2:3], s40, v69
	v_ldexp_f32 v47, v47, v50
	v_cmp_ngt_f32_e64 s[4:5], s40, v68
	v_cndmask_b32_e64 v46, 0, v46, s[0:1]
	v_cndmask_b32_e32 v47, 0, v47, vcc
	v_cndmask_b32_e64 v46, v76, v46, s[4:5]
	v_cndmask_b32_e64 v47, v76, v47, s[2:3]
	v_add_f32_e32 v46, 1.0, v46
	v_add_f32_e32 v47, 1.0, v47
	v_rcp_f32_e32 v46, v46
	v_rcp_f32_e32 v47, v47
	v_mul_f32_e32 v50, 0xbfb8aa3b, v66
	v_fma_f32 v51, v66, s38, -v50
	v_fmac_f32_e32 v51, 0xb2a5705f, v66
	v_pk_mul_f32 v[46:47], v[68:69], v[46:47]
	v_rndne_f32_e32 v68, v50
	v_sub_f32_e32 v50, v50, v68
	v_add_f32_e32 v50, v50, v51
	v_mul_f32_e32 v51, 0xbfb8aa3b, v67
	v_cvt_i32_f32_e32 v68, v68
	v_exp_f32_e32 v50, v50
	v_fma_f32 v69, v67, s38, -v51
	v_rndne_f32_e32 v70, v51
	v_fmac_f32_e32 v69, 0xb2a5705f, v67
	v_sub_f32_e32 v51, v51, v70
	v_add_f32_e32 v51, v51, v69
	v_ldexp_f32 v50, v50, v68
	v_cvt_i32_f32_e32 v68, v70
	v_exp_f32_e32 v51, v51
	v_cmp_nlt_f32_e32 vcc, s39, v67
	v_cmp_nlt_f32_e64 s[0:1], s39, v66
	v_cmp_ngt_f32_e64 s[2:3], s40, v67
	v_ldexp_f32 v51, v51, v68
	v_cmp_ngt_f32_e64 s[4:5], s40, v66
	v_cndmask_b32_e64 v50, 0, v50, s[0:1]
	v_cndmask_b32_e32 v51, 0, v51, vcc
	v_cndmask_b32_e64 v50, v76, v50, s[4:5]
	v_cndmask_b32_e64 v51, v76, v51, s[2:3]
	v_add_f32_e32 v50, 1.0, v50
	v_add_f32_e32 v51, 1.0, v51
	v_rcp_f32_e32 v50, v50
	v_rcp_f32_e32 v51, v51
	v_cmp_nlt_f32_e32 vcc, s39, v55
	v_cmp_nlt_f32_e64 s[0:1], s39, v54
	v_cmp_ngt_f32_e64 s[2:3], s40, v55
	v_pk_mul_f32 v[50:51], v[66:67], v[50:51]
	v_mul_f32_e32 v66, 0xbfb8aa3b, v54
	v_fma_f32 v67, v54, s38, -v66
	v_rndne_f32_e32 v68, v66
	v_fmac_f32_e32 v67, 0xb2a5705f, v54
	v_sub_f32_e32 v66, v66, v68
	v_add_f32_e32 v66, v66, v67
	v_mul_f32_e32 v67, 0xbfb8aa3b, v55
	v_cvt_i32_f32_e32 v68, v68
	v_exp_f32_e32 v66, v66
	v_fma_f32 v69, v55, s38, -v67
	v_rndne_f32_e32 v70, v67
	v_fmac_f32_e32 v69, 0xb2a5705f, v55
	v_sub_f32_e32 v67, v67, v70
	v_add_f32_e32 v67, v67, v69
	v_ldexp_f32 v66, v66, v68
	v_cvt_i32_f32_e32 v68, v70
	v_exp_f32_e32 v67, v67
	v_cmp_ngt_f32_e64 s[4:5], s40, v54
	v_cndmask_b32_e64 v66, 0, v66, s[0:1]
	v_cmp_nlt_f32_e64 s[0:1], s39, v58
	v_ldexp_f32 v67, v67, v68
	v_cndmask_b32_e32 v67, 0, v67, vcc
	v_cndmask_b32_e64 v66, v76, v66, s[4:5]
	v_cndmask_b32_e64 v67, v76, v67, s[2:3]
	v_add_f32_e32 v66, 1.0, v66
	v_add_f32_e32 v67, 1.0, v67
	v_rcp_f32_e32 v66, v66
	v_rcp_f32_e32 v67, v67
	v_cmp_nlt_f32_e32 vcc, s39, v59
	v_cmp_ngt_f32_e64 s[2:3], s40, v59
	v_cmp_ngt_f32_e64 s[4:5], s40, v58
	v_pk_mul_f32 v[54:55], v[54:55], v[66:67]
	v_mul_f32_e32 v66, 0xbfb8aa3b, v58
	v_fma_f32 v67, v58, s38, -v66
	v_rndne_f32_e32 v68, v66
	v_fmac_f32_e32 v67, 0xb2a5705f, v58
	v_sub_f32_e32 v66, v66, v68
	v_add_f32_e32 v66, v66, v67
	v_mul_f32_e32 v67, 0xbfb8aa3b, v59
	v_cvt_i32_f32_e32 v68, v68
	v_exp_f32_e32 v66, v66
	v_fma_f32 v69, v59, s38, -v67
	v_rndne_f32_e32 v70, v67
	v_fmac_f32_e32 v69, 0xb2a5705f, v59
	v_sub_f32_e32 v67, v67, v70
	v_add_f32_e32 v67, v67, v69
	v_ldexp_f32 v66, v66, v68
	v_cvt_i32_f32_e32 v68, v70
	v_exp_f32_e32 v67, v67
	v_cndmask_b32_e64 v66, 0, v66, s[0:1]
	v_cndmask_b32_e64 v66, v76, v66, s[4:5]
	v_add_f32_e32 v66, 1.0, v66
	v_ldexp_f32 v67, v67, v68
	v_cndmask_b32_e32 v67, 0, v67, vcc
	v_cndmask_b32_e64 v67, v76, v67, s[2:3]
	v_add_f32_e32 v67, 1.0, v67
	v_rcp_f32_e32 v66, v66
	v_rcp_f32_e32 v67, v67
	v_cmp_nlt_f32_e32 vcc, s39, v63
	v_cmp_nlt_f32_e64 s[0:1], s39, v62
	v_cmp_ngt_f32_e64 s[2:3], s40, v63
	v_pk_mul_f32 v[58:59], v[58:59], v[66:67]
	v_mul_f32_e32 v66, 0xbfb8aa3b, v62
	v_fma_f32 v67, v62, s38, -v66
	v_rndne_f32_e32 v68, v66
	v_fmac_f32_e32 v67, 0xb2a5705f, v62
	v_sub_f32_e32 v66, v66, v68
	v_add_f32_e32 v66, v66, v67
	v_mul_f32_e32 v67, 0xbfb8aa3b, v63
	v_cvt_i32_f32_e32 v68, v68
	v_exp_f32_e32 v66, v66
	v_fma_f32 v69, v63, s38, -v67
	v_rndne_f32_e32 v70, v67
	v_fmac_f32_e32 v69, 0xb2a5705f, v63
	v_sub_f32_e32 v67, v67, v70
	v_add_f32_e32 v67, v67, v69
	v_ldexp_f32 v66, v66, v68
	v_cvt_i32_f32_e32 v68, v70
	v_exp_f32_e32 v67, v67
	v_cmp_ngt_f32_e64 s[4:5], s40, v62
	v_cndmask_b32_e64 v66, 0, v66, s[0:1]
	v_cmp_nlt_f32_e64 s[0:1], s39, v64
	v_ldexp_f32 v67, v67, v68
	v_cndmask_b32_e32 v67, 0, v67, vcc
	v_cndmask_b32_e64 v66, v76, v66, s[4:5]
	v_cndmask_b32_e64 v67, v76, v67, s[2:3]
	v_add_f32_e32 v66, 1.0, v66
	v_add_f32_e32 v67, 1.0, v67
	v_rcp_f32_e32 v66, v66
	v_rcp_f32_e32 v67, v67
	v_cmp_nlt_f32_e32 vcc, s39, v65
	v_cmp_ngt_f32_e64 s[2:3], s40, v65
	v_cmp_ngt_f32_e64 s[4:5], s40, v64
	v_pk_mul_f32 v[62:63], v[62:63], v[66:67]
	v_mul_f32_e32 v66, 0xbfb8aa3b, v64
	v_fma_f32 v67, v64, s38, -v66
	v_rndne_f32_e32 v68, v66
	v_fmac_f32_e32 v67, 0xb2a5705f, v64
	v_sub_f32_e32 v66, v66, v68
	v_add_f32_e32 v66, v66, v67
	v_mul_f32_e32 v67, 0xbfb8aa3b, v65
	v_cvt_i32_f32_e32 v68, v68
	v_exp_f32_e32 v66, v66
	v_fma_f32 v69, v65, s38, -v67
	v_rndne_f32_e32 v70, v67
	v_fmac_f32_e32 v69, 0xb2a5705f, v65
	v_sub_f32_e32 v67, v67, v70
	v_add_f32_e32 v67, v67, v69
	v_ldexp_f32 v66, v66, v68
	v_cvt_i32_f32_e32 v68, v70
	v_exp_f32_e32 v67, v67
	v_cndmask_b32_e64 v66, 0, v66, s[0:1]
	v_cndmask_b32_e64 v66, v76, v66, s[4:5]
	v_add_f32_e32 v66, 1.0, v66
	v_ldexp_f32 v67, v67, v68
	v_cndmask_b32_e32 v67, 0, v67, vcc
	v_cndmask_b32_e64 v67, v76, v67, s[2:3]
	;; [unrolled: 62-line block ×5, first 2 shown]
	v_add_f32_e32 v67, 1.0, v67
	v_rcp_f32_e32 v66, v66
	v_rcp_f32_e32 v67, v67
	v_cmp_nlt_f32_e32 vcc, s39, v35
	v_cmp_nlt_f32_e64 s[0:1], s39, v34
	v_cmp_ngt_f32_e64 s[2:3], s40, v35
	v_pk_mul_f32 v[40:41], v[40:41], v[66:67]
	v_mul_f32_e32 v66, 0xbfb8aa3b, v34
	v_fma_f32 v67, v34, s38, -v66
	v_rndne_f32_e32 v68, v66
	v_fmac_f32_e32 v67, 0xb2a5705f, v34
	v_sub_f32_e32 v66, v66, v68
	v_add_f32_e32 v66, v66, v67
	v_mul_f32_e32 v67, 0xbfb8aa3b, v35
	v_cvt_i32_f32_e32 v68, v68
	v_exp_f32_e32 v66, v66
	v_fma_f32 v69, v35, s38, -v67
	v_rndne_f32_e32 v70, v67
	v_fmac_f32_e32 v69, 0xb2a5705f, v35
	v_sub_f32_e32 v67, v67, v70
	v_add_f32_e32 v67, v67, v69
	v_ldexp_f32 v66, v66, v68
	v_cvt_i32_f32_e32 v68, v70
	v_exp_f32_e32 v67, v67
	v_cmp_ngt_f32_e64 s[4:5], s40, v34
	v_cndmask_b32_e64 v66, 0, v66, s[0:1]
	v_add_f32_e32 v36, 1.0, v36
	v_ldexp_f32 v67, v67, v68
	v_cndmask_b32_e32 v67, 0, v67, vcc
	v_cndmask_b32_e64 v66, v76, v66, s[4:5]
	v_cndmask_b32_e64 v67, v76, v67, s[2:3]
	v_add_f32_e32 v37, 1.0, v37
	v_add_f32_e32 v38, 1.0, v38
	v_add_f32_e32 v39, 1.0, v39
	v_add_f32_e32 v66, 1.0, v66
	v_add_f32_e32 v67, 1.0, v67
	v_rcp_f32_e32 v36, v36
	v_rcp_f32_e32 v37, v37
	;; [unrolled: 1-line block ×6, first 2 shown]
	v_pk_mul_f32 v[36:37], v[74:75], v[36:37]
	v_pk_mul_f32 v[38:39], v[72:73], v[38:39]
	;;#ASMSTART
	v_pk_mul_f32 v[0:1], v[36:37], v[0:1]
	;;#ASMEND
	v_pk_mul_f32 v[34:35], v[34:35], v[66:67]
	;;#ASMSTART
	v_pk_mul_f32 v[2:3], v[38:39], v[2:3]
	;;#ASMEND
	;;#ASMSTART
	v_pk_mul_f32 v[6:7], v[44:45], v[6:7]
	;;#ASMEND
	;; [unrolled: 3-line block ×14, first 2 shown]
	s_nop 0
	;;#ASMSTART
	v_pk_mul_f32 v[32:33], v[34:35], v[32:33]
	;;#ASMEND
	s_load_dword s0, s[28:29], 0xc
	v_cvt_f16_f32_e32 v0, v0
	v_cvt_f16_f32_e32 v34, v1
	;; [unrolled: 1-line block ×32, first 2 shown]
	s_waitcnt lgkmcnt(0)
	s_and_b32 s0, s0, 0xffff
	s_lshl_b32 s34, s0, 5
	v_lshl_add_u64 v[4:5], s[34:35], 0, v[4:5]
	v_cmp_le_i64_e32 vcc, s[6:7], v[4:5]
	v_pack_b32_f16 v1, v1, v2
	v_pack_b32_f16 v3, v3, v8
	;; [unrolled: 1-line block ×13, first 2 shown]
	s_or_b64 s[30:31], vcc, s[30:31]
	v_pack_b32_f16 v11, v19, v20
	v_pack_b32_f16 v13, v23, v24
	;; [unrolled: 1-line block ×3, first 2 shown]
	buffer_store_dwordx4 v[0:3], v77, s[8:11], 0 offen
	buffer_store_dwordx4 v[6:9], v77, s[8:11], 16 offen
	buffer_store_dwordx4 v[10:13], v77, s[8:11], 32 offen
	buffer_store_dwordx4 v[14:17], v77, s[8:11], 48 offen
	s_andn2_b64 exec, exec, s[30:31]
	s_cbranch_execnz .LBB178_8
.LBB178_9:
	s_endpgm
	.section	.rodata,"a",@progbits
	.p2align	6, 0x0
	.amdhsa_kernel _ZN5aiter23act_and_mul_bias_kernelIDF16_DF16_ifTnPFfRKT2_EXadL_ZNS_11silu_kernelIfEEfRKT_EELi32EEEvPT0_PS8_PKT1_PS2_il
		.amdhsa_group_segment_fixed_size 0
		.amdhsa_private_segment_fixed_size 0
		.amdhsa_kernarg_size 304
		.amdhsa_user_sgpr_count 2
		.amdhsa_user_sgpr_dispatch_ptr 0
		.amdhsa_user_sgpr_queue_ptr 0
		.amdhsa_user_sgpr_kernarg_segment_ptr 1
		.amdhsa_user_sgpr_dispatch_id 0
		.amdhsa_user_sgpr_kernarg_preload_length 0
		.amdhsa_user_sgpr_kernarg_preload_offset 0
		.amdhsa_user_sgpr_private_segment_size 0
		.amdhsa_uses_dynamic_stack 0
		.amdhsa_enable_private_segment 0
		.amdhsa_system_sgpr_workgroup_id_x 1
		.amdhsa_system_sgpr_workgroup_id_y 0
		.amdhsa_system_sgpr_workgroup_id_z 0
		.amdhsa_system_sgpr_workgroup_info 0
		.amdhsa_system_vgpr_workitem_id 0
		.amdhsa_next_free_vgpr 83
		.amdhsa_next_free_sgpr 41
		.amdhsa_accum_offset 84
		.amdhsa_reserve_vcc 1
		.amdhsa_float_round_mode_32 0
		.amdhsa_float_round_mode_16_64 0
		.amdhsa_float_denorm_mode_32 3
		.amdhsa_float_denorm_mode_16_64 3
		.amdhsa_dx10_clamp 1
		.amdhsa_ieee_mode 1
		.amdhsa_fp16_overflow 0
		.amdhsa_tg_split 0
		.amdhsa_exception_fp_ieee_invalid_op 0
		.amdhsa_exception_fp_denorm_src 0
		.amdhsa_exception_fp_ieee_div_zero 0
		.amdhsa_exception_fp_ieee_overflow 0
		.amdhsa_exception_fp_ieee_underflow 0
		.amdhsa_exception_fp_ieee_inexact 0
		.amdhsa_exception_int_div_zero 0
	.end_amdhsa_kernel
	.section	.text._ZN5aiter23act_and_mul_bias_kernelIDF16_DF16_ifTnPFfRKT2_EXadL_ZNS_11silu_kernelIfEEfRKT_EELi32EEEvPT0_PS8_PKT1_PS2_il,"axG",@progbits,_ZN5aiter23act_and_mul_bias_kernelIDF16_DF16_ifTnPFfRKT2_EXadL_ZNS_11silu_kernelIfEEfRKT_EELi32EEEvPT0_PS8_PKT1_PS2_il,comdat
.Lfunc_end178:
	.size	_ZN5aiter23act_and_mul_bias_kernelIDF16_DF16_ifTnPFfRKT2_EXadL_ZNS_11silu_kernelIfEEfRKT_EELi32EEEvPT0_PS8_PKT1_PS2_il, .Lfunc_end178-_ZN5aiter23act_and_mul_bias_kernelIDF16_DF16_ifTnPFfRKT2_EXadL_ZNS_11silu_kernelIfEEfRKT_EELi32EEEvPT0_PS8_PKT1_PS2_il
                                        ; -- End function
	.section	.AMDGPU.csdata,"",@progbits
; Kernel info:
; codeLenInByte = 4900
; NumSgprs: 47
; NumVgprs: 83
; NumAgprs: 0
; TotalNumVgprs: 83
; ScratchSize: 0
; MemoryBound: 0
; FloatMode: 240
; IeeeMode: 1
; LDSByteSize: 0 bytes/workgroup (compile time only)
; SGPRBlocks: 5
; VGPRBlocks: 10
; NumSGPRsForWavesPerEU: 47
; NumVGPRsForWavesPerEU: 83
; AccumOffset: 84
; Occupancy: 5
; WaveLimiterHint : 0
; COMPUTE_PGM_RSRC2:SCRATCH_EN: 0
; COMPUTE_PGM_RSRC2:USER_SGPR: 2
; COMPUTE_PGM_RSRC2:TRAP_HANDLER: 0
; COMPUTE_PGM_RSRC2:TGID_X_EN: 1
; COMPUTE_PGM_RSRC2:TGID_Y_EN: 0
; COMPUTE_PGM_RSRC2:TGID_Z_EN: 0
; COMPUTE_PGM_RSRC2:TIDIG_COMP_CNT: 0
; COMPUTE_PGM_RSRC3_GFX90A:ACCUM_OFFSET: 20
; COMPUTE_PGM_RSRC3_GFX90A:TG_SPLIT: 0
	.section	.text._ZN5aiter23act_and_mul_bias_kernelIDF16_DF16_ifTnPFfRKT2_EXadL_ZNS_11silu_kernelIfEEfRKT_EELi16EEEvPT0_PS8_PKT1_PS2_il,"axG",@progbits,_ZN5aiter23act_and_mul_bias_kernelIDF16_DF16_ifTnPFfRKT2_EXadL_ZNS_11silu_kernelIfEEfRKT_EELi16EEEvPT0_PS8_PKT1_PS2_il,comdat
	.protected	_ZN5aiter23act_and_mul_bias_kernelIDF16_DF16_ifTnPFfRKT2_EXadL_ZNS_11silu_kernelIfEEfRKT_EELi16EEEvPT0_PS8_PKT1_PS2_il ; -- Begin function _ZN5aiter23act_and_mul_bias_kernelIDF16_DF16_ifTnPFfRKT2_EXadL_ZNS_11silu_kernelIfEEfRKT_EELi16EEEvPT0_PS8_PKT1_PS2_il
	.globl	_ZN5aiter23act_and_mul_bias_kernelIDF16_DF16_ifTnPFfRKT2_EXadL_ZNS_11silu_kernelIfEEfRKT_EELi16EEEvPT0_PS8_PKT1_PS2_il
	.p2align	8
	.type	_ZN5aiter23act_and_mul_bias_kernelIDF16_DF16_ifTnPFfRKT2_EXadL_ZNS_11silu_kernelIfEEfRKT_EELi16EEEvPT0_PS8_PKT1_PS2_il,@function
_ZN5aiter23act_and_mul_bias_kernelIDF16_DF16_ifTnPFfRKT2_EXadL_ZNS_11silu_kernelIfEEfRKT_EELi16EEEvPT0_PS8_PKT1_PS2_il: ; @_ZN5aiter23act_and_mul_bias_kernelIDF16_DF16_ifTnPFfRKT2_EXadL_ZNS_11silu_kernelIfEEfRKT_EELi16EEEvPT0_PS8_PKT1_PS2_il
; %bb.0:
	s_load_dword s24, s[0:1], 0x20
	s_load_dwordx2 s[4:5], s[0:1], 0x10
	s_load_dwordx2 s[12:13], s[0:1], 0x28
	s_mov_b32 s3, 0
	s_lshl_b64 s[6:7], s[2:3], 2
	s_waitcnt lgkmcnt(0)
	s_ashr_i32 s25, s24, 31
	s_add_u32 s4, s4, s6
	s_addc_u32 s5, s5, s7
	s_add_i32 s3, s24, 1
	s_load_dword s8, s[4:5], 0x0
	s_load_dwordx2 s[14:15], s[0:1], 0x0
	s_lshr_b32 s4, s3, 31
	s_add_i32 s3, s3, s4
	s_lshl_b32 s3, s3, 1
	s_and_b32 s6, s3, -4
	s_mul_hi_u32 s3, s24, s2
	s_mul_i32 s4, s25, s2
	s_add_i32 s5, s3, s4
	s_mul_i32 s4, s24, s2
	s_waitcnt lgkmcnt(0)
	s_ashr_i32 s9, s8, 31
	s_lshl_b64 s[4:5], s[4:5], 1
	v_mov_b64_e32 v[2:3], s[12:13]
	v_cmp_gt_i64_e64 s[16:17], s[8:9], -1
	s_add_u32 s4, s14, s4
	v_cmp_lt_i64_e32 vcc, s[8:9], v[2:3]
	s_addc_u32 s3, s15, s5
	s_and_b64 s[12:13], s[16:17], vcc
	s_mov_b64 s[10:11], -1
	s_and_b32 s5, s3, 0xffff
	s_and_b64 vcc, exec, s[12:13]
	v_lshlrev_b32_e32 v44, 4, v0
	s_cbranch_vccnz .LBB179_5
; %bb.1:
	v_cmp_gt_i32_e32 vcc, s24, v44
	s_and_saveexec_b64 s[10:11], vcc
	s_cbranch_execz .LBB179_4
; %bb.2:
	s_load_dword s3, s[0:1], 0x3c
	s_mov_b32 s13, 0
	s_mov_b32 s16, s13
	;; [unrolled: 1-line block ×3, first 2 shown]
	v_mov_b32_e32 v45, 0
	v_lshlrev_b32_e32 v6, 5, v0
	s_waitcnt lgkmcnt(0)
	s_and_b32 s3, s3, 0xffff
	s_mov_b32 s18, s13
	s_mov_b32 s19, s13
	v_mov_b64_e32 v[0:1], s[16:17]
	s_lshl_b32 s12, s3, 4
	s_lshl_b32 s3, s3, 5
	s_mov_b64 s[14:15], 0
	s_mov_b32 s7, 0x20000
	v_mov_b64_e32 v[2:3], s[18:19]
	v_mov_b64_e32 v[4:5], v[44:45]
.LBB179_3:                              ; =>This Inner Loop Header: Depth=1
	v_lshl_add_u64 v[4:5], s[12:13], 0, v[4:5]
	v_cmp_le_i64_e32 vcc, s[24:25], v[4:5]
	buffer_store_dwordx4 v[0:3], v6, s[4:7], 0 offen
	buffer_store_dwordx4 v[0:3], v6, s[4:7], 16 offen
	s_or_b64 s[14:15], vcc, s[14:15]
	v_add_u32_e32 v6, s3, v6
	s_andn2_b64 exec, exec, s[14:15]
	s_cbranch_execnz .LBB179_3
.LBB179_4:
	s_or_b64 exec, exec, s[10:11]
	s_mov_b64 s[10:11], 0
.LBB179_5:
	s_andn2_b64 vcc, exec, s[10:11]
	s_cbranch_vccnz .LBB179_9
; %bb.6:
	v_cmp_gt_i32_e32 vcc, s24, v44
	s_and_saveexec_b64 s[10:11], vcc
	s_cbranch_execz .LBB179_9
; %bb.7:
	s_load_dwordx2 s[10:11], s[0:1], 0x18
	s_load_dwordx2 s[14:15], s[0:1], 0x8
	s_mul_hi_i32 s9, s24, s8
	s_mul_i32 s8, s24, s8
	s_lshl_b64 s[8:9], s[8:9], 3
	s_waitcnt lgkmcnt(0)
	s_add_u32 s8, s10, s8
	s_addc_u32 s3, s11, s9
	s_lshl_b64 s[10:11], s[24:25], 2
	s_add_u32 s12, s8, s10
	s_addc_u32 s13, s3, s11
	s_and_b32 s9, s3, 0xffff
	s_mul_i32 s3, s2, s25
	s_mul_hi_u32 s16, s2, s24
	s_add_i32 s3, s16, s3
	s_mul_i32 s2, s2, s24
	s_lshl_b32 s10, s24, 2
	s_and_b32 s13, s13, 0xffff
	s_lshl_b64 s[2:3], s[2:3], 2
	s_add_u32 s16, s14, s2
	s_addc_u32 s14, s15, s3
	s_lshl_b64 s[2:3], s[24:25], 1
	s_add_u32 s20, s16, s2
	s_addc_u32 s2, s14, s3
	s_and_b32 s17, s14, 0xffff
	s_and_b32 s21, s2, 0xffff
	s_mov_b32 s7, 0x20000
	s_add_u32 s0, s0, 48
	s_mov_b32 s11, s7
	v_mov_b32_e32 v45, 0
	s_addc_u32 s1, s1, 0
	s_mov_b64 s[2:3], 0
	s_mov_b32 s18, s6
	s_mov_b32 s19, s7
	s_mov_b32 s27, 0
	s_mov_b32 s28, 0xbfb8aa3b
	s_mov_b32 s29, 0x42ce8ed0
	s_mov_b32 s30, 0xc2b17218
	v_mov_b32_e32 v46, 0x7f800000
	s_mov_b32 s22, s6
	s_mov_b32 s23, s7
.LBB179_8:                              ; =>This Inner Loop Header: Depth=1
	v_lshlrev_b32_e32 v47, 1, v44
	buffer_load_dwordx4 v[24:27], v47, s[16:19], 0 offen
	buffer_load_dwordx4 v[4:7], v47, s[16:19], 16 offen
	;; [unrolled: 1-line block ×4, first 2 shown]
	v_lshlrev_b32_e32 v52, 2, v44
	s_mov_b32 s14, s10
	s_mov_b32 s15, s11
	buffer_load_dwordx4 v[40:43], v52, s[8:11], 0 offen
	buffer_load_dwordx4 v[28:31], v52, s[8:11], 16 offen
	;; [unrolled: 1-line block ×8, first 2 shown]
	s_waitcnt vmcnt(9)
	v_cvt_f32_f16_e32 v52, v32
	v_cvt_f32_f16_sdwa v53, v32 dst_sel:DWORD dst_unused:UNUSED_PAD src0_sel:WORD_1
	s_waitcnt vmcnt(3)
	v_pk_add_f32 v[48:49], v[48:49], v[52:53]
	v_cvt_f32_f16_e32 v52, v24
	v_cvt_f32_f16_sdwa v53, v24 dst_sel:DWORD dst_unused:UNUSED_PAD src0_sel:WORD_1
	v_pk_add_f32 v[40:41], v[40:41], v[52:53]
	s_nop 0
	v_mul_f32_e32 v24, 0xbfb8aa3b, v40
	v_fma_f32 v32, v40, s28, -v24
	v_rndne_f32_e32 v52, v24
	v_fmac_f32_e32 v32, 0xb2a5705f, v40
	v_sub_f32_e32 v24, v24, v52
	v_add_f32_e32 v24, v24, v32
	v_exp_f32_e32 v24, v24
	v_cvt_i32_f32_e32 v32, v52
	v_cmp_nlt_f32_e32 vcc, s29, v40
	v_ldexp_f32 v24, v24, v32
	s_nop 0
	v_cndmask_b32_e32 v24, 0, v24, vcc
	v_cmp_ngt_f32_e32 vcc, s30, v40
	s_nop 1
	v_cndmask_b32_e32 v24, v46, v24, vcc
	v_add_f32_e32 v24, 1.0, v24
	v_rcp_f32_e32 v52, v24
	v_mul_f32_e32 v24, 0xbfb8aa3b, v41
	v_fma_f32 v32, v41, s28, -v24
	v_rndne_f32_e32 v53, v24
	v_fmac_f32_e32 v32, 0xb2a5705f, v41
	v_sub_f32_e32 v24, v24, v53
	v_add_f32_e32 v24, v24, v32
	v_exp_f32_e32 v24, v24
	v_cvt_i32_f32_e32 v32, v53
	v_cmp_nlt_f32_e32 vcc, s29, v41
	v_ldexp_f32 v24, v24, v32
	s_nop 0
	v_cndmask_b32_e32 v24, 0, v24, vcc
	v_cmp_ngt_f32_e32 vcc, s30, v41
	s_nop 1
	v_cndmask_b32_e32 v24, v46, v24, vcc
	v_add_f32_e32 v24, 1.0, v24
	v_rcp_f32_e32 v53, v24
	s_nop 0
	v_pk_mul_f32 v[40:41], v[40:41], v[52:53]
	s_nop 0
	;;#ASMSTART
	v_pk_mul_f32 v[40:41], v[40:41], v[48:49]
	;;#ASMEND
	v_cvt_f32_f16_e32 v48, v25
	v_cvt_f32_f16_sdwa v49, v25 dst_sel:DWORD dst_unused:UNUSED_PAD src0_sel:WORD_1
	v_cvt_f16_f32_e32 v24, v40
	v_cvt_f16_f32_e32 v32, v41
	v_cvt_f32_f16_e32 v40, v33
	v_pk_add_f32 v[42:43], v[42:43], v[48:49]
	v_cvt_f32_f16_sdwa v41, v33 dst_sel:DWORD dst_unused:UNUSED_PAD src0_sel:WORD_1
	v_mul_f32_e32 v25, 0xbfb8aa3b, v42
	v_fma_f32 v33, v42, s28, -v25
	v_rndne_f32_e32 v48, v25
	v_fmac_f32_e32 v33, 0xb2a5705f, v42
	v_sub_f32_e32 v25, v25, v48
	v_add_f32_e32 v25, v25, v33
	v_exp_f32_e32 v25, v25
	v_cvt_i32_f32_e32 v33, v48
	v_cmp_nlt_f32_e32 vcc, s29, v42
	v_pk_add_f32 v[40:41], v[50:51], v[40:41]
	v_ldexp_f32 v25, v25, v33
	v_cndmask_b32_e32 v25, 0, v25, vcc
	v_cmp_ngt_f32_e32 vcc, s30, v42
	s_nop 1
	v_cndmask_b32_e32 v25, v46, v25, vcc
	v_add_f32_e32 v25, 1.0, v25
	v_rcp_f32_e32 v48, v25
	v_mul_f32_e32 v25, 0xbfb8aa3b, v43
	v_fma_f32 v33, v43, s28, -v25
	v_rndne_f32_e32 v49, v25
	v_fmac_f32_e32 v33, 0xb2a5705f, v43
	v_sub_f32_e32 v25, v25, v49
	v_add_f32_e32 v25, v25, v33
	v_exp_f32_e32 v25, v25
	v_cvt_i32_f32_e32 v33, v49
	v_cmp_nlt_f32_e32 vcc, s29, v43
	v_ldexp_f32 v25, v25, v33
	s_nop 0
	v_cndmask_b32_e32 v25, 0, v25, vcc
	v_cmp_ngt_f32_e32 vcc, s30, v43
	s_nop 1
	v_cndmask_b32_e32 v25, v46, v25, vcc
	v_add_f32_e32 v25, 1.0, v25
	v_rcp_f32_e32 v49, v25
	s_nop 0
	v_pk_mul_f32 v[42:43], v[42:43], v[48:49]
	s_nop 0
	;;#ASMSTART
	v_pk_mul_f32 v[40:41], v[42:43], v[40:41]
	;;#ASMEND
	s_nop 0
	v_cvt_f16_f32_e32 v25, v40
	v_cvt_f16_f32_e32 v33, v41
	v_cvt_f32_f16_e32 v40, v34
	v_cvt_f32_f16_sdwa v41, v34 dst_sel:DWORD dst_unused:UNUSED_PAD src0_sel:WORD_1
	s_waitcnt vmcnt(2)
	v_pk_add_f32 v[36:37], v[36:37], v[40:41]
	v_cvt_f32_f16_e32 v40, v26
	v_cvt_f32_f16_sdwa v41, v26 dst_sel:DWORD dst_unused:UNUSED_PAD src0_sel:WORD_1
	v_pk_add_f32 v[28:29], v[28:29], v[40:41]
	s_nop 0
	v_mul_f32_e32 v26, 0xbfb8aa3b, v28
	v_fma_f32 v34, v28, s28, -v26
	v_rndne_f32_e32 v40, v26
	v_fmac_f32_e32 v34, 0xb2a5705f, v28
	v_sub_f32_e32 v26, v26, v40
	v_add_f32_e32 v26, v26, v34
	v_exp_f32_e32 v26, v26
	v_cvt_i32_f32_e32 v34, v40
	v_cmp_nlt_f32_e32 vcc, s29, v28
	v_ldexp_f32 v26, v26, v34
	s_nop 0
	v_cndmask_b32_e32 v26, 0, v26, vcc
	v_cmp_ngt_f32_e32 vcc, s30, v28
	s_nop 1
	v_cndmask_b32_e32 v26, v46, v26, vcc
	v_add_f32_e32 v26, 1.0, v26
	v_rcp_f32_e32 v40, v26
	v_mul_f32_e32 v26, 0xbfb8aa3b, v29
	v_fma_f32 v34, v29, s28, -v26
	v_rndne_f32_e32 v41, v26
	v_fmac_f32_e32 v34, 0xb2a5705f, v29
	v_sub_f32_e32 v26, v26, v41
	v_add_f32_e32 v26, v26, v34
	v_exp_f32_e32 v26, v26
	v_cvt_i32_f32_e32 v34, v41
	v_cmp_nlt_f32_e32 vcc, s29, v29
	v_ldexp_f32 v26, v26, v34
	s_nop 0
	v_cndmask_b32_e32 v26, 0, v26, vcc
	v_cmp_ngt_f32_e32 vcc, s30, v29
	v_cvt_f32_f16_e32 v34, v35
	v_cvt_f32_f16_sdwa v35, v35 dst_sel:DWORD dst_unused:UNUSED_PAD src0_sel:WORD_1
	v_cndmask_b32_e32 v26, v46, v26, vcc
	v_add_f32_e32 v26, 1.0, v26
	v_rcp_f32_e32 v41, v26
	v_pk_add_f32 v[34:35], v[38:39], v[34:35]
	v_pk_mul_f32 v[28:29], v[28:29], v[40:41]
	s_nop 0
	;;#ASMSTART
	v_pk_mul_f32 v[28:29], v[28:29], v[36:37]
	;;#ASMEND
	v_cvt_f32_f16_e32 v36, v27
	v_cvt_f32_f16_sdwa v37, v27 dst_sel:DWORD dst_unused:UNUSED_PAD src0_sel:WORD_1
	v_cvt_f16_f32_e32 v26, v28
	v_cvt_f16_f32_e32 v28, v29
	v_pk_add_f32 v[30:31], v[30:31], v[36:37]
	s_nop 0
	v_mul_f32_e32 v27, 0xbfb8aa3b, v30
	v_fma_f32 v29, v30, s28, -v27
	v_rndne_f32_e32 v36, v27
	v_fmac_f32_e32 v29, 0xb2a5705f, v30
	v_sub_f32_e32 v27, v27, v36
	v_add_f32_e32 v27, v27, v29
	v_exp_f32_e32 v27, v27
	v_cvt_i32_f32_e32 v29, v36
	v_cmp_nlt_f32_e32 vcc, s29, v30
	v_ldexp_f32 v27, v27, v29
	s_nop 0
	v_cndmask_b32_e32 v27, 0, v27, vcc
	v_cmp_ngt_f32_e32 vcc, s30, v30
	s_nop 1
	v_cndmask_b32_e32 v27, v46, v27, vcc
	v_add_f32_e32 v27, 1.0, v27
	v_rcp_f32_e32 v36, v27
	v_mul_f32_e32 v27, 0xbfb8aa3b, v31
	v_fma_f32 v29, v31, s28, -v27
	v_rndne_f32_e32 v37, v27
	v_fmac_f32_e32 v29, 0xb2a5705f, v31
	v_sub_f32_e32 v27, v27, v37
	v_add_f32_e32 v27, v27, v29
	v_exp_f32_e32 v27, v27
	v_cvt_i32_f32_e32 v29, v37
	v_cmp_nlt_f32_e32 vcc, s29, v31
	v_ldexp_f32 v27, v27, v29
	s_nop 0
	v_cndmask_b32_e32 v27, 0, v27, vcc
	v_cmp_ngt_f32_e32 vcc, s30, v31
	s_nop 1
	v_cndmask_b32_e32 v27, v46, v27, vcc
	v_add_f32_e32 v27, 1.0, v27
	v_rcp_f32_e32 v37, v27
	s_nop 0
	v_pk_mul_f32 v[30:31], v[30:31], v[36:37]
	s_nop 0
	;;#ASMSTART
	v_pk_mul_f32 v[30:31], v[30:31], v[34:35]
	;;#ASMEND
	s_nop 0
	v_cvt_f16_f32_e32 v27, v30
	v_cvt_f16_f32_e32 v29, v31
	v_cvt_f32_f16_e32 v30, v8
	v_cvt_f32_f16_sdwa v31, v8 dst_sel:DWORD dst_unused:UNUSED_PAD src0_sel:WORD_1
	s_waitcnt vmcnt(1)
	v_pk_add_f32 v[20:21], v[20:21], v[30:31]
	v_cvt_f32_f16_e32 v30, v4
	v_cvt_f32_f16_sdwa v31, v4 dst_sel:DWORD dst_unused:UNUSED_PAD src0_sel:WORD_1
	v_pk_add_f32 v[16:17], v[16:17], v[30:31]
	s_nop 0
	v_mul_f32_e32 v4, 0xbfb8aa3b, v16
	v_fma_f32 v8, v16, s28, -v4
	v_rndne_f32_e32 v30, v4
	v_fmac_f32_e32 v8, 0xb2a5705f, v16
	v_sub_f32_e32 v4, v4, v30
	v_add_f32_e32 v4, v4, v8
	v_exp_f32_e32 v4, v4
	v_cvt_i32_f32_e32 v8, v30
	v_cmp_nlt_f32_e32 vcc, s29, v16
	v_ldexp_f32 v4, v4, v8
	s_nop 0
	v_cndmask_b32_e32 v4, 0, v4, vcc
	v_cmp_ngt_f32_e32 vcc, s30, v16
	s_nop 1
	v_cndmask_b32_e32 v4, v46, v4, vcc
	v_add_f32_e32 v4, 1.0, v4
	v_rcp_f32_e32 v30, v4
	v_mul_f32_e32 v4, 0xbfb8aa3b, v17
	v_fma_f32 v8, v17, s28, -v4
	v_rndne_f32_e32 v31, v4
	v_fmac_f32_e32 v8, 0xb2a5705f, v17
	v_sub_f32_e32 v4, v4, v31
	v_add_f32_e32 v4, v4, v8
	v_exp_f32_e32 v4, v4
	v_cvt_i32_f32_e32 v8, v31
	v_cmp_nlt_f32_e32 vcc, s29, v17
	v_ldexp_f32 v4, v4, v8
	s_nop 0
	v_cndmask_b32_e32 v4, 0, v4, vcc
	v_cmp_ngt_f32_e32 vcc, s30, v17
	s_nop 1
	v_cndmask_b32_e32 v4, v46, v4, vcc
	v_add_f32_e32 v4, 1.0, v4
	v_rcp_f32_e32 v31, v4
	v_cvt_f32_f16_e32 v4, v5
	v_cvt_f32_f16_sdwa v5, v5 dst_sel:DWORD dst_unused:UNUSED_PAD src0_sel:WORD_1
	v_pk_mul_f32 v[16:17], v[16:17], v[30:31]
	s_nop 0
	;;#ASMSTART
	v_pk_mul_f32 v[16:17], v[16:17], v[20:21]
	;;#ASMEND
	v_pk_add_f32 v[4:5], v[18:19], v[4:5]
	v_cvt_f32_f16_e32 v20, v9
	v_cvt_f32_f16_sdwa v21, v9 dst_sel:DWORD dst_unused:UNUSED_PAD src0_sel:WORD_1
	v_mul_f32_e32 v9, 0xbfb8aa3b, v4
	v_cvt_f16_f32_e32 v8, v16
	v_cvt_f16_f32_e32 v16, v17
	v_fma_f32 v17, v4, s28, -v9
	v_rndne_f32_e32 v18, v9
	v_fmac_f32_e32 v17, 0xb2a5705f, v4
	v_sub_f32_e32 v9, v9, v18
	v_add_f32_e32 v9, v9, v17
	v_exp_f32_e32 v9, v9
	v_cvt_i32_f32_e32 v17, v18
	v_cmp_nlt_f32_e32 vcc, s29, v4
	v_pk_add_f32 v[20:21], v[22:23], v[20:21]
	v_ldexp_f32 v9, v9, v17
	v_cndmask_b32_e32 v9, 0, v9, vcc
	v_cmp_ngt_f32_e32 vcc, s30, v4
	s_nop 1
	v_cndmask_b32_e32 v9, v46, v9, vcc
	v_add_f32_e32 v9, 1.0, v9
	v_rcp_f32_e32 v18, v9
	v_mul_f32_e32 v9, 0xbfb8aa3b, v5
	v_fma_f32 v17, v5, s28, -v9
	v_rndne_f32_e32 v19, v9
	v_fmac_f32_e32 v17, 0xb2a5705f, v5
	v_sub_f32_e32 v9, v9, v19
	v_add_f32_e32 v9, v9, v17
	v_exp_f32_e32 v9, v9
	v_cvt_i32_f32_e32 v17, v19
	v_cmp_nlt_f32_e32 vcc, s29, v5
	v_ldexp_f32 v9, v9, v17
	s_nop 0
	v_cndmask_b32_e32 v9, 0, v9, vcc
	v_cmp_ngt_f32_e32 vcc, s30, v5
	s_nop 1
	v_cndmask_b32_e32 v9, v46, v9, vcc
	v_add_f32_e32 v9, 1.0, v9
	v_rcp_f32_e32 v19, v9
	s_nop 0
	v_pk_mul_f32 v[4:5], v[4:5], v[18:19]
	s_nop 0
	;;#ASMSTART
	v_pk_mul_f32 v[4:5], v[4:5], v[20:21]
	;;#ASMEND
	s_nop 0
	v_cvt_f16_f32_e32 v9, v4
	v_cvt_f16_f32_e32 v17, v5
	v_cvt_f32_f16_e32 v4, v10
	v_cvt_f32_f16_sdwa v5, v10 dst_sel:DWORD dst_unused:UNUSED_PAD src0_sel:WORD_1
	s_waitcnt vmcnt(0)
	v_pk_add_f32 v[4:5], v[12:13], v[4:5]
	v_cvt_f32_f16_e32 v12, v6
	v_cvt_f32_f16_sdwa v13, v6 dst_sel:DWORD dst_unused:UNUSED_PAD src0_sel:WORD_1
	v_pk_add_f32 v[0:1], v[0:1], v[12:13]
	s_nop 0
	v_mul_f32_e32 v6, 0xbfb8aa3b, v0
	v_fma_f32 v10, v0, s28, -v6
	v_rndne_f32_e32 v12, v6
	v_fmac_f32_e32 v10, 0xb2a5705f, v0
	v_sub_f32_e32 v6, v6, v12
	v_add_f32_e32 v6, v6, v10
	v_exp_f32_e32 v6, v6
	v_cvt_i32_f32_e32 v10, v12
	v_cmp_nlt_f32_e32 vcc, s29, v0
	v_ldexp_f32 v6, v6, v10
	s_nop 0
	v_cndmask_b32_e32 v6, 0, v6, vcc
	v_cmp_ngt_f32_e32 vcc, s30, v0
	s_nop 1
	v_cndmask_b32_e32 v6, v46, v6, vcc
	v_add_f32_e32 v6, 1.0, v6
	v_rcp_f32_e32 v12, v6
	v_mul_f32_e32 v6, 0xbfb8aa3b, v1
	v_fma_f32 v10, v1, s28, -v6
	v_rndne_f32_e32 v13, v6
	v_fmac_f32_e32 v10, 0xb2a5705f, v1
	v_sub_f32_e32 v6, v6, v13
	v_add_f32_e32 v6, v6, v10
	v_exp_f32_e32 v6, v6
	v_cvt_i32_f32_e32 v10, v13
	v_cmp_nlt_f32_e32 vcc, s29, v1
	v_ldexp_f32 v6, v6, v10
	s_nop 0
	v_cndmask_b32_e32 v6, 0, v6, vcc
	v_cmp_ngt_f32_e32 vcc, s30, v1
	s_nop 1
	v_cndmask_b32_e32 v6, v46, v6, vcc
	v_add_f32_e32 v6, 1.0, v6
	v_rcp_f32_e32 v13, v6
	s_nop 0
	v_pk_mul_f32 v[0:1], v[0:1], v[12:13]
	s_nop 0
	;;#ASMSTART
	v_pk_mul_f32 v[0:1], v[0:1], v[4:5]
	;;#ASMEND
	v_cvt_f32_f16_e32 v4, v7
	v_cvt_f32_f16_sdwa v5, v7 dst_sel:DWORD dst_unused:UNUSED_PAD src0_sel:WORD_1
	v_cvt_f16_f32_e32 v6, v0
	v_cvt_f16_f32_e32 v10, v1
	v_cvt_f32_f16_e32 v0, v11
	v_pk_add_f32 v[2:3], v[2:3], v[4:5]
	v_cvt_f32_f16_sdwa v1, v11 dst_sel:DWORD dst_unused:UNUSED_PAD src0_sel:WORD_1
	v_mul_f32_e32 v4, 0xbfb8aa3b, v2
	v_fma_f32 v5, v2, s28, -v4
	v_rndne_f32_e32 v7, v4
	v_fmac_f32_e32 v5, 0xb2a5705f, v2
	v_sub_f32_e32 v4, v4, v7
	v_add_f32_e32 v4, v4, v5
	v_exp_f32_e32 v4, v4
	v_cvt_i32_f32_e32 v5, v7
	v_cmp_nlt_f32_e32 vcc, s29, v2
	v_pk_add_f32 v[0:1], v[14:15], v[0:1]
	v_ldexp_f32 v4, v4, v5
	v_mul_f32_e32 v5, 0xbfb8aa3b, v3
	v_fma_f32 v7, v3, s28, -v5
	v_rndne_f32_e32 v11, v5
	v_fmac_f32_e32 v7, 0xb2a5705f, v3
	v_sub_f32_e32 v5, v5, v11
	v_add_f32_e32 v5, v5, v7
	v_exp_f32_e32 v5, v5
	v_cvt_i32_f32_e32 v7, v11
	v_cndmask_b32_e32 v4, 0, v4, vcc
	v_cmp_ngt_f32_e32 vcc, s30, v2
	v_ldexp_f32 v5, v5, v7
	s_nop 0
	v_cndmask_b32_e32 v4, v46, v4, vcc
	v_cmp_nlt_f32_e32 vcc, s29, v3
	v_add_f32_e32 v4, 1.0, v4
	v_rcp_f32_e32 v4, v4
	v_cndmask_b32_e32 v5, 0, v5, vcc
	v_cmp_ngt_f32_e32 vcc, s30, v3
	s_nop 1
	v_cndmask_b32_e32 v5, v46, v5, vcc
	v_add_f32_e32 v5, 1.0, v5
	v_rcp_f32_e32 v5, v5
	s_nop 0
	v_pk_mul_f32 v[2:3], v[2:3], v[4:5]
	s_nop 0
	;;#ASMSTART
	v_pk_mul_f32 v[0:1], v[2:3], v[0:1]
	;;#ASMEND
	s_load_dword s14, s[0:1], 0xc
	v_cvt_f16_f32_e32 v4, v0
	v_cvt_f16_f32_e32 v5, v1
	v_pack_b32_f16 v1, v25, v33
	v_pack_b32_f16 v3, v27, v29
	s_waitcnt lgkmcnt(0)
	s_and_b32 s14, s14, 0xffff
	s_lshl_b32 s26, s14, 4
	v_lshl_add_u64 v[44:45], s[26:27], 0, v[44:45]
	v_pack_b32_f16 v0, v24, v32
	v_pack_b32_f16 v2, v26, v28
	v_cmp_le_i64_e32 vcc, s[24:25], v[44:45]
	buffer_store_dwordx4 v[0:3], v47, s[4:7], 0 offen
	s_or_b64 s[2:3], vcc, s[2:3]
	s_nop 0
	v_pack_b32_f16 v1, v9, v17
	v_pack_b32_f16 v3, v4, v5
	;; [unrolled: 1-line block ×4, first 2 shown]
	buffer_store_dwordx4 v[0:3], v47, s[4:7], 16 offen
	s_andn2_b64 exec, exec, s[2:3]
	s_cbranch_execnz .LBB179_8
.LBB179_9:
	s_endpgm
	.section	.rodata,"a",@progbits
	.p2align	6, 0x0
	.amdhsa_kernel _ZN5aiter23act_and_mul_bias_kernelIDF16_DF16_ifTnPFfRKT2_EXadL_ZNS_11silu_kernelIfEEfRKT_EELi16EEEvPT0_PS8_PKT1_PS2_il
		.amdhsa_group_segment_fixed_size 0
		.amdhsa_private_segment_fixed_size 0
		.amdhsa_kernarg_size 304
		.amdhsa_user_sgpr_count 2
		.amdhsa_user_sgpr_dispatch_ptr 0
		.amdhsa_user_sgpr_queue_ptr 0
		.amdhsa_user_sgpr_kernarg_segment_ptr 1
		.amdhsa_user_sgpr_dispatch_id 0
		.amdhsa_user_sgpr_kernarg_preload_length 0
		.amdhsa_user_sgpr_kernarg_preload_offset 0
		.amdhsa_user_sgpr_private_segment_size 0
		.amdhsa_uses_dynamic_stack 0
		.amdhsa_enable_private_segment 0
		.amdhsa_system_sgpr_workgroup_id_x 1
		.amdhsa_system_sgpr_workgroup_id_y 0
		.amdhsa_system_sgpr_workgroup_id_z 0
		.amdhsa_system_sgpr_workgroup_info 0
		.amdhsa_system_vgpr_workitem_id 0
		.amdhsa_next_free_vgpr 54
		.amdhsa_next_free_sgpr 31
		.amdhsa_accum_offset 56
		.amdhsa_reserve_vcc 1
		.amdhsa_float_round_mode_32 0
		.amdhsa_float_round_mode_16_64 0
		.amdhsa_float_denorm_mode_32 3
		.amdhsa_float_denorm_mode_16_64 3
		.amdhsa_dx10_clamp 1
		.amdhsa_ieee_mode 1
		.amdhsa_fp16_overflow 0
		.amdhsa_tg_split 0
		.amdhsa_exception_fp_ieee_invalid_op 0
		.amdhsa_exception_fp_denorm_src 0
		.amdhsa_exception_fp_ieee_div_zero 0
		.amdhsa_exception_fp_ieee_overflow 0
		.amdhsa_exception_fp_ieee_underflow 0
		.amdhsa_exception_fp_ieee_inexact 0
		.amdhsa_exception_int_div_zero 0
	.end_amdhsa_kernel
	.section	.text._ZN5aiter23act_and_mul_bias_kernelIDF16_DF16_ifTnPFfRKT2_EXadL_ZNS_11silu_kernelIfEEfRKT_EELi16EEEvPT0_PS8_PKT1_PS2_il,"axG",@progbits,_ZN5aiter23act_and_mul_bias_kernelIDF16_DF16_ifTnPFfRKT2_EXadL_ZNS_11silu_kernelIfEEfRKT_EELi16EEEvPT0_PS8_PKT1_PS2_il,comdat
.Lfunc_end179:
	.size	_ZN5aiter23act_and_mul_bias_kernelIDF16_DF16_ifTnPFfRKT2_EXadL_ZNS_11silu_kernelIfEEfRKT_EELi16EEEvPT0_PS8_PKT1_PS2_il, .Lfunc_end179-_ZN5aiter23act_and_mul_bias_kernelIDF16_DF16_ifTnPFfRKT2_EXadL_ZNS_11silu_kernelIfEEfRKT_EELi16EEEvPT0_PS8_PKT1_PS2_il
                                        ; -- End function
	.section	.AMDGPU.csdata,"",@progbits
; Kernel info:
; codeLenInByte = 2728
; NumSgprs: 37
; NumVgprs: 54
; NumAgprs: 0
; TotalNumVgprs: 54
; ScratchSize: 0
; MemoryBound: 0
; FloatMode: 240
; IeeeMode: 1
; LDSByteSize: 0 bytes/workgroup (compile time only)
; SGPRBlocks: 4
; VGPRBlocks: 6
; NumSGPRsForWavesPerEU: 37
; NumVGPRsForWavesPerEU: 54
; AccumOffset: 56
; Occupancy: 8
; WaveLimiterHint : 0
; COMPUTE_PGM_RSRC2:SCRATCH_EN: 0
; COMPUTE_PGM_RSRC2:USER_SGPR: 2
; COMPUTE_PGM_RSRC2:TRAP_HANDLER: 0
; COMPUTE_PGM_RSRC2:TGID_X_EN: 1
; COMPUTE_PGM_RSRC2:TGID_Y_EN: 0
; COMPUTE_PGM_RSRC2:TGID_Z_EN: 0
; COMPUTE_PGM_RSRC2:TIDIG_COMP_CNT: 0
; COMPUTE_PGM_RSRC3_GFX90A:ACCUM_OFFSET: 13
; COMPUTE_PGM_RSRC3_GFX90A:TG_SPLIT: 0
	.section	.text._ZN5aiter23act_and_mul_bias_kernelIDF16_DF16_ifTnPFfRKT2_EXadL_ZNS_11silu_kernelIfEEfRKT_EELi8EEEvPT0_PS8_PKT1_PS2_il,"axG",@progbits,_ZN5aiter23act_and_mul_bias_kernelIDF16_DF16_ifTnPFfRKT2_EXadL_ZNS_11silu_kernelIfEEfRKT_EELi8EEEvPT0_PS8_PKT1_PS2_il,comdat
	.protected	_ZN5aiter23act_and_mul_bias_kernelIDF16_DF16_ifTnPFfRKT2_EXadL_ZNS_11silu_kernelIfEEfRKT_EELi8EEEvPT0_PS8_PKT1_PS2_il ; -- Begin function _ZN5aiter23act_and_mul_bias_kernelIDF16_DF16_ifTnPFfRKT2_EXadL_ZNS_11silu_kernelIfEEfRKT_EELi8EEEvPT0_PS8_PKT1_PS2_il
	.globl	_ZN5aiter23act_and_mul_bias_kernelIDF16_DF16_ifTnPFfRKT2_EXadL_ZNS_11silu_kernelIfEEfRKT_EELi8EEEvPT0_PS8_PKT1_PS2_il
	.p2align	8
	.type	_ZN5aiter23act_and_mul_bias_kernelIDF16_DF16_ifTnPFfRKT2_EXadL_ZNS_11silu_kernelIfEEfRKT_EELi8EEEvPT0_PS8_PKT1_PS2_il,@function
_ZN5aiter23act_and_mul_bias_kernelIDF16_DF16_ifTnPFfRKT2_EXadL_ZNS_11silu_kernelIfEEfRKT_EELi8EEEvPT0_PS8_PKT1_PS2_il: ; @_ZN5aiter23act_and_mul_bias_kernelIDF16_DF16_ifTnPFfRKT2_EXadL_ZNS_11silu_kernelIfEEfRKT_EELi8EEEvPT0_PS8_PKT1_PS2_il
; %bb.0:
	s_load_dword s14, s[0:1], 0x20
	s_load_dwordx2 s[4:5], s[0:1], 0x10
	s_load_dwordx2 s[8:9], s[0:1], 0x28
	s_mov_b32 s3, 0
	s_lshl_b64 s[6:7], s[2:3], 2
	s_waitcnt lgkmcnt(0)
	s_ashr_i32 s15, s14, 31
	s_add_u32 s6, s4, s6
	s_addc_u32 s7, s5, s7
	s_add_i32 s3, s14, 1
	s_lshr_b32 s16, s3, 31
	s_load_dword s4, s[6:7], 0x0
	s_load_dwordx2 s[10:11], s[0:1], 0x0
	s_add_i32 s3, s3, s16
	s_lshl_b32 s3, s3, 1
	s_and_b32 s18, s3, -4
	s_mul_hi_u32 s3, s14, s2
	s_mul_i32 s16, s15, s2
	s_add_i32 s17, s3, s16
	s_mul_i32 s16, s14, s2
	s_waitcnt lgkmcnt(0)
	s_ashr_i32 s5, s4, 31
	s_lshl_b64 s[16:17], s[16:17], 1
	v_mov_b64_e32 v[2:3], s[8:9]
	v_cmp_gt_i64_e64 s[12:13], s[4:5], -1
	s_add_u32 s16, s10, s16
	v_cmp_lt_i64_e32 vcc, s[4:5], v[2:3]
	s_addc_u32 s3, s11, s17
	s_and_b64 s[8:9], s[12:13], vcc
	s_mov_b64 s[6:7], -1
	s_and_b32 s17, s3, 0xffff
	s_and_b64 vcc, exec, s[8:9]
	v_lshlrev_b32_e32 v24, 3, v0
	s_cbranch_vccnz .LBB180_5
; %bb.1:
	v_cmp_gt_i32_e32 vcc, s14, v24
	s_and_saveexec_b64 s[6:7], vcc
	s_cbranch_execz .LBB180_4
; %bb.2:
	s_load_dword s3, s[0:1], 0x3c
	v_mov_b32_e32 v25, 0
	s_mov_b32 s9, 0
	v_lshlrev_b32_e32 v6, 4, v0
	s_mov_b64 s[10:11], 0
	s_waitcnt lgkmcnt(0)
	s_and_b32 s3, s3, 0xffff
	s_lshl_b32 s8, s3, 3
	s_lshl_b32 s3, s3, 4
	s_mov_b32 s19, 0x20000
	v_mov_b32_e32 v0, v25
	v_mov_b32_e32 v1, v25
	;; [unrolled: 1-line block ×4, first 2 shown]
	v_mov_b64_e32 v[4:5], v[24:25]
.LBB180_3:                              ; =>This Inner Loop Header: Depth=1
	v_lshl_add_u64 v[4:5], s[8:9], 0, v[4:5]
	v_cmp_le_i64_e32 vcc, s[14:15], v[4:5]
	buffer_store_dwordx4 v[0:3], v6, s[16:19], 0 offen
	s_or_b64 s[10:11], vcc, s[10:11]
	v_add_u32_e32 v6, s3, v6
	s_andn2_b64 exec, exec, s[10:11]
	s_cbranch_execnz .LBB180_3
.LBB180_4:
	s_or_b64 exec, exec, s[6:7]
	s_mov_b64 s[6:7], 0
.LBB180_5:
	s_andn2_b64 vcc, exec, s[6:7]
	s_cbranch_vccnz .LBB180_9
; %bb.6:
	v_cmp_gt_i32_e32 vcc, s14, v24
	s_and_saveexec_b64 s[6:7], vcc
	s_cbranch_execz .LBB180_9
; %bb.7:
	s_load_dwordx2 s[6:7], s[0:1], 0x18
	s_load_dwordx2 s[8:9], s[0:1], 0x8
	s_mul_hi_i32 s5, s14, s4
	s_mul_i32 s4, s14, s4
	s_lshl_b64 s[4:5], s[4:5], 3
	s_waitcnt lgkmcnt(0)
	s_add_u32 s20, s6, s4
	s_addc_u32 s3, s7, s5
	s_lshl_b64 s[4:5], s[14:15], 2
	s_add_u32 s24, s20, s4
	s_addc_u32 s4, s3, s5
	s_and_b32 s21, s3, 0xffff
	s_and_b32 s25, s4, 0xffff
	s_mul_i32 s3, s2, s15
	s_mul_hi_u32 s4, s2, s14
	s_add_i32 s3, s4, s3
	s_mul_i32 s2, s2, s14
	s_lshl_b32 s22, s14, 2
	s_lshl_b64 s[2:3], s[2:3], 2
	s_add_u32 s28, s8, s2
	s_addc_u32 s4, s9, s3
	s_lshl_b64 s[2:3], s[14:15], 1
	s_add_u32 s36, s28, s2
	s_addc_u32 s2, s4, s3
	s_and_b32 s29, s4, 0xffff
	s_and_b32 s37, s2, 0xffff
	s_mov_b32 s19, 0x20000
	s_add_u32 s34, s0, 48
	s_mov_b32 s23, s19
	v_mov_b32_e32 v25, 0
	s_addc_u32 s35, s1, 0
	s_mov_b64 s[40:41], 0
	s_mov_b32 s30, s18
	s_mov_b32 s31, s19
	;; [unrolled: 1-line block ×6, first 2 shown]
	v_mov_b32_e32 v30, 0x7f800000
	s_mov_b32 s38, s18
	s_mov_b32 s39, s19
.LBB180_8:                              ; =>This Inner Loop Header: Depth=1
	v_lshlrev_b32_e32 v31, 1, v24
	v_lshlrev_b32_e32 v26, 2, v24
	s_mov_b32 s26, s22
	s_mov_b32 s27, s23
	buffer_load_dwordx4 v[20:23], v31, s[36:39], 0 offen
	buffer_load_dwordx4 v[16:19], v31, s[28:31], 0 offen
	buffer_load_dwordx4 v[8:11], v26, s[24:27], 0 offen
	buffer_load_dwordx4 v[4:7], v26, s[20:23], 0 offen
	buffer_load_dwordx4 v[12:15], v26, s[24:27], 16 offen
	buffer_load_dwordx4 v[0:3], v26, s[20:23], 16 offen
	s_waitcnt vmcnt(5)
	v_cvt_f32_f16_e32 v26, v20
	v_cvt_f32_f16_sdwa v27, v20 dst_sel:DWORD dst_unused:UNUSED_PAD src0_sel:WORD_1
	s_waitcnt vmcnt(4)
	v_cvt_f32_f16_e32 v28, v16
	v_cvt_f32_f16_sdwa v29, v16 dst_sel:DWORD dst_unused:UNUSED_PAD src0_sel:WORD_1
	v_cvt_f32_f16_e32 v20, v21
	v_cvt_f32_f16_sdwa v21, v21 dst_sel:DWORD dst_unused:UNUSED_PAD src0_sel:WORD_1
	;; [unrolled: 2-line block ×7, first 2 shown]
	s_waitcnt vmcnt(2)
	v_pk_add_f32 v[16:17], v[4:5], v[28:29]
	v_pk_add_f32 v[4:5], v[10:11], v[20:21]
	;; [unrolled: 1-line block ×3, first 2 shown]
	s_waitcnt vmcnt(1)
	v_pk_add_f32 v[6:7], v[12:13], v[34:35]
	s_waitcnt vmcnt(0)
	v_pk_add_f32 v[12:13], v[0:1], v[36:37]
	v_pk_add_f32 v[2:3], v[2:3], v[18:19]
	;; [unrolled: 1-line block ×3, first 2 shown]
	v_mul_f32_e32 v14, 0xbfb8aa3b, v16
	v_mul_f32_e32 v15, 0xbfb8aa3b, v17
	;; [unrolled: 1-line block ×8, first 2 shown]
	v_pk_add_f32 v[8:9], v[8:9], v[26:27]
	v_fma_f32 v26, v16, s33, -v14
	v_rndne_f32_e32 v27, v14
	v_fma_f32 v28, v17, s33, -v15
	v_rndne_f32_e32 v29, v15
	v_fma_f32 v32, v10, s33, -v18
	v_rndne_f32_e32 v33, v18
	v_fma_f32 v34, v11, s33, -v19
	v_rndne_f32_e32 v35, v19
	v_fma_f32 v36, v12, s33, -v20
	v_rndne_f32_e32 v37, v20
	v_fma_f32 v38, v13, s33, -v21
	v_rndne_f32_e32 v39, v21
	v_fma_f32 v40, v2, s33, -v22
	v_rndne_f32_e32 v41, v22
	v_fma_f32 v42, v3, s33, -v23
	v_rndne_f32_e32 v43, v23
	v_fmac_f32_e32 v26, 0xb2a5705f, v16
	v_sub_f32_e32 v14, v14, v27
	v_fmac_f32_e32 v28, 0xb2a5705f, v17
	v_sub_f32_e32 v15, v15, v29
	;; [unrolled: 2-line block ×8, first 2 shown]
	v_add_f32_e32 v14, v14, v26
	v_add_f32_e32 v15, v15, v28
	;; [unrolled: 1-line block ×8, first 2 shown]
	v_cvt_i32_f32_e32 v27, v27
	v_cvt_i32_f32_e32 v29, v29
	;; [unrolled: 1-line block ×8, first 2 shown]
	v_exp_f32_e32 v14, v14
	v_exp_f32_e32 v15, v15
	;; [unrolled: 1-line block ×8, first 2 shown]
	v_ldexp_f32 v14, v14, v27
	v_ldexp_f32 v15, v15, v29
	v_cmp_nlt_f32_e32 vcc, s44, v17
	v_ldexp_f32 v18, v18, v33
	v_cmp_nlt_f32_e64 s[0:1], s44, v10
	v_ldexp_f32 v19, v19, v35
	v_cmp_nlt_f32_e64 s[2:3], s44, v11
	;; [unrolled: 2-line block ×6, first 2 shown]
	v_cmp_nlt_f32_e64 s[12:13], s44, v16
	v_cndmask_b32_e32 v15, 0, v15, vcc
	v_cmp_ngt_f32_e32 vcc, s45, v17
	v_cndmask_b32_e64 v14, 0, v14, s[12:13]
	v_cndmask_b32_e64 v18, 0, v18, s[0:1]
	v_cmp_ngt_f32_e64 s[0:1], s45, v10
	v_cndmask_b32_e64 v19, 0, v19, s[2:3]
	v_cmp_ngt_f32_e64 s[2:3], s45, v11
	;; [unrolled: 2-line block ×6, first 2 shown]
	v_cmp_ngt_f32_e64 s[12:13], s45, v16
	v_cndmask_b32_e32 v15, v30, v15, vcc
	v_cndmask_b32_e64 v18, v30, v18, s[0:1]
	v_cndmask_b32_e64 v14, v30, v14, s[12:13]
	;; [unrolled: 1-line block ×7, first 2 shown]
	v_add_f32_e32 v14, 1.0, v14
	v_add_f32_e32 v15, 1.0, v15
	;; [unrolled: 1-line block ×8, first 2 shown]
	v_rcp_f32_e32 v14, v14
	v_rcp_f32_e32 v15, v15
	;; [unrolled: 1-line block ×8, first 2 shown]
	v_pk_mul_f32 v[14:15], v[16:17], v[14:15]
	v_pk_mul_f32 v[10:11], v[10:11], v[18:19]
	;; [unrolled: 1-line block ×4, first 2 shown]
	;;#ASMSTART
	v_pk_mul_f32 v[8:9], v[14:15], v[8:9]
	;;#ASMEND
	;;#ASMSTART
	v_pk_mul_f32 v[4:5], v[10:11], v[4:5]
	;;#ASMEND
	;; [unrolled: 3-line block ×3, first 2 shown]
	s_nop 0
	;;#ASMSTART
	v_pk_mul_f32 v[0:1], v[2:3], v[0:1]
	;;#ASMEND
	s_load_dword s0, s[34:35], 0xc
	v_cvt_f16_f32_e32 v2, v8
	v_cvt_f16_f32_e32 v8, v9
	v_cvt_f16_f32_e32 v3, v4
	v_cvt_f16_f32_e32 v4, v5
	v_cvt_f16_f32_e32 v0, v0
	v_cvt_f16_f32_e32 v5, v1
	v_cvt_f16_f32_e32 v6, v6
	v_cvt_f16_f32_e32 v7, v7
	s_waitcnt lgkmcnt(0)
	s_and_b32 s0, s0, 0xffff
	s_lshl_b32 s42, s0, 3
	v_lshl_add_u64 v[24:25], s[42:43], 0, v[24:25]
	v_cmp_le_i64_e32 vcc, s[14:15], v[24:25]
	v_pack_b32_f16 v1, v3, v4
	v_pack_b32_f16 v3, v0, v5
	;; [unrolled: 1-line block ×4, first 2 shown]
	s_or_b64 s[40:41], vcc, s[40:41]
	buffer_store_dwordx4 v[0:3], v31, s[16:19], 0 offen
	s_andn2_b64 exec, exec, s[40:41]
	s_cbranch_execnz .LBB180_8
.LBB180_9:
	s_endpgm
	.section	.rodata,"a",@progbits
	.p2align	6, 0x0
	.amdhsa_kernel _ZN5aiter23act_and_mul_bias_kernelIDF16_DF16_ifTnPFfRKT2_EXadL_ZNS_11silu_kernelIfEEfRKT_EELi8EEEvPT0_PS8_PKT1_PS2_il
		.amdhsa_group_segment_fixed_size 0
		.amdhsa_private_segment_fixed_size 0
		.amdhsa_kernarg_size 304
		.amdhsa_user_sgpr_count 2
		.amdhsa_user_sgpr_dispatch_ptr 0
		.amdhsa_user_sgpr_queue_ptr 0
		.amdhsa_user_sgpr_kernarg_segment_ptr 1
		.amdhsa_user_sgpr_dispatch_id 0
		.amdhsa_user_sgpr_kernarg_preload_length 0
		.amdhsa_user_sgpr_kernarg_preload_offset 0
		.amdhsa_user_sgpr_private_segment_size 0
		.amdhsa_uses_dynamic_stack 0
		.amdhsa_enable_private_segment 0
		.amdhsa_system_sgpr_workgroup_id_x 1
		.amdhsa_system_sgpr_workgroup_id_y 0
		.amdhsa_system_sgpr_workgroup_id_z 0
		.amdhsa_system_sgpr_workgroup_info 0
		.amdhsa_system_vgpr_workitem_id 0
		.amdhsa_next_free_vgpr 44
		.amdhsa_next_free_sgpr 46
		.amdhsa_accum_offset 44
		.amdhsa_reserve_vcc 1
		.amdhsa_float_round_mode_32 0
		.amdhsa_float_round_mode_16_64 0
		.amdhsa_float_denorm_mode_32 3
		.amdhsa_float_denorm_mode_16_64 3
		.amdhsa_dx10_clamp 1
		.amdhsa_ieee_mode 1
		.amdhsa_fp16_overflow 0
		.amdhsa_tg_split 0
		.amdhsa_exception_fp_ieee_invalid_op 0
		.amdhsa_exception_fp_denorm_src 0
		.amdhsa_exception_fp_ieee_div_zero 0
		.amdhsa_exception_fp_ieee_overflow 0
		.amdhsa_exception_fp_ieee_underflow 0
		.amdhsa_exception_fp_ieee_inexact 0
		.amdhsa_exception_int_div_zero 0
	.end_amdhsa_kernel
	.section	.text._ZN5aiter23act_and_mul_bias_kernelIDF16_DF16_ifTnPFfRKT2_EXadL_ZNS_11silu_kernelIfEEfRKT_EELi8EEEvPT0_PS8_PKT1_PS2_il,"axG",@progbits,_ZN5aiter23act_and_mul_bias_kernelIDF16_DF16_ifTnPFfRKT2_EXadL_ZNS_11silu_kernelIfEEfRKT_EELi8EEEvPT0_PS8_PKT1_PS2_il,comdat
.Lfunc_end180:
	.size	_ZN5aiter23act_and_mul_bias_kernelIDF16_DF16_ifTnPFfRKT2_EXadL_ZNS_11silu_kernelIfEEfRKT_EELi8EEEvPT0_PS8_PKT1_PS2_il, .Lfunc_end180-_ZN5aiter23act_and_mul_bias_kernelIDF16_DF16_ifTnPFfRKT2_EXadL_ZNS_11silu_kernelIfEEfRKT_EELi8EEEvPT0_PS8_PKT1_PS2_il
                                        ; -- End function
	.section	.AMDGPU.csdata,"",@progbits
; Kernel info:
; codeLenInByte = 1676
; NumSgprs: 52
; NumVgprs: 44
; NumAgprs: 0
; TotalNumVgprs: 44
; ScratchSize: 0
; MemoryBound: 0
; FloatMode: 240
; IeeeMode: 1
; LDSByteSize: 0 bytes/workgroup (compile time only)
; SGPRBlocks: 6
; VGPRBlocks: 5
; NumSGPRsForWavesPerEU: 52
; NumVGPRsForWavesPerEU: 44
; AccumOffset: 44
; Occupancy: 8
; WaveLimiterHint : 0
; COMPUTE_PGM_RSRC2:SCRATCH_EN: 0
; COMPUTE_PGM_RSRC2:USER_SGPR: 2
; COMPUTE_PGM_RSRC2:TRAP_HANDLER: 0
; COMPUTE_PGM_RSRC2:TGID_X_EN: 1
; COMPUTE_PGM_RSRC2:TGID_Y_EN: 0
; COMPUTE_PGM_RSRC2:TGID_Z_EN: 0
; COMPUTE_PGM_RSRC2:TIDIG_COMP_CNT: 0
; COMPUTE_PGM_RSRC3_GFX90A:ACCUM_OFFSET: 10
; COMPUTE_PGM_RSRC3_GFX90A:TG_SPLIT: 0
	.section	.text._ZN5aiter23act_and_mul_bias_kernelIDF16_DF16_ifTnPFfRKT2_EXadL_ZNS_11silu_kernelIfEEfRKT_EELi4EEEvPT0_PS8_PKT1_PS2_il,"axG",@progbits,_ZN5aiter23act_and_mul_bias_kernelIDF16_DF16_ifTnPFfRKT2_EXadL_ZNS_11silu_kernelIfEEfRKT_EELi4EEEvPT0_PS8_PKT1_PS2_il,comdat
	.protected	_ZN5aiter23act_and_mul_bias_kernelIDF16_DF16_ifTnPFfRKT2_EXadL_ZNS_11silu_kernelIfEEfRKT_EELi4EEEvPT0_PS8_PKT1_PS2_il ; -- Begin function _ZN5aiter23act_and_mul_bias_kernelIDF16_DF16_ifTnPFfRKT2_EXadL_ZNS_11silu_kernelIfEEfRKT_EELi4EEEvPT0_PS8_PKT1_PS2_il
	.globl	_ZN5aiter23act_and_mul_bias_kernelIDF16_DF16_ifTnPFfRKT2_EXadL_ZNS_11silu_kernelIfEEfRKT_EELi4EEEvPT0_PS8_PKT1_PS2_il
	.p2align	8
	.type	_ZN5aiter23act_and_mul_bias_kernelIDF16_DF16_ifTnPFfRKT2_EXadL_ZNS_11silu_kernelIfEEfRKT_EELi4EEEvPT0_PS8_PKT1_PS2_il,@function
_ZN5aiter23act_and_mul_bias_kernelIDF16_DF16_ifTnPFfRKT2_EXadL_ZNS_11silu_kernelIfEEfRKT_EELi4EEEvPT0_PS8_PKT1_PS2_il: ; @_ZN5aiter23act_and_mul_bias_kernelIDF16_DF16_ifTnPFfRKT2_EXadL_ZNS_11silu_kernelIfEEfRKT_EELi4EEEvPT0_PS8_PKT1_PS2_il
; %bb.0:
	s_load_dword s6, s[0:1], 0x20
	s_load_dwordx2 s[4:5], s[0:1], 0x10
	s_load_dwordx2 s[14:15], s[0:1], 0x28
	s_mov_b32 s3, 0
	s_lshl_b64 s[8:9], s[2:3], 2
	s_waitcnt lgkmcnt(0)
	s_ashr_i32 s7, s6, 31
	s_add_u32 s8, s4, s8
	s_addc_u32 s9, s5, s9
	s_add_i32 s3, s6, 1
	s_load_dword s4, s[8:9], 0x0
	s_load_dwordx2 s[16:17], s[0:1], 0x0
	s_lshr_b32 s8, s3, 31
	s_add_i32 s3, s3, s8
	s_lshl_b32 s3, s3, 1
	s_and_b32 s10, s3, -4
	s_mul_hi_u32 s3, s6, s2
	s_mul_i32 s8, s7, s2
	s_add_i32 s9, s3, s8
	s_mul_i32 s8, s6, s2
	s_waitcnt lgkmcnt(0)
	s_ashr_i32 s5, s4, 31
	s_lshl_b64 s[8:9], s[8:9], 1
	v_mov_b64_e32 v[2:3], s[14:15]
	v_cmp_gt_i64_e64 s[18:19], s[4:5], -1
	s_add_u32 s8, s16, s8
	v_cmp_lt_i64_e32 vcc, s[4:5], v[2:3]
	s_addc_u32 s3, s17, s9
	s_and_b64 s[14:15], s[18:19], vcc
	s_mov_b64 s[12:13], -1
	s_and_b32 s9, s3, 0xffff
	s_and_b64 vcc, exec, s[14:15]
	v_lshlrev_b32_e32 v2, 2, v0
	s_cbranch_vccnz .LBB181_5
; %bb.1:
	v_cmp_gt_i32_e32 vcc, s6, v2
	s_and_saveexec_b64 s[12:13], vcc
	s_cbranch_execz .LBB181_4
; %bb.2:
	s_load_dword s3, s[0:1], 0x3c
	v_mov_b32_e32 v3, 0
	s_mov_b32 s15, 0
	v_lshlrev_b32_e32 v6, 3, v0
	s_mov_b64 s[16:17], 0
	s_waitcnt lgkmcnt(0)
	s_and_b32 s3, s3, 0xffff
	s_lshl_b32 s14, s3, 2
	s_lshl_b32 s3, s3, 3
	s_mov_b32 s11, 0x20000
	v_mov_b32_e32 v0, v3
	v_mov_b32_e32 v1, v3
	v_mov_b64_e32 v[4:5], v[2:3]
.LBB181_3:                              ; =>This Inner Loop Header: Depth=1
	v_lshl_add_u64 v[4:5], s[14:15], 0, v[4:5]
	v_cmp_le_i64_e32 vcc, s[6:7], v[4:5]
	buffer_store_dwordx2 v[0:1], v6, s[8:11], 0 offen
	s_or_b64 s[16:17], vcc, s[16:17]
	v_add_u32_e32 v6, s3, v6
	s_andn2_b64 exec, exec, s[16:17]
	s_cbranch_execnz .LBB181_3
.LBB181_4:
	s_or_b64 exec, exec, s[12:13]
	s_mov_b64 s[12:13], 0
.LBB181_5:
	s_andn2_b64 vcc, exec, s[12:13]
	s_cbranch_vccnz .LBB181_9
; %bb.6:
	v_cmp_gt_i32_e32 vcc, s6, v2
	s_and_saveexec_b64 s[12:13], vcc
	s_cbranch_execz .LBB181_9
; %bb.7:
	s_load_dwordx2 s[12:13], s[0:1], 0x18
	s_load_dwordx2 s[18:19], s[0:1], 0x8
	s_mul_hi_i32 s5, s6, s4
	s_mul_i32 s4, s6, s4
	s_lshl_b64 s[4:5], s[4:5], 3
	s_waitcnt lgkmcnt(0)
	s_add_u32 s12, s12, s4
	s_addc_u32 s3, s13, s5
	s_lshl_b64 s[4:5], s[6:7], 2
	s_add_u32 s16, s12, s4
	s_addc_u32 s4, s3, s5
	s_and_b32 s13, s3, 0xffff
	s_and_b32 s17, s4, 0xffff
	s_mul_i32 s3, s2, s7
	s_mul_hi_u32 s4, s2, s6
	s_add_i32 s3, s4, s3
	s_mul_i32 s2, s2, s6
	s_lshl_b32 s14, s6, 2
	s_lshl_b64 s[2:3], s[2:3], 2
	s_add_u32 s20, s18, s2
	s_addc_u32 s4, s19, s3
	s_lshl_b64 s[2:3], s[6:7], 1
	s_add_u32 s24, s20, s2
	s_addc_u32 s2, s4, s3
	s_and_b32 s21, s4, 0xffff
	s_and_b32 s25, s2, 0xffff
	s_mov_b32 s11, 0x20000
	s_add_u32 s28, s0, 48
	s_mov_b32 s15, s11
	v_mov_b32_e32 v3, 0
	s_addc_u32 s29, s1, 0
	s_mov_b64 s[30:31], 0
	s_mov_b32 s22, s10
	s_mov_b32 s23, s11
	;; [unrolled: 1-line block ×6, first 2 shown]
	v_mov_b32_e32 v0, 0x7f800000
	s_mov_b32 s26, s10
	s_mov_b32 s27, s11
.LBB181_8:                              ; =>This Inner Loop Header: Depth=1
	v_lshlrev_b32_e32 v1, 1, v2
	v_lshlrev_b32_e32 v16, 2, v2
	s_mov_b32 s18, s14
	s_mov_b32 s19, s15
	buffer_load_dwordx2 v[12:13], v1, s[24:27], 0 offen
	buffer_load_dwordx2 v[14:15], v1, s[20:23], 0 offen
	buffer_load_dwordx4 v[4:7], v16, s[12:15], 0 offen
	buffer_load_dwordx4 v[8:11], v16, s[16:19], 0 offen
	s_waitcnt vmcnt(3)
	v_cvt_f32_f16_e32 v16, v12
	s_waitcnt vmcnt(2)
	v_cvt_f32_f16_e32 v18, v14
	v_cvt_f32_f16_sdwa v19, v14 dst_sel:DWORD dst_unused:UNUSED_PAD src0_sel:WORD_1
	v_cvt_f32_f16_e32 v14, v15
	v_cvt_f32_f16_sdwa v15, v15 dst_sel:DWORD dst_unused:UNUSED_PAD src0_sel:WORD_1
	v_cvt_f32_f16_sdwa v17, v12 dst_sel:DWORD dst_unused:UNUSED_PAD src0_sel:WORD_1
	v_cvt_f32_f16_e32 v12, v13
	v_cvt_f32_f16_sdwa v13, v13 dst_sel:DWORD dst_unused:UNUSED_PAD src0_sel:WORD_1
	s_waitcnt vmcnt(1)
	v_pk_add_f32 v[4:5], v[4:5], v[18:19]
	v_pk_add_f32 v[6:7], v[6:7], v[14:15]
	s_waitcnt vmcnt(0)
	v_pk_add_f32 v[8:9], v[8:9], v[16:17]
	v_pk_add_f32 v[10:11], v[10:11], v[12:13]
	v_mul_f32_e32 v12, 0xbfb8aa3b, v4
	v_mul_f32_e32 v13, 0xbfb8aa3b, v5
	;; [unrolled: 1-line block ×4, first 2 shown]
	v_fma_f32 v16, v4, s33, -v12
	v_rndne_f32_e32 v17, v12
	v_fma_f32 v18, v5, s33, -v13
	v_rndne_f32_e32 v19, v13
	;; [unrolled: 2-line block ×4, first 2 shown]
	v_fmac_f32_e32 v16, 0xb2a5705f, v4
	v_sub_f32_e32 v12, v12, v17
	v_fmac_f32_e32 v18, 0xb2a5705f, v5
	v_sub_f32_e32 v13, v13, v19
	;; [unrolled: 2-line block ×4, first 2 shown]
	v_add_f32_e32 v12, v12, v16
	v_add_f32_e32 v13, v13, v18
	;; [unrolled: 1-line block ×4, first 2 shown]
	v_cvt_i32_f32_e32 v17, v17
	v_cvt_i32_f32_e32 v19, v19
	;; [unrolled: 1-line block ×4, first 2 shown]
	v_exp_f32_e32 v12, v12
	v_exp_f32_e32 v13, v13
	;; [unrolled: 1-line block ×4, first 2 shown]
	v_ldexp_f32 v12, v12, v17
	v_ldexp_f32 v13, v13, v19
	v_cmp_nlt_f32_e32 vcc, s36, v5
	v_ldexp_f32 v14, v14, v21
	v_cmp_nlt_f32_e64 s[0:1], s36, v6
	v_ldexp_f32 v15, v15, v23
	v_cmp_nlt_f32_e64 s[2:3], s36, v7
	v_cmp_nlt_f32_e64 s[4:5], s36, v4
	v_cndmask_b32_e32 v13, 0, v13, vcc
	v_cmp_ngt_f32_e32 vcc, s37, v5
	v_cndmask_b32_e64 v12, 0, v12, s[4:5]
	v_cndmask_b32_e64 v14, 0, v14, s[0:1]
	v_cmp_ngt_f32_e64 s[0:1], s37, v6
	v_cndmask_b32_e64 v15, 0, v15, s[2:3]
	v_cmp_ngt_f32_e64 s[2:3], s37, v7
	v_cmp_ngt_f32_e64 s[4:5], s37, v4
	v_cndmask_b32_e32 v13, v0, v13, vcc
	v_cndmask_b32_e64 v14, v0, v14, s[0:1]
	v_cndmask_b32_e64 v12, v0, v12, s[4:5]
	v_cndmask_b32_e64 v15, v0, v15, s[2:3]
	v_add_f32_e32 v12, 1.0, v12
	v_add_f32_e32 v13, 1.0, v13
	;; [unrolled: 1-line block ×4, first 2 shown]
	v_rcp_f32_e32 v12, v12
	v_rcp_f32_e32 v13, v13
	;; [unrolled: 1-line block ×4, first 2 shown]
	v_pk_mul_f32 v[4:5], v[4:5], v[12:13]
	s_nop 0
	;;#ASMSTART
	v_pk_mul_f32 v[4:5], v[4:5], v[8:9]
	;;#ASMEND
	v_pk_mul_f32 v[6:7], v[6:7], v[14:15]
	v_cvt_f16_f32_e32 v4, v4
	;;#ASMSTART
	v_pk_mul_f32 v[6:7], v[6:7], v[10:11]
	;;#ASMEND
	s_load_dword s0, s[28:29], 0xc
	v_cvt_f16_f32_e32 v6, v6
	v_cvt_f16_f32_e32 v7, v7
	;; [unrolled: 1-line block ×3, first 2 shown]
	s_waitcnt lgkmcnt(0)
	s_and_b32 s0, s0, 0xffff
	s_lshl_b32 s34, s0, 2
	v_lshl_add_u64 v[2:3], s[34:35], 0, v[2:3]
	v_cmp_le_i64_e32 vcc, s[6:7], v[2:3]
	v_pack_b32_f16 v5, v6, v7
	v_pack_b32_f16 v4, v4, v8
	s_or_b64 s[30:31], vcc, s[30:31]
	buffer_store_dwordx2 v[4:5], v1, s[8:11], 0 offen
	s_andn2_b64 exec, exec, s[30:31]
	s_cbranch_execnz .LBB181_8
.LBB181_9:
	s_endpgm
	.section	.rodata,"a",@progbits
	.p2align	6, 0x0
	.amdhsa_kernel _ZN5aiter23act_and_mul_bias_kernelIDF16_DF16_ifTnPFfRKT2_EXadL_ZNS_11silu_kernelIfEEfRKT_EELi4EEEvPT0_PS8_PKT1_PS2_il
		.amdhsa_group_segment_fixed_size 0
		.amdhsa_private_segment_fixed_size 0
		.amdhsa_kernarg_size 304
		.amdhsa_user_sgpr_count 2
		.amdhsa_user_sgpr_dispatch_ptr 0
		.amdhsa_user_sgpr_queue_ptr 0
		.amdhsa_user_sgpr_kernarg_segment_ptr 1
		.amdhsa_user_sgpr_dispatch_id 0
		.amdhsa_user_sgpr_kernarg_preload_length 0
		.amdhsa_user_sgpr_kernarg_preload_offset 0
		.amdhsa_user_sgpr_private_segment_size 0
		.amdhsa_uses_dynamic_stack 0
		.amdhsa_enable_private_segment 0
		.amdhsa_system_sgpr_workgroup_id_x 1
		.amdhsa_system_sgpr_workgroup_id_y 0
		.amdhsa_system_sgpr_workgroup_id_z 0
		.amdhsa_system_sgpr_workgroup_info 0
		.amdhsa_system_vgpr_workitem_id 0
		.amdhsa_next_free_vgpr 24
		.amdhsa_next_free_sgpr 38
		.amdhsa_accum_offset 24
		.amdhsa_reserve_vcc 1
		.amdhsa_float_round_mode_32 0
		.amdhsa_float_round_mode_16_64 0
		.amdhsa_float_denorm_mode_32 3
		.amdhsa_float_denorm_mode_16_64 3
		.amdhsa_dx10_clamp 1
		.amdhsa_ieee_mode 1
		.amdhsa_fp16_overflow 0
		.amdhsa_tg_split 0
		.amdhsa_exception_fp_ieee_invalid_op 0
		.amdhsa_exception_fp_denorm_src 0
		.amdhsa_exception_fp_ieee_div_zero 0
		.amdhsa_exception_fp_ieee_overflow 0
		.amdhsa_exception_fp_ieee_underflow 0
		.amdhsa_exception_fp_ieee_inexact 0
		.amdhsa_exception_int_div_zero 0
	.end_amdhsa_kernel
	.section	.text._ZN5aiter23act_and_mul_bias_kernelIDF16_DF16_ifTnPFfRKT2_EXadL_ZNS_11silu_kernelIfEEfRKT_EELi4EEEvPT0_PS8_PKT1_PS2_il,"axG",@progbits,_ZN5aiter23act_and_mul_bias_kernelIDF16_DF16_ifTnPFfRKT2_EXadL_ZNS_11silu_kernelIfEEfRKT_EELi4EEEvPT0_PS8_PKT1_PS2_il,comdat
.Lfunc_end181:
	.size	_ZN5aiter23act_and_mul_bias_kernelIDF16_DF16_ifTnPFfRKT2_EXadL_ZNS_11silu_kernelIfEEfRKT_EELi4EEEvPT0_PS8_PKT1_PS2_il, .Lfunc_end181-_ZN5aiter23act_and_mul_bias_kernelIDF16_DF16_ifTnPFfRKT2_EXadL_ZNS_11silu_kernelIfEEfRKT_EELi4EEEvPT0_PS8_PKT1_PS2_il
                                        ; -- End function
	.section	.AMDGPU.csdata,"",@progbits
; Kernel info:
; codeLenInByte = 1136
; NumSgprs: 44
; NumVgprs: 24
; NumAgprs: 0
; TotalNumVgprs: 24
; ScratchSize: 0
; MemoryBound: 0
; FloatMode: 240
; IeeeMode: 1
; LDSByteSize: 0 bytes/workgroup (compile time only)
; SGPRBlocks: 5
; VGPRBlocks: 2
; NumSGPRsForWavesPerEU: 44
; NumVGPRsForWavesPerEU: 24
; AccumOffset: 24
; Occupancy: 8
; WaveLimiterHint : 0
; COMPUTE_PGM_RSRC2:SCRATCH_EN: 0
; COMPUTE_PGM_RSRC2:USER_SGPR: 2
; COMPUTE_PGM_RSRC2:TRAP_HANDLER: 0
; COMPUTE_PGM_RSRC2:TGID_X_EN: 1
; COMPUTE_PGM_RSRC2:TGID_Y_EN: 0
; COMPUTE_PGM_RSRC2:TGID_Z_EN: 0
; COMPUTE_PGM_RSRC2:TIDIG_COMP_CNT: 0
; COMPUTE_PGM_RSRC3_GFX90A:ACCUM_OFFSET: 5
; COMPUTE_PGM_RSRC3_GFX90A:TG_SPLIT: 0
	.section	.text._ZN5aiter23act_and_mul_bias_kernelIDF16_DF16_ifTnPFfRKT2_EXadL_ZNS_11silu_kernelIfEEfRKT_EELi2EEEvPT0_PS8_PKT1_PS2_il,"axG",@progbits,_ZN5aiter23act_and_mul_bias_kernelIDF16_DF16_ifTnPFfRKT2_EXadL_ZNS_11silu_kernelIfEEfRKT_EELi2EEEvPT0_PS8_PKT1_PS2_il,comdat
	.protected	_ZN5aiter23act_and_mul_bias_kernelIDF16_DF16_ifTnPFfRKT2_EXadL_ZNS_11silu_kernelIfEEfRKT_EELi2EEEvPT0_PS8_PKT1_PS2_il ; -- Begin function _ZN5aiter23act_and_mul_bias_kernelIDF16_DF16_ifTnPFfRKT2_EXadL_ZNS_11silu_kernelIfEEfRKT_EELi2EEEvPT0_PS8_PKT1_PS2_il
	.globl	_ZN5aiter23act_and_mul_bias_kernelIDF16_DF16_ifTnPFfRKT2_EXadL_ZNS_11silu_kernelIfEEfRKT_EELi2EEEvPT0_PS8_PKT1_PS2_il
	.p2align	8
	.type	_ZN5aiter23act_and_mul_bias_kernelIDF16_DF16_ifTnPFfRKT2_EXadL_ZNS_11silu_kernelIfEEfRKT_EELi2EEEvPT0_PS8_PKT1_PS2_il,@function
_ZN5aiter23act_and_mul_bias_kernelIDF16_DF16_ifTnPFfRKT2_EXadL_ZNS_11silu_kernelIfEEfRKT_EELi2EEEvPT0_PS8_PKT1_PS2_il: ; @_ZN5aiter23act_and_mul_bias_kernelIDF16_DF16_ifTnPFfRKT2_EXadL_ZNS_11silu_kernelIfEEfRKT_EELi2EEEvPT0_PS8_PKT1_PS2_il
; %bb.0:
	s_load_dword s24, s[0:1], 0x20
	s_load_dwordx2 s[4:5], s[0:1], 0x10
	s_load_dwordx2 s[12:13], s[0:1], 0x28
	s_mov_b32 s3, 0
	s_lshl_b64 s[6:7], s[2:3], 2
	s_waitcnt lgkmcnt(0)
	s_ashr_i32 s25, s24, 31
	s_add_u32 s4, s4, s6
	s_addc_u32 s5, s5, s7
	s_add_i32 s3, s24, 1
	s_load_dword s8, s[4:5], 0x0
	s_load_dwordx2 s[14:15], s[0:1], 0x0
	s_lshr_b32 s4, s3, 31
	s_add_i32 s3, s3, s4
	s_lshl_b32 s3, s3, 1
	s_and_b32 s6, s3, -4
	s_mul_hi_u32 s3, s24, s2
	s_mul_i32 s4, s25, s2
	s_add_i32 s5, s3, s4
	s_mul_i32 s4, s24, s2
	s_waitcnt lgkmcnt(0)
	s_ashr_i32 s9, s8, 31
	s_lshl_b64 s[4:5], s[4:5], 1
	v_mov_b64_e32 v[2:3], s[12:13]
	v_cmp_gt_i64_e64 s[16:17], s[8:9], -1
	s_add_u32 s4, s14, s4
	v_cmp_lt_i64_e32 vcc, s[8:9], v[2:3]
	s_addc_u32 s3, s15, s5
	s_and_b64 s[12:13], s[16:17], vcc
	s_mov_b64 s[10:11], -1
	s_and_b32 s5, s3, 0xffff
	s_and_b64 vcc, exec, s[12:13]
	v_lshlrev_b32_e32 v2, 1, v0
	s_cbranch_vccnz .LBB182_5
; %bb.1:
	v_cmp_gt_i32_e32 vcc, s24, v2
	s_and_saveexec_b64 s[10:11], vcc
	s_cbranch_execz .LBB182_4
; %bb.2:
	s_load_dword s3, s[0:1], 0x3c
	v_mov_b32_e32 v3, 0
	s_mov_b32 s13, 0
	v_lshlrev_b32_e32 v4, 2, v0
	s_mov_b64 s[14:15], 0
	s_waitcnt lgkmcnt(0)
	s_and_b32 s3, s3, 0xffff
	s_lshl_b32 s12, s3, 1
	s_lshl_b32 s3, s3, 2
	s_mov_b32 s7, 0x20000
	v_mov_b64_e32 v[0:1], v[2:3]
.LBB182_3:                              ; =>This Inner Loop Header: Depth=1
	v_lshl_add_u64 v[0:1], s[12:13], 0, v[0:1]
	v_cmp_le_i64_e32 vcc, s[24:25], v[0:1]
	buffer_store_dword v3, v4, s[4:7], 0 offen
	s_or_b64 s[14:15], vcc, s[14:15]
	v_add_u32_e32 v4, s3, v4
	s_andn2_b64 exec, exec, s[14:15]
	s_cbranch_execnz .LBB182_3
.LBB182_4:
	s_or_b64 exec, exec, s[10:11]
	s_mov_b64 s[10:11], 0
.LBB182_5:
	s_andn2_b64 vcc, exec, s[10:11]
	s_cbranch_vccnz .LBB182_9
; %bb.6:
	v_cmp_gt_i32_e32 vcc, s24, v2
	s_and_saveexec_b64 s[10:11], vcc
	s_cbranch_execz .LBB182_9
; %bb.7:
	s_load_dwordx2 s[10:11], s[0:1], 0x18
	s_load_dwordx2 s[14:15], s[0:1], 0x8
	s_mul_hi_i32 s9, s24, s8
	s_mul_i32 s8, s24, s8
	s_lshl_b64 s[8:9], s[8:9], 3
	s_waitcnt lgkmcnt(0)
	s_add_u32 s8, s10, s8
	s_addc_u32 s3, s11, s9
	s_lshl_b64 s[10:11], s[24:25], 2
	s_add_u32 s12, s8, s10
	s_addc_u32 s13, s3, s11
	s_and_b32 s9, s3, 0xffff
	s_mul_i32 s3, s2, s25
	s_mul_hi_u32 s16, s2, s24
	s_add_i32 s3, s16, s3
	s_mul_i32 s2, s2, s24
	s_lshl_b32 s10, s24, 2
	s_and_b32 s13, s13, 0xffff
	s_lshl_b64 s[2:3], s[2:3], 2
	s_add_u32 s16, s14, s2
	s_addc_u32 s14, s15, s3
	s_lshl_b64 s[2:3], s[24:25], 1
	s_add_u32 s20, s16, s2
	s_addc_u32 s2, s14, s3
	s_and_b32 s17, s14, 0xffff
	s_and_b32 s21, s2, 0xffff
	s_mov_b32 s7, 0x20000
	s_add_u32 s2, s0, 48
	s_mov_b32 s11, s7
	v_mov_b32_e32 v3, 0
	s_addc_u32 s3, s1, 0
	s_mov_b64 s[26:27], 0
	s_mov_b32 s18, s6
	s_mov_b32 s19, s7
	;; [unrolled: 1-line block ×6, first 2 shown]
	v_mov_b32_e32 v0, 0x7f800000
	s_mov_b32 s22, s6
	s_mov_b32 s23, s7
.LBB182_8:                              ; =>This Inner Loop Header: Depth=1
	v_lshlrev_b32_e32 v1, 1, v2
	v_lshlrev_b32_e32 v8, 2, v2
	s_mov_b32 s14, s10
	s_mov_b32 s15, s11
	buffer_load_dword v9, v1, s[20:23], 0 offen
	buffer_load_dword v11, v1, s[16:19], 0 offen
	buffer_load_dwordx2 v[4:5], v8, s[8:11], 0 offen
	buffer_load_dwordx2 v[6:7], v8, s[12:15], 0 offen
	s_waitcnt vmcnt(3)
	v_cvt_f32_f16_e32 v8, v9
	s_waitcnt vmcnt(2)
	v_cvt_f32_f16_e32 v10, v11
	v_cvt_f32_f16_sdwa v11, v11 dst_sel:DWORD dst_unused:UNUSED_PAD src0_sel:WORD_1
	v_cvt_f32_f16_sdwa v9, v9 dst_sel:DWORD dst_unused:UNUSED_PAD src0_sel:WORD_1
	s_waitcnt vmcnt(1)
	v_pk_add_f32 v[4:5], v[4:5], v[10:11]
	s_waitcnt vmcnt(0)
	v_pk_add_f32 v[6:7], v[6:7], v[8:9]
	v_mul_f32_e32 v8, 0xbfb8aa3b, v5
	v_mul_f32_e32 v9, 0xbfb8aa3b, v4
	v_fma_f32 v10, v5, s30, -v8
	v_rndne_f32_e32 v11, v8
	v_fma_f32 v12, v4, s30, -v9
	v_rndne_f32_e32 v13, v9
	v_fmac_f32_e32 v10, 0xb2a5705f, v5
	v_sub_f32_e32 v8, v8, v11
	v_fmac_f32_e32 v12, 0xb2a5705f, v4
	v_sub_f32_e32 v9, v9, v13
	v_add_f32_e32 v8, v8, v10
	v_add_f32_e32 v9, v9, v12
	v_cvt_i32_f32_e32 v11, v11
	v_cvt_i32_f32_e32 v13, v13
	v_exp_f32_e32 v8, v8
	v_exp_f32_e32 v9, v9
	v_cmp_nlt_f32_e32 vcc, s31, v4
	v_cmp_nlt_f32_e64 s[0:1], s31, v5
	v_ldexp_f32 v8, v8, v11
	v_ldexp_f32 v9, v9, v13
	v_cndmask_b32_e64 v8, 0, v8, s[0:1]
	v_cndmask_b32_e32 v9, 0, v9, vcc
	v_cmp_ngt_f32_e32 vcc, s33, v4
	v_cmp_ngt_f32_e64 s[0:1], s33, v5
	s_nop 0
	v_cndmask_b32_e32 v9, v0, v9, vcc
	v_cndmask_b32_e64 v8, v0, v8, s[0:1]
	v_add_f32_e32 v8, 1.0, v8
	v_add_f32_e32 v10, 1.0, v9
	v_rcp_f32_e32 v9, v8
	v_rcp_f32_e32 v8, v10
	s_nop 0
	v_pk_mul_f32 v[4:5], v[4:5], v[8:9]
	s_nop 0
	;;#ASMSTART
	v_pk_mul_f32 v[4:5], v[4:5], v[6:7]
	;;#ASMEND
	s_load_dword s0, s[2:3], 0xc
	v_cvt_f16_f32_e32 v4, v4
	v_cvt_f16_f32_e32 v5, v5
	s_waitcnt lgkmcnt(0)
	s_and_b32 s0, s0, 0xffff
	s_lshl_b32 s28, s0, 1
	v_lshl_add_u64 v[2:3], s[28:29], 0, v[2:3]
	v_cmp_le_i64_e32 vcc, s[24:25], v[2:3]
	v_pack_b32_f16 v4, v4, v5
	s_or_b64 s[26:27], vcc, s[26:27]
	buffer_store_dword v4, v1, s[4:7], 0 offen
	s_andn2_b64 exec, exec, s[26:27]
	s_cbranch_execnz .LBB182_8
.LBB182_9:
	s_endpgm
	.section	.rodata,"a",@progbits
	.p2align	6, 0x0
	.amdhsa_kernel _ZN5aiter23act_and_mul_bias_kernelIDF16_DF16_ifTnPFfRKT2_EXadL_ZNS_11silu_kernelIfEEfRKT_EELi2EEEvPT0_PS8_PKT1_PS2_il
		.amdhsa_group_segment_fixed_size 0
		.amdhsa_private_segment_fixed_size 0
		.amdhsa_kernarg_size 304
		.amdhsa_user_sgpr_count 2
		.amdhsa_user_sgpr_dispatch_ptr 0
		.amdhsa_user_sgpr_queue_ptr 0
		.amdhsa_user_sgpr_kernarg_segment_ptr 1
		.amdhsa_user_sgpr_dispatch_id 0
		.amdhsa_user_sgpr_kernarg_preload_length 0
		.amdhsa_user_sgpr_kernarg_preload_offset 0
		.amdhsa_user_sgpr_private_segment_size 0
		.amdhsa_uses_dynamic_stack 0
		.amdhsa_enable_private_segment 0
		.amdhsa_system_sgpr_workgroup_id_x 1
		.amdhsa_system_sgpr_workgroup_id_y 0
		.amdhsa_system_sgpr_workgroup_id_z 0
		.amdhsa_system_sgpr_workgroup_info 0
		.amdhsa_system_vgpr_workitem_id 0
		.amdhsa_next_free_vgpr 14
		.amdhsa_next_free_sgpr 34
		.amdhsa_accum_offset 16
		.amdhsa_reserve_vcc 1
		.amdhsa_float_round_mode_32 0
		.amdhsa_float_round_mode_16_64 0
		.amdhsa_float_denorm_mode_32 3
		.amdhsa_float_denorm_mode_16_64 3
		.amdhsa_dx10_clamp 1
		.amdhsa_ieee_mode 1
		.amdhsa_fp16_overflow 0
		.amdhsa_tg_split 0
		.amdhsa_exception_fp_ieee_invalid_op 0
		.amdhsa_exception_fp_denorm_src 0
		.amdhsa_exception_fp_ieee_div_zero 0
		.amdhsa_exception_fp_ieee_overflow 0
		.amdhsa_exception_fp_ieee_underflow 0
		.amdhsa_exception_fp_ieee_inexact 0
		.amdhsa_exception_int_div_zero 0
	.end_amdhsa_kernel
	.section	.text._ZN5aiter23act_and_mul_bias_kernelIDF16_DF16_ifTnPFfRKT2_EXadL_ZNS_11silu_kernelIfEEfRKT_EELi2EEEvPT0_PS8_PKT1_PS2_il,"axG",@progbits,_ZN5aiter23act_and_mul_bias_kernelIDF16_DF16_ifTnPFfRKT2_EXadL_ZNS_11silu_kernelIfEEfRKT_EELi2EEEvPT0_PS8_PKT1_PS2_il,comdat
.Lfunc_end182:
	.size	_ZN5aiter23act_and_mul_bias_kernelIDF16_DF16_ifTnPFfRKT2_EXadL_ZNS_11silu_kernelIfEEfRKT_EELi2EEEvPT0_PS8_PKT1_PS2_il, .Lfunc_end182-_ZN5aiter23act_and_mul_bias_kernelIDF16_DF16_ifTnPFfRKT2_EXadL_ZNS_11silu_kernelIfEEfRKT_EELi2EEEvPT0_PS8_PKT1_PS2_il
                                        ; -- End function
	.section	.AMDGPU.csdata,"",@progbits
; Kernel info:
; codeLenInByte = 880
; NumSgprs: 40
; NumVgprs: 14
; NumAgprs: 0
; TotalNumVgprs: 14
; ScratchSize: 0
; MemoryBound: 0
; FloatMode: 240
; IeeeMode: 1
; LDSByteSize: 0 bytes/workgroup (compile time only)
; SGPRBlocks: 4
; VGPRBlocks: 1
; NumSGPRsForWavesPerEU: 40
; NumVGPRsForWavesPerEU: 14
; AccumOffset: 16
; Occupancy: 8
; WaveLimiterHint : 0
; COMPUTE_PGM_RSRC2:SCRATCH_EN: 0
; COMPUTE_PGM_RSRC2:USER_SGPR: 2
; COMPUTE_PGM_RSRC2:TRAP_HANDLER: 0
; COMPUTE_PGM_RSRC2:TGID_X_EN: 1
; COMPUTE_PGM_RSRC2:TGID_Y_EN: 0
; COMPUTE_PGM_RSRC2:TGID_Z_EN: 0
; COMPUTE_PGM_RSRC2:TIDIG_COMP_CNT: 0
; COMPUTE_PGM_RSRC3_GFX90A:ACCUM_OFFSET: 3
; COMPUTE_PGM_RSRC3_GFX90A:TG_SPLIT: 0
	.section	.text._ZN5aiter23act_and_mul_bias_kernelIDF16_DF16_ifTnPFfRKT2_EXadL_ZNS_11silu_kernelIfEEfRKT_EELi1EEEvPT0_PS8_PKT1_PS2_il,"axG",@progbits,_ZN5aiter23act_and_mul_bias_kernelIDF16_DF16_ifTnPFfRKT2_EXadL_ZNS_11silu_kernelIfEEfRKT_EELi1EEEvPT0_PS8_PKT1_PS2_il,comdat
	.protected	_ZN5aiter23act_and_mul_bias_kernelIDF16_DF16_ifTnPFfRKT2_EXadL_ZNS_11silu_kernelIfEEfRKT_EELi1EEEvPT0_PS8_PKT1_PS2_il ; -- Begin function _ZN5aiter23act_and_mul_bias_kernelIDF16_DF16_ifTnPFfRKT2_EXadL_ZNS_11silu_kernelIfEEfRKT_EELi1EEEvPT0_PS8_PKT1_PS2_il
	.globl	_ZN5aiter23act_and_mul_bias_kernelIDF16_DF16_ifTnPFfRKT2_EXadL_ZNS_11silu_kernelIfEEfRKT_EELi1EEEvPT0_PS8_PKT1_PS2_il
	.p2align	8
	.type	_ZN5aiter23act_and_mul_bias_kernelIDF16_DF16_ifTnPFfRKT2_EXadL_ZNS_11silu_kernelIfEEfRKT_EELi1EEEvPT0_PS8_PKT1_PS2_il,@function
_ZN5aiter23act_and_mul_bias_kernelIDF16_DF16_ifTnPFfRKT2_EXadL_ZNS_11silu_kernelIfEEfRKT_EELi1EEEvPT0_PS8_PKT1_PS2_il: ; @_ZN5aiter23act_and_mul_bias_kernelIDF16_DF16_ifTnPFfRKT2_EXadL_ZNS_11silu_kernelIfEEfRKT_EELi1EEEvPT0_PS8_PKT1_PS2_il
; %bb.0:
	s_load_dword s20, s[0:1], 0x20
	s_load_dwordx2 s[4:5], s[0:1], 0x10
	s_load_dwordx2 s[14:15], s[0:1], 0x28
	s_mov_b32 s3, 0
	s_lshl_b64 s[6:7], s[2:3], 2
	s_waitcnt lgkmcnt(0)
	s_ashr_i32 s21, s20, 31
	s_add_u32 s4, s4, s6
	s_addc_u32 s5, s5, s7
	s_add_i32 s3, s20, 1
	s_lshr_b32 s10, s3, 31
	s_load_dword s6, s[4:5], 0x0
	s_load_dwordx2 s[8:9], s[0:1], 0x0
	s_add_i32 s3, s3, s10
	s_lshl_b32 s3, s3, 1
	s_and_b32 s10, s3, -4
	s_mul_hi_u32 s3, s20, s2
	s_mul_i32 s11, s21, s2
	s_add_i32 s17, s3, s11
	s_mul_i32 s16, s20, s2
	s_waitcnt lgkmcnt(0)
	s_ashr_i32 s7, s6, 31
	s_lshl_b64 s[16:17], s[16:17], 1
	v_mov_b64_e32 v[2:3], s[14:15]
	v_cmp_gt_i64_e64 s[4:5], s[6:7], -1
	s_add_u32 s8, s8, s16
	v_cmp_lt_i64_e32 vcc, s[6:7], v[2:3]
	s_addc_u32 s3, s9, s17
	s_and_b64 s[4:5], s[4:5], vcc
	s_mov_b64 s[12:13], -1
	s_and_b32 s9, s3, 0xffff
	s_and_b64 vcc, exec, s[4:5]
	v_cmp_gt_i32_e64 s[4:5], s20, v0
	s_cbranch_vccnz .LBB183_5
; %bb.1:
	s_and_saveexec_b64 s[12:13], s[4:5]
	s_cbranch_execz .LBB183_4
; %bb.2:
	s_load_dword s3, s[0:1], 0x3c
	v_mov_b32_e32 v1, 0
	s_mov_b32 s5, 0
	v_lshlrev_b32_e32 v4, 1, v0
	s_mov_b64 s[14:15], 0
	s_waitcnt lgkmcnt(0)
	s_and_b32 s4, s3, 0xffff
	s_lshl_b32 s3, s4, 1
	s_mov_b32 s11, 0x20000
	v_mov_b64_e32 v[2:3], v[0:1]
.LBB183_3:                              ; =>This Inner Loop Header: Depth=1
	v_lshl_add_u64 v[2:3], v[2:3], 0, s[4:5]
	v_cmp_le_i64_e32 vcc, s[20:21], v[2:3]
	buffer_store_short v1, v4, s[8:11], 0 offen
	s_or_b64 s[14:15], vcc, s[14:15]
	v_add_u32_e32 v4, s3, v4
	s_andn2_b64 exec, exec, s[14:15]
	s_cbranch_execnz .LBB183_3
.LBB183_4:
	s_or_b64 exec, exec, s[12:13]
	s_mov_b64 s[12:13], 0
.LBB183_5:
	s_andn2_b64 vcc, exec, s[12:13]
	s_cbranch_vccnz .LBB183_9
; %bb.6:
	v_cmp_gt_i32_e32 vcc, s20, v0
	s_and_saveexec_b64 s[4:5], vcc
	s_cbranch_execz .LBB183_9
; %bb.7:
	s_load_dwordx2 s[12:13], s[0:1], 0x8
	s_load_dwordx2 s[4:5], s[0:1], 0x18
	s_mul_hi_i32 s7, s20, s6
	s_mul_i32 s6, s20, s6
	s_lshl_b64 s[6:7], s[6:7], 3
	s_load_dword s14, s[0:1], 0x3c
	s_waitcnt lgkmcnt(0)
	s_add_u32 s4, s4, s6
	s_addc_u32 s3, s5, s7
	s_lshl_b64 s[0:1], s[20:21], 2
	s_add_u32 s0, s4, s0
	s_addc_u32 s1, s3, s1
	s_and_b32 s5, s3, 0xffff
	s_mul_i32 s3, s2, s21
	s_mul_hi_u32 s15, s2, s20
	s_add_i32 s3, s15, s3
	s_mul_i32 s2, s2, s20
	s_lshl_b32 s6, s20, 2
	s_and_b32 s1, s1, 0xffff
	s_lshl_b64 s[2:3], s[2:3], 2
	s_add_u32 s12, s12, s2
	s_addc_u32 s13, s13, s3
	s_lshl_b64 s[2:3], s[20:21], 1
	s_add_u32 s16, s12, s2
	s_mov_b32 s11, 0x20000
	s_addc_u32 s2, s13, s3
	s_and_b32 s22, s14, 0xffff
	s_mov_b32 s7, s11
	s_and_b32 s13, s13, 0xffff
	s_and_b32 s17, s2, 0xffff
	s_mov_b32 s23, 0
	v_mov_b32_e32 v1, 0
	v_lshlrev_b32_e32 v2, 2, v0
	s_lshl_b32 s26, s22, 2
	v_lshlrev_b32_e32 v3, 1, v0
	s_lshl_b32 s27, s22, 1
	s_mov_b64 s[24:25], 0
	s_mov_b32 s14, s10
	s_mov_b32 s15, s11
	;; [unrolled: 1-line block ×5, first 2 shown]
	v_mov_b32_e32 v4, 0x7f800000
	s_mov_b32 s18, s10
	s_mov_b32 s19, s11
.LBB183_8:                              ; =>This Inner Loop Header: Depth=1
	buffer_load_ushort v5, v3, s[12:15], 0 offen
	buffer_load_ushort v8, v3, s[16:19], 0 offen
	s_mov_b32 s2, s6
	s_mov_b32 s3, s7
	buffer_load_dword v7, v2, s[4:7], 0 offen
	buffer_load_dword v6, v2, s[0:3], 0 offen
	v_lshl_add_u64 v[0:1], v[0:1], 0, s[22:23]
	v_add_u32_e32 v2, s26, v2
	s_waitcnt vmcnt(3)
	v_cvt_f32_f16_e32 v9, v5
	s_waitcnt vmcnt(2)
	v_cvt_f32_f16_e32 v8, v8
	s_waitcnt vmcnt(0)
	v_pk_add_f32 v[6:7], v[8:9], v[6:7]
	s_nop 0
	v_mul_f32_e32 v5, 0xbfb8aa3b, v7
	v_fma_f32 v8, v7, s28, -v5
	v_rndne_f32_e32 v9, v5
	v_fmac_f32_e32 v8, 0xb2a5705f, v7
	v_sub_f32_e32 v5, v5, v9
	v_add_f32_e32 v5, v5, v8
	v_cvt_i32_f32_e32 v9, v9
	v_exp_f32_e32 v5, v5
	v_cmp_nlt_f32_e32 vcc, s29, v7
	v_ldexp_f32 v5, v5, v9
	s_nop 0
	v_cndmask_b32_e32 v5, 0, v5, vcc
	v_cmp_ngt_f32_e32 vcc, s30, v7
	s_nop 1
	v_cndmask_b32_e32 v5, v4, v5, vcc
	v_add_f32_e32 v5, 1.0, v5
	v_rcp_f32_e32 v5, v5
	v_cmp_le_i64_e32 vcc, s[20:21], v[0:1]
	s_or_b64 s[24:25], vcc, s[24:25]
	v_mul_f32_e32 v5, v7, v5
	v_fma_mixlo_f16 v5, v6, v5, 0
	buffer_store_short v5, v3, s[8:11], 0 offen
	v_add_u32_e32 v3, s27, v3
	s_andn2_b64 exec, exec, s[24:25]
	s_cbranch_execnz .LBB183_8
.LBB183_9:
	s_endpgm
	.section	.rodata,"a",@progbits
	.p2align	6, 0x0
	.amdhsa_kernel _ZN5aiter23act_and_mul_bias_kernelIDF16_DF16_ifTnPFfRKT2_EXadL_ZNS_11silu_kernelIfEEfRKT_EELi1EEEvPT0_PS8_PKT1_PS2_il
		.amdhsa_group_segment_fixed_size 0
		.amdhsa_private_segment_fixed_size 0
		.amdhsa_kernarg_size 304
		.amdhsa_user_sgpr_count 2
		.amdhsa_user_sgpr_dispatch_ptr 0
		.amdhsa_user_sgpr_queue_ptr 0
		.amdhsa_user_sgpr_kernarg_segment_ptr 1
		.amdhsa_user_sgpr_dispatch_id 0
		.amdhsa_user_sgpr_kernarg_preload_length 0
		.amdhsa_user_sgpr_kernarg_preload_offset 0
		.amdhsa_user_sgpr_private_segment_size 0
		.amdhsa_uses_dynamic_stack 0
		.amdhsa_enable_private_segment 0
		.amdhsa_system_sgpr_workgroup_id_x 1
		.amdhsa_system_sgpr_workgroup_id_y 0
		.amdhsa_system_sgpr_workgroup_id_z 0
		.amdhsa_system_sgpr_workgroup_info 0
		.amdhsa_system_vgpr_workitem_id 0
		.amdhsa_next_free_vgpr 10
		.amdhsa_next_free_sgpr 31
		.amdhsa_accum_offset 12
		.amdhsa_reserve_vcc 1
		.amdhsa_float_round_mode_32 0
		.amdhsa_float_round_mode_16_64 0
		.amdhsa_float_denorm_mode_32 3
		.amdhsa_float_denorm_mode_16_64 3
		.amdhsa_dx10_clamp 1
		.amdhsa_ieee_mode 1
		.amdhsa_fp16_overflow 0
		.amdhsa_tg_split 0
		.amdhsa_exception_fp_ieee_invalid_op 0
		.amdhsa_exception_fp_denorm_src 0
		.amdhsa_exception_fp_ieee_div_zero 0
		.amdhsa_exception_fp_ieee_overflow 0
		.amdhsa_exception_fp_ieee_underflow 0
		.amdhsa_exception_fp_ieee_inexact 0
		.amdhsa_exception_int_div_zero 0
	.end_amdhsa_kernel
	.section	.text._ZN5aiter23act_and_mul_bias_kernelIDF16_DF16_ifTnPFfRKT2_EXadL_ZNS_11silu_kernelIfEEfRKT_EELi1EEEvPT0_PS8_PKT1_PS2_il,"axG",@progbits,_ZN5aiter23act_and_mul_bias_kernelIDF16_DF16_ifTnPFfRKT2_EXadL_ZNS_11silu_kernelIfEEfRKT_EELi1EEEvPT0_PS8_PKT1_PS2_il,comdat
.Lfunc_end183:
	.size	_ZN5aiter23act_and_mul_bias_kernelIDF16_DF16_ifTnPFfRKT2_EXadL_ZNS_11silu_kernelIfEEfRKT_EELi1EEEvPT0_PS8_PKT1_PS2_il, .Lfunc_end183-_ZN5aiter23act_and_mul_bias_kernelIDF16_DF16_ifTnPFfRKT2_EXadL_ZNS_11silu_kernelIfEEfRKT_EELi1EEEvPT0_PS8_PKT1_PS2_il
                                        ; -- End function
	.section	.AMDGPU.csdata,"",@progbits
; Kernel info:
; codeLenInByte = 736
; NumSgprs: 37
; NumVgprs: 10
; NumAgprs: 0
; TotalNumVgprs: 10
; ScratchSize: 0
; MemoryBound: 0
; FloatMode: 240
; IeeeMode: 1
; LDSByteSize: 0 bytes/workgroup (compile time only)
; SGPRBlocks: 4
; VGPRBlocks: 1
; NumSGPRsForWavesPerEU: 37
; NumVGPRsForWavesPerEU: 10
; AccumOffset: 12
; Occupancy: 8
; WaveLimiterHint : 0
; COMPUTE_PGM_RSRC2:SCRATCH_EN: 0
; COMPUTE_PGM_RSRC2:USER_SGPR: 2
; COMPUTE_PGM_RSRC2:TRAP_HANDLER: 0
; COMPUTE_PGM_RSRC2:TGID_X_EN: 1
; COMPUTE_PGM_RSRC2:TGID_Y_EN: 0
; COMPUTE_PGM_RSRC2:TGID_Z_EN: 0
; COMPUTE_PGM_RSRC2:TIDIG_COMP_CNT: 0
; COMPUTE_PGM_RSRC3_GFX90A:ACCUM_OFFSET: 2
; COMPUTE_PGM_RSRC3_GFX90A:TG_SPLIT: 0
	.section	.text._ZN5aiter23act_and_mul_bias_kernelIttifTnPFfRKT2_EXadL_ZNS_11silu_kernelIfEEfRKT_EELi32EEEvPT0_PS8_PKT1_PS2_il,"axG",@progbits,_ZN5aiter23act_and_mul_bias_kernelIttifTnPFfRKT2_EXadL_ZNS_11silu_kernelIfEEfRKT_EELi32EEEvPT0_PS8_PKT1_PS2_il,comdat
	.protected	_ZN5aiter23act_and_mul_bias_kernelIttifTnPFfRKT2_EXadL_ZNS_11silu_kernelIfEEfRKT_EELi32EEEvPT0_PS8_PKT1_PS2_il ; -- Begin function _ZN5aiter23act_and_mul_bias_kernelIttifTnPFfRKT2_EXadL_ZNS_11silu_kernelIfEEfRKT_EELi32EEEvPT0_PS8_PKT1_PS2_il
	.globl	_ZN5aiter23act_and_mul_bias_kernelIttifTnPFfRKT2_EXadL_ZNS_11silu_kernelIfEEfRKT_EELi32EEEvPT0_PS8_PKT1_PS2_il
	.p2align	8
	.type	_ZN5aiter23act_and_mul_bias_kernelIttifTnPFfRKT2_EXadL_ZNS_11silu_kernelIfEEfRKT_EELi32EEEvPT0_PS8_PKT1_PS2_il,@function
_ZN5aiter23act_and_mul_bias_kernelIttifTnPFfRKT2_EXadL_ZNS_11silu_kernelIfEEfRKT_EELi32EEEvPT0_PS8_PKT1_PS2_il: ; @_ZN5aiter23act_and_mul_bias_kernelIttifTnPFfRKT2_EXadL_ZNS_11silu_kernelIfEEfRKT_EELi32EEEvPT0_PS8_PKT1_PS2_il
; %bb.0:
	s_load_dword s6, s[0:1], 0x20
	s_load_dwordx2 s[4:5], s[0:1], 0x10
	s_load_dwordx2 s[14:15], s[0:1], 0x28
	s_mov_b32 s3, 0
	s_lshl_b64 s[8:9], s[2:3], 2
	s_waitcnt lgkmcnt(0)
	s_ashr_i32 s7, s6, 31
	s_add_u32 s8, s4, s8
	s_addc_u32 s9, s5, s9
	s_add_i32 s3, s6, 1
	s_load_dword s4, s[8:9], 0x0
	s_load_dwordx2 s[16:17], s[0:1], 0x0
	s_lshr_b32 s8, s3, 31
	s_add_i32 s3, s3, s8
	s_lshl_b32 s3, s3, 1
	s_and_b32 s10, s3, -4
	s_mul_hi_u32 s3, s6, s2
	s_mul_i32 s8, s7, s2
	s_add_i32 s9, s3, s8
	s_mul_i32 s8, s6, s2
	s_waitcnt lgkmcnt(0)
	s_ashr_i32 s5, s4, 31
	s_lshl_b64 s[8:9], s[8:9], 1
	v_mov_b64_e32 v[2:3], s[14:15]
	v_cmp_gt_i64_e64 s[18:19], s[4:5], -1
	s_add_u32 s8, s16, s8
	v_cmp_lt_i64_e32 vcc, s[4:5], v[2:3]
	s_addc_u32 s3, s17, s9
	s_and_b64 s[14:15], s[18:19], vcc
	s_mov_b64 s[12:13], -1
	s_and_b32 s9, s3, 0xffff
	s_and_b64 vcc, exec, s[14:15]
	v_lshlrev_b32_e32 v4, 5, v0
	s_cbranch_vccnz .LBB184_5
; %bb.1:
	v_cmp_gt_i32_e32 vcc, s6, v4
	s_and_saveexec_b64 s[12:13], vcc
	s_cbranch_execz .LBB184_4
; %bb.2:
	s_load_dword s3, s[0:1], 0x3c
	s_mov_b32 s15, 0
	s_mov_b32 s20, s15
	s_mov_b32 s21, s15
	v_mov_b32_e32 v5, 0
	v_lshlrev_b32_e32 v8, 6, v0
	s_waitcnt lgkmcnt(0)
	s_and_b32 s3, s3, 0xffff
	s_mov_b32 s22, s15
	s_mov_b32 s23, s15
	v_mov_b64_e32 v[0:1], s[20:21]
	s_lshl_b32 s14, s3, 5
	s_lshl_b32 s3, s3, 6
	s_mov_b64 s[16:17], 0
	s_mov_b32 s11, 0x20000
	v_mov_b64_e32 v[2:3], s[22:23]
	v_mov_b64_e32 v[6:7], v[4:5]
.LBB184_3:                              ; =>This Inner Loop Header: Depth=1
	v_lshl_add_u64 v[6:7], s[14:15], 0, v[6:7]
	v_cmp_le_i64_e32 vcc, s[6:7], v[6:7]
	buffer_store_dwordx4 v[0:3], v8, s[8:11], 0 offen
	buffer_store_dwordx4 v[0:3], v8, s[8:11], 16 offen
	;; [unrolled: 1-line block ×4, first 2 shown]
	s_or_b64 s[16:17], vcc, s[16:17]
	v_add_u32_e32 v8, s3, v8
	s_andn2_b64 exec, exec, s[16:17]
	s_cbranch_execnz .LBB184_3
.LBB184_4:
	s_or_b64 exec, exec, s[12:13]
	s_mov_b64 s[12:13], 0
.LBB184_5:
	s_andn2_b64 vcc, exec, s[12:13]
	s_cbranch_vccnz .LBB184_9
; %bb.6:
	v_cmp_gt_i32_e32 vcc, s6, v4
	s_and_saveexec_b64 s[12:13], vcc
	s_cbranch_execz .LBB184_9
; %bb.7:
	s_load_dwordx2 s[12:13], s[0:1], 0x18
	s_load_dwordx2 s[18:19], s[0:1], 0x8
	s_mul_hi_i32 s5, s6, s4
	s_mul_i32 s4, s6, s4
	s_lshl_b64 s[4:5], s[4:5], 3
	s_waitcnt lgkmcnt(0)
	s_add_u32 s12, s12, s4
	s_addc_u32 s3, s13, s5
	s_lshl_b64 s[4:5], s[6:7], 2
	s_add_u32 s16, s12, s4
	s_addc_u32 s4, s3, s5
	s_and_b32 s13, s3, 0xffff
	s_and_b32 s17, s4, 0xffff
	s_mul_i32 s3, s2, s7
	s_mul_hi_u32 s4, s2, s6
	s_add_i32 s3, s4, s3
	s_mul_i32 s2, s2, s6
	s_lshl_b32 s14, s6, 2
	s_lshl_b64 s[2:3], s[2:3], 2
	s_add_u32 s20, s18, s2
	s_addc_u32 s4, s19, s3
	s_lshl_b64 s[2:3], s[6:7], 1
	s_add_u32 s24, s20, s2
	s_addc_u32 s2, s4, s3
	s_and_b32 s21, s4, 0xffff
	s_and_b32 s25, s2, 0xffff
	s_mov_b32 s11, 0x20000
	s_add_u32 s28, s0, 48
	s_mov_b32 s15, s11
	v_mov_b32_e32 v5, 0
	s_addc_u32 s29, s1, 0
	s_mov_b64 s[30:31], 0
	s_mov_b32 s22, s10
	s_mov_b32 s23, s11
	;; [unrolled: 1-line block ×3, first 2 shown]
	s_movk_i32 s33, 0x50
	s_movk_i32 s36, 0x60
	;; [unrolled: 1-line block ×3, first 2 shown]
	s_mov_b32 s38, 0xbfb8aa3b
	s_mov_b32 s39, 0x42ce8ed0
	;; [unrolled: 1-line block ×3, first 2 shown]
	v_mov_b32_e32 v76, 0x7f800000
	s_mov_b32 s41, 0x7060302
	s_mov_b32 s26, s10
	;; [unrolled: 1-line block ×3, first 2 shown]
.LBB184_8:                              ; =>This Inner Loop Header: Depth=1
	v_lshlrev_b32_e32 v77, 1, v4
	buffer_load_dwordx4 v[10:13], v77, s[24:27], 0 offen
	buffer_load_dwordx4 v[14:17], v77, s[20:23], 0 offen
	;; [unrolled: 1-line block ×8, first 2 shown]
	s_mov_b32 s18, s14
	s_mov_b32 s19, s15
	v_lshlrev_b32_e32 v82, 2, v4
	buffer_load_dwordx4 v[78:81], v82, s[16:19], 64 offen
	s_waitcnt vmcnt(8)
	v_and_b32_e32 v1, 0xffff0000, v10
	v_lshlrev_b32_e32 v0, 16, v10
	s_waitcnt vmcnt(7)
	v_and_b32_e32 v63, 0xffff0000, v14
	v_lshlrev_b32_e32 v62, 16, v14
	v_and_b32_e32 v3, 0xffff0000, v11
	v_lshlrev_b32_e32 v2, 16, v11
	;; [unrolled: 2-line block ×7, first 2 shown]
	s_waitcnt vmcnt(6)
	v_and_b32_e32 v13, 0xffff0000, v18
	v_lshlrev_b32_e32 v12, 16, v18
	s_waitcnt vmcnt(5)
	v_and_b32_e32 v55, 0xffff0000, v22
	v_lshlrev_b32_e32 v54, 16, v22
	v_and_b32_e32 v61, 0xffff0000, v19
	v_lshlrev_b32_e32 v60, 16, v19
	;; [unrolled: 2-line block ×7, first 2 shown]
	s_waitcnt vmcnt(4)
	v_and_b32_e32 v21, 0xffff0000, v26
	v_lshlrev_b32_e32 v20, 16, v26
	v_and_b32_e32 v49, 0xffff0000, v27
	v_lshlrev_b32_e32 v48, 16, v27
	v_and_b32_e32 v23, 0xffff0000, v28
	v_lshlrev_b32_e32 v22, 16, v28
	v_and_b32_e32 v25, 0xffff0000, v29
	v_lshlrev_b32_e32 v24, 16, v29
	s_waitcnt vmcnt(3)
	v_and_b32_e32 v51, 0xffff0000, v30
	v_lshlrev_b32_e32 v50, 16, v30
	v_and_b32_e32 v53, 0xffff0000, v31
	v_lshlrev_b32_e32 v52, 16, v31
	v_and_b32_e32 v27, 0xffff0000, v32
	v_lshlrev_b32_e32 v26, 16, v32
	v_and_b32_e32 v39, 0xffff0000, v33
	v_lshlrev_b32_e32 v38, 16, v33
	;; [unrolled: 9-line block ×4, first 2 shown]
	buffer_load_dwordx4 v[66:69], v82, s[16:19], 0 offen
	s_waitcnt vmcnt(0)
	v_pk_add_f32 v[0:1], v[66:67], v[0:1]
	v_pk_add_f32 v[2:3], v[68:69], v[2:3]
	buffer_load_dwordx4 v[66:69], v82, s[12:15], 0 offen
	s_waitcnt vmcnt(0)
	v_pk_add_f32 v[74:75], v[66:67], v[62:63]
	v_pk_add_f32 v[72:73], v[68:69], v[64:65]
	buffer_load_dwordx4 v[62:65], v82, s[16:19], 16 offen
	v_cmp_nlt_f32_e32 vcc, s39, v75
	v_cmp_nlt_f32_e64 s[0:1], s39, v74
	v_cmp_ngt_f32_e64 s[2:3], s40, v75
	v_cmp_ngt_f32_e64 s[4:5], s40, v74
	s_waitcnt vmcnt(0)
	v_pk_add_f32 v[6:7], v[62:63], v[6:7]
	v_pk_add_f32 v[8:9], v[64:65], v[8:9]
	buffer_load_dwordx4 v[62:65], v82, s[12:15], 16 offen
	s_waitcnt vmcnt(0)
	v_pk_add_f32 v[70:71], v[62:63], v[10:11]
	v_pk_add_f32 v[68:69], v[64:65], v[56:57]
	buffer_load_dwordx4 v[62:65], v82, s[16:19], 32 offen
	;; [unrolled: 4-line block ×4, first 2 shown]
	s_waitcnt vmcnt(0)
	v_pk_add_f32 v[16:17], v[58:59], v[16:17]
	buffer_load_dwordx4 v[58:61], v82, s[12:15], 48 offen
	v_pk_add_f32 v[14:15], v[56:57], v[14:15]
	s_waitcnt vmcnt(0)
	v_pk_add_f32 v[58:59], v[58:59], v[18:19]
	v_pk_add_f32 v[62:63], v[60:61], v[46:47]
	;; [unrolled: 1-line block ×4, first 2 shown]
	buffer_load_dwordx4 v[46:49], v82, s[12:15], 64 offen
	s_waitcnt vmcnt(0)
	v_pk_add_f32 v[64:65], v[46:47], v[50:51]
	v_pk_add_f32 v[60:61], v[48:49], v[52:53]
	buffer_load_dwordx4 v[46:49], v82, s[16:19], s33 offen
	s_waitcnt vmcnt(0)
	v_pk_add_f32 v[22:23], v[46:47], v[22:23]
	v_pk_add_f32 v[24:25], v[48:49], v[24:25]
	buffer_load_dwordx4 v[46:49], v82, s[12:15], s33 offen
	s_waitcnt vmcnt(0)
	v_pk_add_f32 v[56:57], v[46:47], v[26:27]
	v_pk_add_f32 v[52:53], v[48:49], v[38:39]
	buffer_load_dwordx4 v[46:49], v82, s[16:19], s36 offen
	s_waitcnt vmcnt(0)
	v_pk_add_f32 v[26:27], v[46:47], v[28:29]
	v_pk_add_f32 v[28:29], v[48:49], v[40:41]
	buffer_load_dwordx4 v[38:41], v82, s[12:15], s36 offen
	s_waitcnt vmcnt(0)
	v_pk_add_f32 v[48:49], v[38:39], v[42:43]
	v_pk_add_f32 v[42:43], v[40:41], v[44:45]
	buffer_load_dwordx4 v[38:41], v82, s[16:19], s37 offen
	buffer_load_dwordx4 v[44:47], v82, s[12:15], s37 offen
	s_waitcnt vmcnt(1)
	v_pk_add_f32 v[32:33], v[40:41], v[32:33]
	s_waitcnt vmcnt(0)
	v_pk_add_f32 v[40:41], v[44:45], v[36:37]
	v_mul_f32_e32 v36, 0xbfb8aa3b, v74
	v_pk_add_f32 v[30:31], v[38:39], v[30:31]
	v_fma_f32 v37, v74, s38, -v36
	v_rndne_f32_e32 v38, v36
	v_fmac_f32_e32 v37, 0xb2a5705f, v74
	v_sub_f32_e32 v36, v36, v38
	v_add_f32_e32 v36, v36, v37
	v_mul_f32_e32 v37, 0xbfb8aa3b, v75
	v_cvt_i32_f32_e32 v38, v38
	v_exp_f32_e32 v36, v36
	v_fma_f32 v39, v75, s38, -v37
	v_rndne_f32_e32 v44, v37
	v_fmac_f32_e32 v39, 0xb2a5705f, v75
	v_sub_f32_e32 v37, v37, v44
	v_add_f32_e32 v37, v37, v39
	v_ldexp_f32 v36, v36, v38
	v_cvt_i32_f32_e32 v38, v44
	v_exp_f32_e32 v37, v37
	v_pk_add_f32 v[34:35], v[46:47], v[34:35]
	v_cndmask_b32_e64 v36, 0, v36, s[0:1]
	v_cmp_nlt_f32_e64 s[0:1], s39, v72
	v_ldexp_f32 v37, v37, v38
	v_mul_f32_e32 v38, 0xbfb8aa3b, v72
	v_fma_f32 v39, v72, s38, -v38
	v_rndne_f32_e32 v44, v38
	v_fmac_f32_e32 v39, 0xb2a5705f, v72
	v_sub_f32_e32 v38, v38, v44
	v_add_f32_e32 v38, v38, v39
	v_mul_f32_e32 v39, 0xbfb8aa3b, v73
	v_cvt_i32_f32_e32 v44, v44
	v_exp_f32_e32 v38, v38
	v_fma_f32 v45, v73, s38, -v39
	v_rndne_f32_e32 v46, v39
	v_fmac_f32_e32 v45, 0xb2a5705f, v73
	v_sub_f32_e32 v39, v39, v46
	v_add_f32_e32 v39, v39, v45
	v_ldexp_f32 v38, v38, v44
	v_cvt_i32_f32_e32 v44, v46
	v_exp_f32_e32 v39, v39
	v_cndmask_b32_e32 v37, 0, v37, vcc
	v_cmp_nlt_f32_e32 vcc, s39, v73
	v_cndmask_b32_e64 v36, v76, v36, s[4:5]
	v_ldexp_f32 v39, v39, v44
	v_mul_f32_e32 v44, 0xbfb8aa3b, v70
	v_fma_f32 v45, v70, s38, -v44
	v_rndne_f32_e32 v46, v44
	v_fmac_f32_e32 v45, 0xb2a5705f, v70
	v_sub_f32_e32 v44, v44, v46
	v_add_f32_e32 v44, v44, v45
	v_mul_f32_e32 v45, 0xbfb8aa3b, v71
	v_cvt_i32_f32_e32 v46, v46
	v_exp_f32_e32 v44, v44
	v_fma_f32 v47, v71, s38, -v45
	v_rndne_f32_e32 v50, v45
	v_fmac_f32_e32 v47, 0xb2a5705f, v71
	v_sub_f32_e32 v45, v45, v50
	v_add_f32_e32 v45, v45, v47
	v_ldexp_f32 v44, v44, v46
	v_cvt_i32_f32_e32 v46, v50
	v_exp_f32_e32 v45, v45
	v_cndmask_b32_e64 v37, v76, v37, s[2:3]
	v_cmp_ngt_f32_e64 s[2:3], s40, v73
	v_cmp_ngt_f32_e64 s[4:5], s40, v72
	v_cndmask_b32_e64 v38, 0, v38, s[0:1]
	v_cndmask_b32_e32 v39, 0, v39, vcc
	v_ldexp_f32 v45, v45, v46
	v_cmp_nlt_f32_e32 vcc, s39, v71
	v_cmp_nlt_f32_e64 s[0:1], s39, v70
	v_cndmask_b32_e64 v38, v76, v38, s[4:5]
	v_cndmask_b32_e64 v39, v76, v39, s[2:3]
	v_cmp_ngt_f32_e64 s[2:3], s40, v71
	v_cmp_ngt_f32_e64 s[4:5], s40, v70
	v_cndmask_b32_e64 v44, 0, v44, s[0:1]
	v_cndmask_b32_e32 v45, 0, v45, vcc
	v_cndmask_b32_e64 v44, v76, v44, s[4:5]
	v_cndmask_b32_e64 v45, v76, v45, s[2:3]
	v_add_f32_e32 v44, 1.0, v44
	v_add_f32_e32 v45, 1.0, v45
	v_mul_f32_e32 v46, 0xbfb8aa3b, v68
	v_rcp_f32_e32 v44, v44
	v_rcp_f32_e32 v45, v45
	v_fma_f32 v47, v68, s38, -v46
	v_rndne_f32_e32 v50, v46
	v_fmac_f32_e32 v47, 0xb2a5705f, v68
	v_sub_f32_e32 v46, v46, v50
	v_add_f32_e32 v46, v46, v47
	v_mul_f32_e32 v47, 0xbfb8aa3b, v69
	v_cvt_i32_f32_e32 v50, v50
	v_exp_f32_e32 v46, v46
	v_pk_mul_f32 v[44:45], v[70:71], v[44:45]
	v_fma_f32 v51, v69, s38, -v47
	v_rndne_f32_e32 v70, v47
	v_fmac_f32_e32 v51, 0xb2a5705f, v69
	v_sub_f32_e32 v47, v47, v70
	v_add_f32_e32 v47, v47, v51
	v_ldexp_f32 v46, v46, v50
	v_cvt_i32_f32_e32 v50, v70
	v_exp_f32_e32 v47, v47
	v_cmp_nlt_f32_e32 vcc, s39, v69
	v_cmp_nlt_f32_e64 s[0:1], s39, v68
	v_cmp_ngt_f32_e64 s[2:3], s40, v69
	v_ldexp_f32 v47, v47, v50
	v_cmp_ngt_f32_e64 s[4:5], s40, v68
	v_cndmask_b32_e64 v46, 0, v46, s[0:1]
	v_cndmask_b32_e32 v47, 0, v47, vcc
	v_cndmask_b32_e64 v46, v76, v46, s[4:5]
	v_cndmask_b32_e64 v47, v76, v47, s[2:3]
	v_add_f32_e32 v46, 1.0, v46
	v_add_f32_e32 v47, 1.0, v47
	v_rcp_f32_e32 v46, v46
	v_rcp_f32_e32 v47, v47
	v_mul_f32_e32 v50, 0xbfb8aa3b, v66
	v_fma_f32 v51, v66, s38, -v50
	v_fmac_f32_e32 v51, 0xb2a5705f, v66
	v_pk_mul_f32 v[46:47], v[68:69], v[46:47]
	v_rndne_f32_e32 v68, v50
	v_sub_f32_e32 v50, v50, v68
	v_add_f32_e32 v50, v50, v51
	v_mul_f32_e32 v51, 0xbfb8aa3b, v67
	v_cvt_i32_f32_e32 v68, v68
	v_exp_f32_e32 v50, v50
	v_fma_f32 v69, v67, s38, -v51
	v_rndne_f32_e32 v70, v51
	v_fmac_f32_e32 v69, 0xb2a5705f, v67
	v_sub_f32_e32 v51, v51, v70
	v_add_f32_e32 v51, v51, v69
	v_ldexp_f32 v50, v50, v68
	v_cvt_i32_f32_e32 v68, v70
	v_exp_f32_e32 v51, v51
	v_cmp_nlt_f32_e32 vcc, s39, v67
	v_cmp_nlt_f32_e64 s[0:1], s39, v66
	v_cmp_ngt_f32_e64 s[2:3], s40, v67
	v_ldexp_f32 v51, v51, v68
	v_cmp_ngt_f32_e64 s[4:5], s40, v66
	v_cndmask_b32_e64 v50, 0, v50, s[0:1]
	v_cndmask_b32_e32 v51, 0, v51, vcc
	v_cndmask_b32_e64 v50, v76, v50, s[4:5]
	v_cndmask_b32_e64 v51, v76, v51, s[2:3]
	v_add_f32_e32 v50, 1.0, v50
	v_add_f32_e32 v51, 1.0, v51
	v_rcp_f32_e32 v50, v50
	v_rcp_f32_e32 v51, v51
	v_cmp_nlt_f32_e32 vcc, s39, v55
	v_cmp_nlt_f32_e64 s[0:1], s39, v54
	v_cmp_ngt_f32_e64 s[2:3], s40, v55
	v_pk_mul_f32 v[50:51], v[66:67], v[50:51]
	v_mul_f32_e32 v66, 0xbfb8aa3b, v54
	v_fma_f32 v67, v54, s38, -v66
	v_rndne_f32_e32 v68, v66
	v_fmac_f32_e32 v67, 0xb2a5705f, v54
	v_sub_f32_e32 v66, v66, v68
	v_add_f32_e32 v66, v66, v67
	v_mul_f32_e32 v67, 0xbfb8aa3b, v55
	v_cvt_i32_f32_e32 v68, v68
	v_exp_f32_e32 v66, v66
	v_fma_f32 v69, v55, s38, -v67
	v_rndne_f32_e32 v70, v67
	v_fmac_f32_e32 v69, 0xb2a5705f, v55
	v_sub_f32_e32 v67, v67, v70
	v_add_f32_e32 v67, v67, v69
	v_ldexp_f32 v66, v66, v68
	v_cvt_i32_f32_e32 v68, v70
	v_exp_f32_e32 v67, v67
	v_cmp_ngt_f32_e64 s[4:5], s40, v54
	v_cndmask_b32_e64 v66, 0, v66, s[0:1]
	v_cmp_nlt_f32_e64 s[0:1], s39, v58
	v_ldexp_f32 v67, v67, v68
	v_cndmask_b32_e32 v67, 0, v67, vcc
	v_cndmask_b32_e64 v66, v76, v66, s[4:5]
	v_cndmask_b32_e64 v67, v76, v67, s[2:3]
	v_add_f32_e32 v66, 1.0, v66
	v_add_f32_e32 v67, 1.0, v67
	v_rcp_f32_e32 v66, v66
	v_rcp_f32_e32 v67, v67
	v_cmp_nlt_f32_e32 vcc, s39, v59
	v_cmp_ngt_f32_e64 s[2:3], s40, v59
	v_cmp_ngt_f32_e64 s[4:5], s40, v58
	v_pk_mul_f32 v[54:55], v[54:55], v[66:67]
	v_mul_f32_e32 v66, 0xbfb8aa3b, v58
	v_fma_f32 v67, v58, s38, -v66
	v_rndne_f32_e32 v68, v66
	v_fmac_f32_e32 v67, 0xb2a5705f, v58
	v_sub_f32_e32 v66, v66, v68
	v_add_f32_e32 v66, v66, v67
	v_mul_f32_e32 v67, 0xbfb8aa3b, v59
	v_cvt_i32_f32_e32 v68, v68
	v_exp_f32_e32 v66, v66
	v_fma_f32 v69, v59, s38, -v67
	v_rndne_f32_e32 v70, v67
	v_fmac_f32_e32 v69, 0xb2a5705f, v59
	v_sub_f32_e32 v67, v67, v70
	v_add_f32_e32 v67, v67, v69
	v_ldexp_f32 v66, v66, v68
	v_cvt_i32_f32_e32 v68, v70
	v_exp_f32_e32 v67, v67
	v_cndmask_b32_e64 v66, 0, v66, s[0:1]
	v_cndmask_b32_e64 v66, v76, v66, s[4:5]
	v_add_f32_e32 v66, 1.0, v66
	v_ldexp_f32 v67, v67, v68
	v_cndmask_b32_e32 v67, 0, v67, vcc
	v_cndmask_b32_e64 v67, v76, v67, s[2:3]
	v_add_f32_e32 v67, 1.0, v67
	v_rcp_f32_e32 v66, v66
	v_rcp_f32_e32 v67, v67
	v_cmp_nlt_f32_e32 vcc, s39, v63
	v_cmp_nlt_f32_e64 s[0:1], s39, v62
	v_cmp_ngt_f32_e64 s[2:3], s40, v63
	v_pk_mul_f32 v[58:59], v[58:59], v[66:67]
	v_mul_f32_e32 v66, 0xbfb8aa3b, v62
	v_fma_f32 v67, v62, s38, -v66
	v_rndne_f32_e32 v68, v66
	v_fmac_f32_e32 v67, 0xb2a5705f, v62
	v_sub_f32_e32 v66, v66, v68
	v_add_f32_e32 v66, v66, v67
	v_mul_f32_e32 v67, 0xbfb8aa3b, v63
	v_cvt_i32_f32_e32 v68, v68
	v_exp_f32_e32 v66, v66
	v_fma_f32 v69, v63, s38, -v67
	v_rndne_f32_e32 v70, v67
	v_fmac_f32_e32 v69, 0xb2a5705f, v63
	v_sub_f32_e32 v67, v67, v70
	v_add_f32_e32 v67, v67, v69
	v_ldexp_f32 v66, v66, v68
	v_cvt_i32_f32_e32 v68, v70
	v_exp_f32_e32 v67, v67
	v_cmp_ngt_f32_e64 s[4:5], s40, v62
	v_cndmask_b32_e64 v66, 0, v66, s[0:1]
	v_cmp_nlt_f32_e64 s[0:1], s39, v64
	v_ldexp_f32 v67, v67, v68
	v_cndmask_b32_e32 v67, 0, v67, vcc
	v_cndmask_b32_e64 v66, v76, v66, s[4:5]
	v_cndmask_b32_e64 v67, v76, v67, s[2:3]
	v_add_f32_e32 v66, 1.0, v66
	v_add_f32_e32 v67, 1.0, v67
	v_rcp_f32_e32 v66, v66
	v_rcp_f32_e32 v67, v67
	v_cmp_nlt_f32_e32 vcc, s39, v65
	v_cmp_ngt_f32_e64 s[2:3], s40, v65
	v_cmp_ngt_f32_e64 s[4:5], s40, v64
	v_pk_mul_f32 v[62:63], v[62:63], v[66:67]
	v_mul_f32_e32 v66, 0xbfb8aa3b, v64
	v_fma_f32 v67, v64, s38, -v66
	v_rndne_f32_e32 v68, v66
	v_fmac_f32_e32 v67, 0xb2a5705f, v64
	v_sub_f32_e32 v66, v66, v68
	v_add_f32_e32 v66, v66, v67
	v_mul_f32_e32 v67, 0xbfb8aa3b, v65
	v_cvt_i32_f32_e32 v68, v68
	v_exp_f32_e32 v66, v66
	v_fma_f32 v69, v65, s38, -v67
	v_rndne_f32_e32 v70, v67
	v_fmac_f32_e32 v69, 0xb2a5705f, v65
	v_sub_f32_e32 v67, v67, v70
	v_add_f32_e32 v67, v67, v69
	v_ldexp_f32 v66, v66, v68
	v_cvt_i32_f32_e32 v68, v70
	v_exp_f32_e32 v67, v67
	v_cndmask_b32_e64 v66, 0, v66, s[0:1]
	v_cndmask_b32_e64 v66, v76, v66, s[4:5]
	v_add_f32_e32 v66, 1.0, v66
	v_ldexp_f32 v67, v67, v68
	v_cndmask_b32_e32 v67, 0, v67, vcc
	v_cndmask_b32_e64 v67, v76, v67, s[2:3]
	v_add_f32_e32 v67, 1.0, v67
	v_rcp_f32_e32 v66, v66
	v_rcp_f32_e32 v67, v67
	v_cmp_nlt_f32_e32 vcc, s39, v61
	v_cmp_nlt_f32_e64 s[0:1], s39, v60
	v_cmp_ngt_f32_e64 s[2:3], s40, v61
	v_pk_mul_f32 v[64:65], v[64:65], v[66:67]
	v_mul_f32_e32 v66, 0xbfb8aa3b, v60
	v_fma_f32 v67, v60, s38, -v66
	v_rndne_f32_e32 v68, v66
	v_fmac_f32_e32 v67, 0xb2a5705f, v60
	v_sub_f32_e32 v66, v66, v68
	v_add_f32_e32 v66, v66, v67
	v_mul_f32_e32 v67, 0xbfb8aa3b, v61
	v_cvt_i32_f32_e32 v68, v68
	v_exp_f32_e32 v66, v66
	v_fma_f32 v69, v61, s38, -v67
	v_rndne_f32_e32 v70, v67
	v_fmac_f32_e32 v69, 0xb2a5705f, v61
	v_sub_f32_e32 v67, v67, v70
	v_add_f32_e32 v67, v67, v69
	v_ldexp_f32 v66, v66, v68
	v_cvt_i32_f32_e32 v68, v70
	v_exp_f32_e32 v67, v67
	v_cmp_ngt_f32_e64 s[4:5], s40, v60
	v_cndmask_b32_e64 v66, 0, v66, s[0:1]
	v_cmp_nlt_f32_e64 s[0:1], s39, v56
	v_ldexp_f32 v67, v67, v68
	v_cndmask_b32_e32 v67, 0, v67, vcc
	v_cndmask_b32_e64 v66, v76, v66, s[4:5]
	v_cndmask_b32_e64 v67, v76, v67, s[2:3]
	v_add_f32_e32 v66, 1.0, v66
	v_add_f32_e32 v67, 1.0, v67
	v_rcp_f32_e32 v66, v66
	v_rcp_f32_e32 v67, v67
	v_cmp_nlt_f32_e32 vcc, s39, v57
	v_cmp_ngt_f32_e64 s[2:3], s40, v57
	v_cmp_ngt_f32_e64 s[4:5], s40, v56
	v_pk_mul_f32 v[60:61], v[60:61], v[66:67]
	v_mul_f32_e32 v66, 0xbfb8aa3b, v56
	v_fma_f32 v67, v56, s38, -v66
	v_rndne_f32_e32 v68, v66
	v_fmac_f32_e32 v67, 0xb2a5705f, v56
	v_sub_f32_e32 v66, v66, v68
	v_add_f32_e32 v66, v66, v67
	v_mul_f32_e32 v67, 0xbfb8aa3b, v57
	v_cvt_i32_f32_e32 v68, v68
	v_exp_f32_e32 v66, v66
	v_fma_f32 v69, v57, s38, -v67
	v_rndne_f32_e32 v70, v67
	v_fmac_f32_e32 v69, 0xb2a5705f, v57
	v_sub_f32_e32 v67, v67, v70
	v_add_f32_e32 v67, v67, v69
	v_ldexp_f32 v66, v66, v68
	v_cvt_i32_f32_e32 v68, v70
	v_exp_f32_e32 v67, v67
	v_cndmask_b32_e64 v66, 0, v66, s[0:1]
	v_cndmask_b32_e64 v66, v76, v66, s[4:5]
	v_add_f32_e32 v66, 1.0, v66
	v_ldexp_f32 v67, v67, v68
	v_cndmask_b32_e32 v67, 0, v67, vcc
	v_cndmask_b32_e64 v67, v76, v67, s[2:3]
	v_add_f32_e32 v67, 1.0, v67
	v_rcp_f32_e32 v66, v66
	v_rcp_f32_e32 v67, v67
	v_cmp_nlt_f32_e32 vcc, s39, v53
	v_cmp_nlt_f32_e64 s[0:1], s39, v52
	v_cmp_ngt_f32_e64 s[2:3], s40, v53
	v_pk_mul_f32 v[56:57], v[56:57], v[66:67]
	v_mul_f32_e32 v66, 0xbfb8aa3b, v52
	v_fma_f32 v67, v52, s38, -v66
	v_rndne_f32_e32 v68, v66
	v_fmac_f32_e32 v67, 0xb2a5705f, v52
	v_sub_f32_e32 v66, v66, v68
	v_add_f32_e32 v66, v66, v67
	v_mul_f32_e32 v67, 0xbfb8aa3b, v53
	v_cvt_i32_f32_e32 v68, v68
	v_exp_f32_e32 v66, v66
	v_fma_f32 v69, v53, s38, -v67
	v_rndne_f32_e32 v70, v67
	v_fmac_f32_e32 v69, 0xb2a5705f, v53
	v_sub_f32_e32 v67, v67, v70
	v_add_f32_e32 v67, v67, v69
	v_ldexp_f32 v66, v66, v68
	v_cvt_i32_f32_e32 v68, v70
	v_exp_f32_e32 v67, v67
	v_cmp_ngt_f32_e64 s[4:5], s40, v52
	v_cndmask_b32_e64 v66, 0, v66, s[0:1]
	v_cmp_nlt_f32_e64 s[0:1], s39, v48
	v_ldexp_f32 v67, v67, v68
	v_cndmask_b32_e32 v67, 0, v67, vcc
	v_cndmask_b32_e64 v66, v76, v66, s[4:5]
	v_cndmask_b32_e64 v67, v76, v67, s[2:3]
	v_add_f32_e32 v66, 1.0, v66
	v_add_f32_e32 v67, 1.0, v67
	v_rcp_f32_e32 v66, v66
	v_rcp_f32_e32 v67, v67
	v_cmp_nlt_f32_e32 vcc, s39, v49
	v_cmp_ngt_f32_e64 s[2:3], s40, v49
	v_cmp_ngt_f32_e64 s[4:5], s40, v48
	v_pk_mul_f32 v[52:53], v[52:53], v[66:67]
	v_mul_f32_e32 v66, 0xbfb8aa3b, v48
	v_fma_f32 v67, v48, s38, -v66
	v_rndne_f32_e32 v68, v66
	v_fmac_f32_e32 v67, 0xb2a5705f, v48
	v_sub_f32_e32 v66, v66, v68
	v_add_f32_e32 v66, v66, v67
	v_mul_f32_e32 v67, 0xbfb8aa3b, v49
	v_cvt_i32_f32_e32 v68, v68
	v_exp_f32_e32 v66, v66
	v_fma_f32 v69, v49, s38, -v67
	v_rndne_f32_e32 v70, v67
	v_fmac_f32_e32 v69, 0xb2a5705f, v49
	v_sub_f32_e32 v67, v67, v70
	v_add_f32_e32 v67, v67, v69
	v_ldexp_f32 v66, v66, v68
	v_cvt_i32_f32_e32 v68, v70
	v_exp_f32_e32 v67, v67
	v_cndmask_b32_e64 v66, 0, v66, s[0:1]
	v_cndmask_b32_e64 v66, v76, v66, s[4:5]
	v_add_f32_e32 v66, 1.0, v66
	v_ldexp_f32 v67, v67, v68
	v_cndmask_b32_e32 v67, 0, v67, vcc
	v_cndmask_b32_e64 v67, v76, v67, s[2:3]
	v_add_f32_e32 v67, 1.0, v67
	v_rcp_f32_e32 v66, v66
	v_rcp_f32_e32 v67, v67
	v_cmp_nlt_f32_e32 vcc, s39, v43
	v_cmp_nlt_f32_e64 s[0:1], s39, v42
	v_cmp_ngt_f32_e64 s[2:3], s40, v43
	v_pk_mul_f32 v[48:49], v[48:49], v[66:67]
	v_mul_f32_e32 v66, 0xbfb8aa3b, v42
	v_fma_f32 v67, v42, s38, -v66
	v_rndne_f32_e32 v68, v66
	v_fmac_f32_e32 v67, 0xb2a5705f, v42
	v_sub_f32_e32 v66, v66, v68
	v_add_f32_e32 v66, v66, v67
	v_mul_f32_e32 v67, 0xbfb8aa3b, v43
	v_cvt_i32_f32_e32 v68, v68
	v_exp_f32_e32 v66, v66
	v_fma_f32 v69, v43, s38, -v67
	v_rndne_f32_e32 v70, v67
	v_fmac_f32_e32 v69, 0xb2a5705f, v43
	v_sub_f32_e32 v67, v67, v70
	v_add_f32_e32 v67, v67, v69
	v_ldexp_f32 v66, v66, v68
	v_cvt_i32_f32_e32 v68, v70
	v_exp_f32_e32 v67, v67
	v_cmp_ngt_f32_e64 s[4:5], s40, v42
	v_cndmask_b32_e64 v66, 0, v66, s[0:1]
	v_cmp_nlt_f32_e64 s[0:1], s39, v40
	v_ldexp_f32 v67, v67, v68
	v_cndmask_b32_e32 v67, 0, v67, vcc
	v_cndmask_b32_e64 v66, v76, v66, s[4:5]
	v_cndmask_b32_e64 v67, v76, v67, s[2:3]
	v_add_f32_e32 v66, 1.0, v66
	v_add_f32_e32 v67, 1.0, v67
	v_rcp_f32_e32 v66, v66
	v_rcp_f32_e32 v67, v67
	v_cmp_nlt_f32_e32 vcc, s39, v41
	v_cmp_ngt_f32_e64 s[2:3], s40, v41
	v_cmp_ngt_f32_e64 s[4:5], s40, v40
	v_pk_mul_f32 v[42:43], v[42:43], v[66:67]
	v_mul_f32_e32 v66, 0xbfb8aa3b, v40
	v_fma_f32 v67, v40, s38, -v66
	v_rndne_f32_e32 v68, v66
	v_fmac_f32_e32 v67, 0xb2a5705f, v40
	v_sub_f32_e32 v66, v66, v68
	v_add_f32_e32 v66, v66, v67
	v_mul_f32_e32 v67, 0xbfb8aa3b, v41
	v_cvt_i32_f32_e32 v68, v68
	v_exp_f32_e32 v66, v66
	v_fma_f32 v69, v41, s38, -v67
	v_rndne_f32_e32 v70, v67
	v_fmac_f32_e32 v69, 0xb2a5705f, v41
	v_sub_f32_e32 v67, v67, v70
	v_add_f32_e32 v67, v67, v69
	v_ldexp_f32 v66, v66, v68
	v_cvt_i32_f32_e32 v68, v70
	v_exp_f32_e32 v67, v67
	v_cndmask_b32_e64 v66, 0, v66, s[0:1]
	v_cndmask_b32_e64 v66, v76, v66, s[4:5]
	v_add_f32_e32 v66, 1.0, v66
	v_ldexp_f32 v67, v67, v68
	v_cndmask_b32_e32 v67, 0, v67, vcc
	v_cndmask_b32_e64 v67, v76, v67, s[2:3]
	v_add_f32_e32 v67, 1.0, v67
	v_rcp_f32_e32 v66, v66
	v_rcp_f32_e32 v67, v67
	v_cmp_nlt_f32_e32 vcc, s39, v35
	v_cmp_nlt_f32_e64 s[0:1], s39, v34
	v_cmp_ngt_f32_e64 s[2:3], s40, v35
	v_pk_mul_f32 v[40:41], v[40:41], v[66:67]
	v_mul_f32_e32 v66, 0xbfb8aa3b, v34
	v_fma_f32 v67, v34, s38, -v66
	v_rndne_f32_e32 v68, v66
	v_fmac_f32_e32 v67, 0xb2a5705f, v34
	v_sub_f32_e32 v66, v66, v68
	v_add_f32_e32 v66, v66, v67
	v_mul_f32_e32 v67, 0xbfb8aa3b, v35
	v_cvt_i32_f32_e32 v68, v68
	v_exp_f32_e32 v66, v66
	v_fma_f32 v69, v35, s38, -v67
	v_rndne_f32_e32 v70, v67
	v_fmac_f32_e32 v69, 0xb2a5705f, v35
	v_sub_f32_e32 v67, v67, v70
	v_add_f32_e32 v67, v67, v69
	v_ldexp_f32 v66, v66, v68
	v_cvt_i32_f32_e32 v68, v70
	v_exp_f32_e32 v67, v67
	v_cmp_ngt_f32_e64 s[4:5], s40, v34
	v_cndmask_b32_e64 v66, 0, v66, s[0:1]
	v_add_f32_e32 v36, 1.0, v36
	v_ldexp_f32 v67, v67, v68
	v_cndmask_b32_e32 v67, 0, v67, vcc
	v_add_f32_e32 v37, 1.0, v37
	v_cndmask_b32_e64 v66, v76, v66, s[4:5]
	v_cndmask_b32_e64 v67, v76, v67, s[2:3]
	v_rcp_f32_e32 v36, v36
	v_rcp_f32_e32 v37, v37
	v_add_f32_e32 v38, 1.0, v38
	v_add_f32_e32 v39, 1.0, v39
	;; [unrolled: 1-line block ×4, first 2 shown]
	v_rcp_f32_e32 v38, v38
	v_rcp_f32_e32 v39, v39
	;; [unrolled: 1-line block ×4, first 2 shown]
	v_pk_mul_f32 v[36:37], v[74:75], v[36:37]
	v_pk_mul_f32 v[38:39], v[72:73], v[38:39]
	;;#ASMSTART
	v_pk_mul_f32 v[36:37], v[36:37], v[0:1]
	;;#ASMEND
	v_pk_mul_f32 v[34:35], v[34:35], v[66:67]
	;;#ASMSTART
	v_pk_mul_f32 v[0:1], v[38:39], v[2:3]
	;;#ASMEND
	;;#ASMSTART
	v_pk_mul_f32 v[6:7], v[44:45], v[6:7]
	;;#ASMEND
	;; [unrolled: 3-line block ×14, first 2 shown]
	s_nop 0
	;;#ASMSTART
	v_pk_mul_f32 v[30:31], v[34:35], v[32:33]
	;;#ASMEND
	s_load_dword s0, s[28:29], 0xc
	v_perm_b32 v1, v1, v0, s41
	v_perm_b32 v3, v3, v2, s41
	;; [unrolled: 1-line block ×4, first 2 shown]
	s_waitcnt lgkmcnt(0)
	s_and_b32 s0, s0, 0xffff
	s_lshl_b32 s34, s0, 5
	v_lshl_add_u64 v[4:5], s[34:35], 0, v[4:5]
	v_cmp_le_i64_e32 vcc, s[6:7], v[4:5]
	v_perm_b32 v7, v9, v8, s41
	v_perm_b32 v9, v15, v14, s41
	;; [unrolled: 1-line block ×8, first 2 shown]
	s_or_b64 s[30:31], vcc, s[30:31]
	v_perm_b32 v8, v13, v12, s41
	v_perm_b32 v11, v19, v18, s41
	;; [unrolled: 1-line block ×4, first 2 shown]
	buffer_store_dwordx4 v[0:3], v77, s[8:11], 0 offen
	buffer_store_dwordx4 v[6:9], v77, s[8:11], 16 offen
	;; [unrolled: 1-line block ×4, first 2 shown]
	s_andn2_b64 exec, exec, s[30:31]
	s_cbranch_execnz .LBB184_8
.LBB184_9:
	s_endpgm
	.section	.rodata,"a",@progbits
	.p2align	6, 0x0
	.amdhsa_kernel _ZN5aiter23act_and_mul_bias_kernelIttifTnPFfRKT2_EXadL_ZNS_11silu_kernelIfEEfRKT_EELi32EEEvPT0_PS8_PKT1_PS2_il
		.amdhsa_group_segment_fixed_size 0
		.amdhsa_private_segment_fixed_size 0
		.amdhsa_kernarg_size 304
		.amdhsa_user_sgpr_count 2
		.amdhsa_user_sgpr_dispatch_ptr 0
		.amdhsa_user_sgpr_queue_ptr 0
		.amdhsa_user_sgpr_kernarg_segment_ptr 1
		.amdhsa_user_sgpr_dispatch_id 0
		.amdhsa_user_sgpr_kernarg_preload_length 0
		.amdhsa_user_sgpr_kernarg_preload_offset 0
		.amdhsa_user_sgpr_private_segment_size 0
		.amdhsa_uses_dynamic_stack 0
		.amdhsa_enable_private_segment 0
		.amdhsa_system_sgpr_workgroup_id_x 1
		.amdhsa_system_sgpr_workgroup_id_y 0
		.amdhsa_system_sgpr_workgroup_id_z 0
		.amdhsa_system_sgpr_workgroup_info 0
		.amdhsa_system_vgpr_workitem_id 0
		.amdhsa_next_free_vgpr 83
		.amdhsa_next_free_sgpr 42
		.amdhsa_accum_offset 84
		.amdhsa_reserve_vcc 1
		.amdhsa_float_round_mode_32 0
		.amdhsa_float_round_mode_16_64 0
		.amdhsa_float_denorm_mode_32 3
		.amdhsa_float_denorm_mode_16_64 3
		.amdhsa_dx10_clamp 1
		.amdhsa_ieee_mode 1
		.amdhsa_fp16_overflow 0
		.amdhsa_tg_split 0
		.amdhsa_exception_fp_ieee_invalid_op 0
		.amdhsa_exception_fp_denorm_src 0
		.amdhsa_exception_fp_ieee_div_zero 0
		.amdhsa_exception_fp_ieee_overflow 0
		.amdhsa_exception_fp_ieee_underflow 0
		.amdhsa_exception_fp_ieee_inexact 0
		.amdhsa_exception_int_div_zero 0
	.end_amdhsa_kernel
	.section	.text._ZN5aiter23act_and_mul_bias_kernelIttifTnPFfRKT2_EXadL_ZNS_11silu_kernelIfEEfRKT_EELi32EEEvPT0_PS8_PKT1_PS2_il,"axG",@progbits,_ZN5aiter23act_and_mul_bias_kernelIttifTnPFfRKT2_EXadL_ZNS_11silu_kernelIfEEfRKT_EELi32EEEvPT0_PS8_PKT1_PS2_il,comdat
.Lfunc_end184:
	.size	_ZN5aiter23act_and_mul_bias_kernelIttifTnPFfRKT2_EXadL_ZNS_11silu_kernelIfEEfRKT_EELi32EEEvPT0_PS8_PKT1_PS2_il, .Lfunc_end184-_ZN5aiter23act_and_mul_bias_kernelIttifTnPFfRKT2_EXadL_ZNS_11silu_kernelIfEEfRKT_EELi32EEEvPT0_PS8_PKT1_PS2_il
                                        ; -- End function
	.section	.AMDGPU.csdata,"",@progbits
; Kernel info:
; codeLenInByte = 4800
; NumSgprs: 48
; NumVgprs: 83
; NumAgprs: 0
; TotalNumVgprs: 83
; ScratchSize: 0
; MemoryBound: 0
; FloatMode: 240
; IeeeMode: 1
; LDSByteSize: 0 bytes/workgroup (compile time only)
; SGPRBlocks: 5
; VGPRBlocks: 10
; NumSGPRsForWavesPerEU: 48
; NumVGPRsForWavesPerEU: 83
; AccumOffset: 84
; Occupancy: 5
; WaveLimiterHint : 0
; COMPUTE_PGM_RSRC2:SCRATCH_EN: 0
; COMPUTE_PGM_RSRC2:USER_SGPR: 2
; COMPUTE_PGM_RSRC2:TRAP_HANDLER: 0
; COMPUTE_PGM_RSRC2:TGID_X_EN: 1
; COMPUTE_PGM_RSRC2:TGID_Y_EN: 0
; COMPUTE_PGM_RSRC2:TGID_Z_EN: 0
; COMPUTE_PGM_RSRC2:TIDIG_COMP_CNT: 0
; COMPUTE_PGM_RSRC3_GFX90A:ACCUM_OFFSET: 20
; COMPUTE_PGM_RSRC3_GFX90A:TG_SPLIT: 0
	.section	.text._ZN5aiter23act_and_mul_bias_kernelIttifTnPFfRKT2_EXadL_ZNS_11silu_kernelIfEEfRKT_EELi16EEEvPT0_PS8_PKT1_PS2_il,"axG",@progbits,_ZN5aiter23act_and_mul_bias_kernelIttifTnPFfRKT2_EXadL_ZNS_11silu_kernelIfEEfRKT_EELi16EEEvPT0_PS8_PKT1_PS2_il,comdat
	.protected	_ZN5aiter23act_and_mul_bias_kernelIttifTnPFfRKT2_EXadL_ZNS_11silu_kernelIfEEfRKT_EELi16EEEvPT0_PS8_PKT1_PS2_il ; -- Begin function _ZN5aiter23act_and_mul_bias_kernelIttifTnPFfRKT2_EXadL_ZNS_11silu_kernelIfEEfRKT_EELi16EEEvPT0_PS8_PKT1_PS2_il
	.globl	_ZN5aiter23act_and_mul_bias_kernelIttifTnPFfRKT2_EXadL_ZNS_11silu_kernelIfEEfRKT_EELi16EEEvPT0_PS8_PKT1_PS2_il
	.p2align	8
	.type	_ZN5aiter23act_and_mul_bias_kernelIttifTnPFfRKT2_EXadL_ZNS_11silu_kernelIfEEfRKT_EELi16EEEvPT0_PS8_PKT1_PS2_il,@function
_ZN5aiter23act_and_mul_bias_kernelIttifTnPFfRKT2_EXadL_ZNS_11silu_kernelIfEEfRKT_EELi16EEEvPT0_PS8_PKT1_PS2_il: ; @_ZN5aiter23act_and_mul_bias_kernelIttifTnPFfRKT2_EXadL_ZNS_11silu_kernelIfEEfRKT_EELi16EEEvPT0_PS8_PKT1_PS2_il
; %bb.0:
	s_load_dword s24, s[0:1], 0x20
	s_load_dwordx2 s[4:5], s[0:1], 0x10
	s_load_dwordx2 s[12:13], s[0:1], 0x28
	s_mov_b32 s3, 0
	s_lshl_b64 s[6:7], s[2:3], 2
	s_waitcnt lgkmcnt(0)
	s_ashr_i32 s25, s24, 31
	s_add_u32 s4, s4, s6
	s_addc_u32 s5, s5, s7
	s_add_i32 s3, s24, 1
	s_load_dword s8, s[4:5], 0x0
	s_load_dwordx2 s[14:15], s[0:1], 0x0
	s_lshr_b32 s4, s3, 31
	s_add_i32 s3, s3, s4
	s_lshl_b32 s3, s3, 1
	s_and_b32 s6, s3, -4
	s_mul_hi_u32 s3, s24, s2
	s_mul_i32 s4, s25, s2
	s_add_i32 s5, s3, s4
	s_mul_i32 s4, s24, s2
	s_waitcnt lgkmcnt(0)
	s_ashr_i32 s9, s8, 31
	s_lshl_b64 s[4:5], s[4:5], 1
	v_mov_b64_e32 v[2:3], s[12:13]
	v_cmp_gt_i64_e64 s[16:17], s[8:9], -1
	s_add_u32 s4, s14, s4
	v_cmp_lt_i64_e32 vcc, s[8:9], v[2:3]
	s_addc_u32 s3, s15, s5
	s_and_b64 s[12:13], s[16:17], vcc
	s_mov_b64 s[10:11], -1
	s_and_b32 s5, s3, 0xffff
	s_and_b64 vcc, exec, s[12:13]
	v_lshlrev_b32_e32 v44, 4, v0
	s_cbranch_vccnz .LBB185_5
; %bb.1:
	v_cmp_gt_i32_e32 vcc, s24, v44
	s_and_saveexec_b64 s[10:11], vcc
	s_cbranch_execz .LBB185_4
; %bb.2:
	s_load_dword s3, s[0:1], 0x3c
	s_mov_b32 s13, 0
	s_mov_b32 s16, s13
	;; [unrolled: 1-line block ×3, first 2 shown]
	v_mov_b32_e32 v45, 0
	v_lshlrev_b32_e32 v6, 5, v0
	s_waitcnt lgkmcnt(0)
	s_and_b32 s3, s3, 0xffff
	s_mov_b32 s18, s13
	s_mov_b32 s19, s13
	v_mov_b64_e32 v[0:1], s[16:17]
	s_lshl_b32 s12, s3, 4
	s_lshl_b32 s3, s3, 5
	s_mov_b64 s[14:15], 0
	s_mov_b32 s7, 0x20000
	v_mov_b64_e32 v[2:3], s[18:19]
	v_mov_b64_e32 v[4:5], v[44:45]
.LBB185_3:                              ; =>This Inner Loop Header: Depth=1
	v_lshl_add_u64 v[4:5], s[12:13], 0, v[4:5]
	v_cmp_le_i64_e32 vcc, s[24:25], v[4:5]
	buffer_store_dwordx4 v[0:3], v6, s[4:7], 0 offen
	buffer_store_dwordx4 v[0:3], v6, s[4:7], 16 offen
	s_or_b64 s[14:15], vcc, s[14:15]
	v_add_u32_e32 v6, s3, v6
	s_andn2_b64 exec, exec, s[14:15]
	s_cbranch_execnz .LBB185_3
.LBB185_4:
	s_or_b64 exec, exec, s[10:11]
	s_mov_b64 s[10:11], 0
.LBB185_5:
	s_andn2_b64 vcc, exec, s[10:11]
	s_cbranch_vccnz .LBB185_9
; %bb.6:
	v_cmp_gt_i32_e32 vcc, s24, v44
	s_and_saveexec_b64 s[10:11], vcc
	s_cbranch_execz .LBB185_9
; %bb.7:
	s_load_dwordx2 s[10:11], s[0:1], 0x18
	s_load_dwordx2 s[14:15], s[0:1], 0x8
	s_mul_hi_i32 s9, s24, s8
	s_mul_i32 s8, s24, s8
	s_lshl_b64 s[8:9], s[8:9], 3
	s_waitcnt lgkmcnt(0)
	s_add_u32 s8, s10, s8
	s_addc_u32 s3, s11, s9
	s_lshl_b64 s[10:11], s[24:25], 2
	s_add_u32 s12, s8, s10
	s_addc_u32 s13, s3, s11
	s_and_b32 s9, s3, 0xffff
	s_mul_i32 s3, s2, s25
	s_mul_hi_u32 s16, s2, s24
	s_add_i32 s3, s16, s3
	s_mul_i32 s2, s2, s24
	s_lshl_b32 s10, s24, 2
	s_and_b32 s13, s13, 0xffff
	s_lshl_b64 s[2:3], s[2:3], 2
	s_add_u32 s16, s14, s2
	s_addc_u32 s14, s15, s3
	s_lshl_b64 s[2:3], s[24:25], 1
	s_add_u32 s20, s16, s2
	s_addc_u32 s2, s14, s3
	s_and_b32 s17, s14, 0xffff
	s_and_b32 s21, s2, 0xffff
	s_mov_b32 s7, 0x20000
	s_add_u32 s0, s0, 48
	s_mov_b32 s11, s7
	v_mov_b32_e32 v45, 0
	s_addc_u32 s1, s1, 0
	s_mov_b64 s[2:3], 0
	s_mov_b32 s18, s6
	s_mov_b32 s19, s7
	;; [unrolled: 1-line block ×6, first 2 shown]
	v_mov_b32_e32 v46, 0x7f800000
	s_mov_b32 s31, 0x7060302
	s_mov_b32 s22, s6
	;; [unrolled: 1-line block ×3, first 2 shown]
.LBB185_8:                              ; =>This Inner Loop Header: Depth=1
	v_lshlrev_b32_e32 v47, 1, v44
	buffer_load_dwordx4 v[24:27], v47, s[16:19], 0 offen
	buffer_load_dwordx4 v[4:7], v47, s[16:19], 16 offen
	;; [unrolled: 1-line block ×4, first 2 shown]
	v_lshlrev_b32_e32 v52, 2, v44
	s_mov_b32 s14, s10
	s_mov_b32 s15, s11
	buffer_load_dwordx4 v[40:43], v52, s[8:11], 0 offen
	buffer_load_dwordx4 v[28:31], v52, s[8:11], 16 offen
	;; [unrolled: 1-line block ×8, first 2 shown]
	s_waitcnt vmcnt(9)
	v_and_b32_e32 v53, 0xffff0000, v32
	v_lshlrev_b32_e32 v52, 16, v32
	s_waitcnt vmcnt(3)
	v_pk_add_f32 v[48:49], v[48:49], v[52:53]
	v_and_b32_e32 v53, 0xffff0000, v24
	v_lshlrev_b32_e32 v52, 16, v24
	v_pk_add_f32 v[40:41], v[40:41], v[52:53]
	s_nop 0
	v_mul_f32_e32 v24, 0xbfb8aa3b, v40
	v_fma_f32 v32, v40, s28, -v24
	v_rndne_f32_e32 v52, v24
	v_fmac_f32_e32 v32, 0xb2a5705f, v40
	v_sub_f32_e32 v24, v24, v52
	v_add_f32_e32 v24, v24, v32
	v_exp_f32_e32 v24, v24
	v_cvt_i32_f32_e32 v32, v52
	v_cmp_nlt_f32_e32 vcc, s29, v40
	v_ldexp_f32 v24, v24, v32
	s_nop 0
	v_cndmask_b32_e32 v24, 0, v24, vcc
	v_cmp_ngt_f32_e32 vcc, s30, v40
	s_nop 1
	v_cndmask_b32_e32 v24, v46, v24, vcc
	v_add_f32_e32 v24, 1.0, v24
	v_rcp_f32_e32 v52, v24
	v_mul_f32_e32 v24, 0xbfb8aa3b, v41
	v_fma_f32 v32, v41, s28, -v24
	v_rndne_f32_e32 v53, v24
	v_fmac_f32_e32 v32, 0xb2a5705f, v41
	v_sub_f32_e32 v24, v24, v53
	v_add_f32_e32 v24, v24, v32
	v_exp_f32_e32 v24, v24
	v_cvt_i32_f32_e32 v32, v53
	v_cmp_nlt_f32_e32 vcc, s29, v41
	v_ldexp_f32 v24, v24, v32
	s_nop 0
	v_cndmask_b32_e32 v24, 0, v24, vcc
	v_cmp_ngt_f32_e32 vcc, s30, v41
	s_nop 1
	v_cndmask_b32_e32 v24, v46, v24, vcc
	v_add_f32_e32 v24, 1.0, v24
	v_rcp_f32_e32 v53, v24
	s_nop 0
	v_pk_mul_f32 v[40:41], v[40:41], v[52:53]
	s_nop 0
	;;#ASMSTART
	v_pk_mul_f32 v[40:41], v[40:41], v[48:49]
	;;#ASMEND
	v_and_b32_e32 v49, 0xffff0000, v33
	v_lshlrev_b32_e32 v48, 16, v33
	v_pk_add_f32 v[32:33], v[50:51], v[48:49]
	v_and_b32_e32 v49, 0xffff0000, v25
	v_lshlrev_b32_e32 v48, 16, v25
	v_pk_add_f32 v[24:25], v[42:43], v[48:49]
	s_nop 0
	v_mul_f32_e32 v42, 0xbfb8aa3b, v24
	v_fma_f32 v43, v24, s28, -v42
	v_rndne_f32_e32 v48, v42
	v_fmac_f32_e32 v43, 0xb2a5705f, v24
	v_sub_f32_e32 v42, v42, v48
	v_add_f32_e32 v42, v42, v43
	v_exp_f32_e32 v42, v42
	v_cvt_i32_f32_e32 v43, v48
	v_cmp_nlt_f32_e32 vcc, s29, v24
	v_ldexp_f32 v42, v42, v43
	v_mul_f32_e32 v43, 0xbfb8aa3b, v25
	v_fma_f32 v48, v25, s28, -v43
	v_rndne_f32_e32 v49, v43
	v_fmac_f32_e32 v48, 0xb2a5705f, v25
	v_sub_f32_e32 v43, v43, v49
	v_add_f32_e32 v43, v43, v48
	v_exp_f32_e32 v43, v43
	v_cvt_i32_f32_e32 v48, v49
	v_cndmask_b32_e32 v42, 0, v42, vcc
	v_cmp_ngt_f32_e32 vcc, s30, v24
	v_ldexp_f32 v43, v43, v48
	s_nop 0
	v_cndmask_b32_e32 v42, v46, v42, vcc
	v_cmp_nlt_f32_e32 vcc, s29, v25
	v_add_f32_e32 v42, 1.0, v42
	v_rcp_f32_e32 v42, v42
	v_cndmask_b32_e32 v43, 0, v43, vcc
	v_cmp_ngt_f32_e32 vcc, s30, v25
	s_nop 1
	v_cndmask_b32_e32 v43, v46, v43, vcc
	v_add_f32_e32 v43, 1.0, v43
	v_rcp_f32_e32 v43, v43
	s_nop 0
	v_pk_mul_f32 v[24:25], v[24:25], v[42:43]
	s_nop 0
	;;#ASMSTART
	v_pk_mul_f32 v[24:25], v[24:25], v[32:33]
	;;#ASMEND
	v_and_b32_e32 v33, 0xffff0000, v34
	v_lshlrev_b32_e32 v32, 16, v34
	s_waitcnt vmcnt(2)
	v_pk_add_f32 v[32:33], v[36:37], v[32:33]
	v_and_b32_e32 v37, 0xffff0000, v26
	v_lshlrev_b32_e32 v36, 16, v26
	v_pk_add_f32 v[28:29], v[28:29], v[36:37]
	s_nop 0
	v_mul_f32_e32 v26, 0xbfb8aa3b, v28
	v_fma_f32 v34, v28, s28, -v26
	v_rndne_f32_e32 v36, v26
	v_fmac_f32_e32 v34, 0xb2a5705f, v28
	v_sub_f32_e32 v26, v26, v36
	v_add_f32_e32 v26, v26, v34
	v_exp_f32_e32 v26, v26
	v_cvt_i32_f32_e32 v34, v36
	v_cmp_nlt_f32_e32 vcc, s29, v28
	v_ldexp_f32 v26, v26, v34
	s_nop 0
	v_cndmask_b32_e32 v26, 0, v26, vcc
	v_cmp_ngt_f32_e32 vcc, s30, v28
	s_nop 1
	v_cndmask_b32_e32 v26, v46, v26, vcc
	v_add_f32_e32 v26, 1.0, v26
	v_rcp_f32_e32 v36, v26
	v_mul_f32_e32 v26, 0xbfb8aa3b, v29
	v_fma_f32 v34, v29, s28, -v26
	v_rndne_f32_e32 v37, v26
	v_fmac_f32_e32 v34, 0xb2a5705f, v29
	v_sub_f32_e32 v26, v26, v37
	v_add_f32_e32 v26, v26, v34
	v_exp_f32_e32 v26, v26
	v_cvt_i32_f32_e32 v34, v37
	v_cmp_nlt_f32_e32 vcc, s29, v29
	v_ldexp_f32 v26, v26, v34
	s_nop 0
	v_cndmask_b32_e32 v26, 0, v26, vcc
	v_cmp_ngt_f32_e32 vcc, s30, v29
	v_lshlrev_b32_e32 v34, 16, v27
	s_nop 0
	v_cndmask_b32_e32 v26, v46, v26, vcc
	v_add_f32_e32 v26, 1.0, v26
	v_rcp_f32_e32 v37, v26
	s_nop 0
	v_pk_mul_f32 v[28:29], v[28:29], v[36:37]
	s_nop 0
	;;#ASMSTART
	v_pk_mul_f32 v[28:29], v[28:29], v[32:33]
	;;#ASMEND
	v_and_b32_e32 v33, 0xffff0000, v35
	v_lshlrev_b32_e32 v32, 16, v35
	v_and_b32_e32 v35, 0xffff0000, v27
	v_pk_add_f32 v[26:27], v[30:31], v[34:35]
	v_pk_add_f32 v[32:33], v[38:39], v[32:33]
	v_mul_f32_e32 v30, 0xbfb8aa3b, v26
	v_fma_f32 v31, v26, s28, -v30
	v_rndne_f32_e32 v34, v30
	v_fmac_f32_e32 v31, 0xb2a5705f, v26
	v_sub_f32_e32 v30, v30, v34
	v_add_f32_e32 v30, v30, v31
	v_exp_f32_e32 v30, v30
	v_cvt_i32_f32_e32 v31, v34
	v_cmp_nlt_f32_e32 vcc, s29, v26
	v_ldexp_f32 v30, v30, v31
	v_mul_f32_e32 v31, 0xbfb8aa3b, v27
	v_fma_f32 v34, v27, s28, -v31
	v_rndne_f32_e32 v35, v31
	v_fmac_f32_e32 v34, 0xb2a5705f, v27
	v_sub_f32_e32 v31, v31, v35
	v_add_f32_e32 v31, v31, v34
	v_exp_f32_e32 v31, v31
	v_cvt_i32_f32_e32 v34, v35
	v_cndmask_b32_e32 v30, 0, v30, vcc
	v_cmp_ngt_f32_e32 vcc, s30, v26
	v_ldexp_f32 v31, v31, v34
	s_nop 0
	v_cndmask_b32_e32 v30, v46, v30, vcc
	v_cmp_nlt_f32_e32 vcc, s29, v27
	v_add_f32_e32 v30, 1.0, v30
	v_rcp_f32_e32 v30, v30
	v_cndmask_b32_e32 v31, 0, v31, vcc
	v_cmp_ngt_f32_e32 vcc, s30, v27
	s_nop 1
	v_cndmask_b32_e32 v31, v46, v31, vcc
	v_add_f32_e32 v31, 1.0, v31
	v_rcp_f32_e32 v31, v31
	s_nop 0
	v_pk_mul_f32 v[26:27], v[26:27], v[30:31]
	v_and_b32_e32 v31, 0xffff0000, v8
	v_lshlrev_b32_e32 v30, 16, v8
	s_waitcnt vmcnt(1)
	v_pk_add_f32 v[20:21], v[20:21], v[30:31]
	v_and_b32_e32 v31, 0xffff0000, v4
	v_lshlrev_b32_e32 v30, 16, v4
	v_pk_add_f32 v[16:17], v[16:17], v[30:31]
	;;#ASMSTART
	v_pk_mul_f32 v[26:27], v[26:27], v[32:33]
	;;#ASMEND
	s_nop 0
	v_mul_f32_e32 v4, 0xbfb8aa3b, v16
	v_fma_f32 v8, v16, s28, -v4
	v_rndne_f32_e32 v30, v4
	v_fmac_f32_e32 v8, 0xb2a5705f, v16
	v_sub_f32_e32 v4, v4, v30
	v_add_f32_e32 v4, v4, v8
	v_exp_f32_e32 v4, v4
	v_cvt_i32_f32_e32 v8, v30
	v_cmp_nlt_f32_e32 vcc, s29, v16
	v_ldexp_f32 v4, v4, v8
	s_nop 0
	v_cndmask_b32_e32 v4, 0, v4, vcc
	v_cmp_ngt_f32_e32 vcc, s30, v16
	s_nop 1
	v_cndmask_b32_e32 v4, v46, v4, vcc
	v_add_f32_e32 v4, 1.0, v4
	v_rcp_f32_e32 v30, v4
	v_mul_f32_e32 v4, 0xbfb8aa3b, v17
	v_fma_f32 v8, v17, s28, -v4
	v_rndne_f32_e32 v31, v4
	v_fmac_f32_e32 v8, 0xb2a5705f, v17
	v_sub_f32_e32 v4, v4, v31
	v_add_f32_e32 v4, v4, v8
	v_exp_f32_e32 v4, v4
	v_cvt_i32_f32_e32 v8, v31
	v_cmp_nlt_f32_e32 vcc, s29, v17
	v_ldexp_f32 v4, v4, v8
	s_nop 0
	v_cndmask_b32_e32 v4, 0, v4, vcc
	v_cmp_ngt_f32_e32 vcc, s30, v17
	s_nop 1
	v_cndmask_b32_e32 v4, v46, v4, vcc
	v_add_f32_e32 v4, 1.0, v4
	v_rcp_f32_e32 v31, v4
	s_nop 0
	v_pk_mul_f32 v[16:17], v[16:17], v[30:31]
	s_nop 0
	;;#ASMSTART
	v_pk_mul_f32 v[16:17], v[16:17], v[20:21]
	;;#ASMEND
	v_and_b32_e32 v21, 0xffff0000, v9
	v_lshlrev_b32_e32 v20, 16, v9
	v_pk_add_f32 v[8:9], v[22:23], v[20:21]
	v_and_b32_e32 v21, 0xffff0000, v5
	v_lshlrev_b32_e32 v20, 16, v5
	v_pk_add_f32 v[4:5], v[18:19], v[20:21]
	s_nop 0
	v_mul_f32_e32 v18, 0xbfb8aa3b, v4
	v_fma_f32 v19, v4, s28, -v18
	v_rndne_f32_e32 v20, v18
	v_fmac_f32_e32 v19, 0xb2a5705f, v4
	v_sub_f32_e32 v18, v18, v20
	v_add_f32_e32 v18, v18, v19
	v_exp_f32_e32 v18, v18
	v_cvt_i32_f32_e32 v19, v20
	v_cmp_nlt_f32_e32 vcc, s29, v4
	v_ldexp_f32 v18, v18, v19
	v_mul_f32_e32 v19, 0xbfb8aa3b, v5
	v_fma_f32 v20, v5, s28, -v19
	v_rndne_f32_e32 v21, v19
	v_fmac_f32_e32 v20, 0xb2a5705f, v5
	v_sub_f32_e32 v19, v19, v21
	v_add_f32_e32 v19, v19, v20
	v_exp_f32_e32 v19, v19
	v_cvt_i32_f32_e32 v20, v21
	v_cndmask_b32_e32 v18, 0, v18, vcc
	v_cmp_ngt_f32_e32 vcc, s30, v4
	v_ldexp_f32 v19, v19, v20
	s_nop 0
	v_cndmask_b32_e32 v18, v46, v18, vcc
	v_cmp_nlt_f32_e32 vcc, s29, v5
	v_add_f32_e32 v18, 1.0, v18
	v_rcp_f32_e32 v18, v18
	v_cndmask_b32_e32 v19, 0, v19, vcc
	v_cmp_ngt_f32_e32 vcc, s30, v5
	s_nop 1
	v_cndmask_b32_e32 v19, v46, v19, vcc
	v_add_f32_e32 v19, 1.0, v19
	v_rcp_f32_e32 v19, v19
	s_nop 0
	v_pk_mul_f32 v[4:5], v[4:5], v[18:19]
	s_nop 0
	;;#ASMSTART
	v_pk_mul_f32 v[4:5], v[4:5], v[8:9]
	;;#ASMEND
	v_and_b32_e32 v9, 0xffff0000, v10
	v_lshlrev_b32_e32 v8, 16, v10
	s_waitcnt vmcnt(0)
	v_pk_add_f32 v[8:9], v[12:13], v[8:9]
	v_and_b32_e32 v13, 0xffff0000, v6
	v_lshlrev_b32_e32 v12, 16, v6
	v_pk_add_f32 v[0:1], v[0:1], v[12:13]
	s_nop 0
	v_mul_f32_e32 v6, 0xbfb8aa3b, v0
	v_fma_f32 v10, v0, s28, -v6
	v_rndne_f32_e32 v12, v6
	v_fmac_f32_e32 v10, 0xb2a5705f, v0
	v_sub_f32_e32 v6, v6, v12
	v_add_f32_e32 v6, v6, v10
	v_exp_f32_e32 v6, v6
	v_cvt_i32_f32_e32 v10, v12
	v_cmp_nlt_f32_e32 vcc, s29, v0
	v_ldexp_f32 v6, v6, v10
	s_nop 0
	v_cndmask_b32_e32 v6, 0, v6, vcc
	v_cmp_ngt_f32_e32 vcc, s30, v0
	s_nop 1
	v_cndmask_b32_e32 v6, v46, v6, vcc
	v_add_f32_e32 v6, 1.0, v6
	v_rcp_f32_e32 v12, v6
	v_mul_f32_e32 v6, 0xbfb8aa3b, v1
	v_fma_f32 v10, v1, s28, -v6
	v_rndne_f32_e32 v13, v6
	v_fmac_f32_e32 v10, 0xb2a5705f, v1
	v_sub_f32_e32 v6, v6, v13
	v_add_f32_e32 v6, v6, v10
	v_exp_f32_e32 v6, v6
	v_cvt_i32_f32_e32 v10, v13
	v_cmp_nlt_f32_e32 vcc, s29, v1
	v_ldexp_f32 v6, v6, v10
	s_nop 0
	v_cndmask_b32_e32 v6, 0, v6, vcc
	v_cmp_ngt_f32_e32 vcc, s30, v1
	v_lshlrev_b32_e32 v10, 16, v7
	s_nop 0
	v_cndmask_b32_e32 v6, v46, v6, vcc
	v_add_f32_e32 v6, 1.0, v6
	v_rcp_f32_e32 v13, v6
	s_nop 0
	v_pk_mul_f32 v[0:1], v[0:1], v[12:13]
	s_nop 0
	;;#ASMSTART
	v_pk_mul_f32 v[0:1], v[0:1], v[8:9]
	;;#ASMEND
	v_and_b32_e32 v9, 0xffff0000, v11
	v_lshlrev_b32_e32 v8, 16, v11
	v_and_b32_e32 v11, 0xffff0000, v7
	v_pk_add_f32 v[2:3], v[2:3], v[10:11]
	v_pk_add_f32 v[8:9], v[14:15], v[8:9]
	v_mul_f32_e32 v6, 0xbfb8aa3b, v2
	v_fma_f32 v7, v2, s28, -v6
	v_rndne_f32_e32 v10, v6
	v_fmac_f32_e32 v7, 0xb2a5705f, v2
	v_sub_f32_e32 v6, v6, v10
	v_add_f32_e32 v6, v6, v7
	v_exp_f32_e32 v6, v6
	v_cvt_i32_f32_e32 v7, v10
	v_cmp_nlt_f32_e32 vcc, s29, v2
	v_ldexp_f32 v6, v6, v7
	v_mul_f32_e32 v7, 0xbfb8aa3b, v3
	v_fma_f32 v10, v3, s28, -v7
	v_rndne_f32_e32 v11, v7
	v_fmac_f32_e32 v10, 0xb2a5705f, v3
	v_sub_f32_e32 v7, v7, v11
	v_add_f32_e32 v7, v7, v10
	v_exp_f32_e32 v7, v7
	v_cvt_i32_f32_e32 v10, v11
	v_cndmask_b32_e32 v6, 0, v6, vcc
	v_cmp_ngt_f32_e32 vcc, s30, v2
	v_ldexp_f32 v7, v7, v10
	s_nop 0
	v_cndmask_b32_e32 v6, v46, v6, vcc
	v_cmp_nlt_f32_e32 vcc, s29, v3
	v_add_f32_e32 v6, 1.0, v6
	v_rcp_f32_e32 v6, v6
	v_cndmask_b32_e32 v7, 0, v7, vcc
	v_cmp_ngt_f32_e32 vcc, s30, v3
	s_nop 1
	v_cndmask_b32_e32 v7, v46, v7, vcc
	v_add_f32_e32 v7, 1.0, v7
	v_rcp_f32_e32 v7, v7
	s_nop 0
	v_pk_mul_f32 v[2:3], v[2:3], v[6:7]
	s_nop 0
	;;#ASMSTART
	v_pk_mul_f32 v[10:11], v[2:3], v[8:9]
	;;#ASMEND
	s_load_dword s14, s[0:1], 0xc
	v_perm_b32 v7, v25, v24, s31
	v_perm_b32 v9, v27, v26, s31
	;; [unrolled: 1-line block ×4, first 2 shown]
	s_waitcnt lgkmcnt(0)
	s_and_b32 s14, s14, 0xffff
	s_lshl_b32 s26, s14, 4
	v_lshl_add_u64 v[44:45], s[26:27], 0, v[44:45]
	v_cmp_le_i64_e32 vcc, s[24:25], v[44:45]
	v_perm_b32 v3, v5, v4, s31
	v_perm_b32 v5, v11, v10, s31
	;; [unrolled: 1-line block ×4, first 2 shown]
	s_or_b64 s[2:3], vcc, s[2:3]
	buffer_store_dwordx4 v[6:9], v47, s[4:7], 0 offen
	buffer_store_dwordx4 v[2:5], v47, s[4:7], 16 offen
	s_andn2_b64 exec, exec, s[2:3]
	s_cbranch_execnz .LBB185_8
.LBB185_9:
	s_endpgm
	.section	.rodata,"a",@progbits
	.p2align	6, 0x0
	.amdhsa_kernel _ZN5aiter23act_and_mul_bias_kernelIttifTnPFfRKT2_EXadL_ZNS_11silu_kernelIfEEfRKT_EELi16EEEvPT0_PS8_PKT1_PS2_il
		.amdhsa_group_segment_fixed_size 0
		.amdhsa_private_segment_fixed_size 0
		.amdhsa_kernarg_size 304
		.amdhsa_user_sgpr_count 2
		.amdhsa_user_sgpr_dispatch_ptr 0
		.amdhsa_user_sgpr_queue_ptr 0
		.amdhsa_user_sgpr_kernarg_segment_ptr 1
		.amdhsa_user_sgpr_dispatch_id 0
		.amdhsa_user_sgpr_kernarg_preload_length 0
		.amdhsa_user_sgpr_kernarg_preload_offset 0
		.amdhsa_user_sgpr_private_segment_size 0
		.amdhsa_uses_dynamic_stack 0
		.amdhsa_enable_private_segment 0
		.amdhsa_system_sgpr_workgroup_id_x 1
		.amdhsa_system_sgpr_workgroup_id_y 0
		.amdhsa_system_sgpr_workgroup_id_z 0
		.amdhsa_system_sgpr_workgroup_info 0
		.amdhsa_system_vgpr_workitem_id 0
		.amdhsa_next_free_vgpr 54
		.amdhsa_next_free_sgpr 32
		.amdhsa_accum_offset 56
		.amdhsa_reserve_vcc 1
		.amdhsa_float_round_mode_32 0
		.amdhsa_float_round_mode_16_64 0
		.amdhsa_float_denorm_mode_32 3
		.amdhsa_float_denorm_mode_16_64 3
		.amdhsa_dx10_clamp 1
		.amdhsa_ieee_mode 1
		.amdhsa_fp16_overflow 0
		.amdhsa_tg_split 0
		.amdhsa_exception_fp_ieee_invalid_op 0
		.amdhsa_exception_fp_denorm_src 0
		.amdhsa_exception_fp_ieee_div_zero 0
		.amdhsa_exception_fp_ieee_overflow 0
		.amdhsa_exception_fp_ieee_underflow 0
		.amdhsa_exception_fp_ieee_inexact 0
		.amdhsa_exception_int_div_zero 0
	.end_amdhsa_kernel
	.section	.text._ZN5aiter23act_and_mul_bias_kernelIttifTnPFfRKT2_EXadL_ZNS_11silu_kernelIfEEfRKT_EELi16EEEvPT0_PS8_PKT1_PS2_il,"axG",@progbits,_ZN5aiter23act_and_mul_bias_kernelIttifTnPFfRKT2_EXadL_ZNS_11silu_kernelIfEEfRKT_EELi16EEEvPT0_PS8_PKT1_PS2_il,comdat
.Lfunc_end185:
	.size	_ZN5aiter23act_and_mul_bias_kernelIttifTnPFfRKT2_EXadL_ZNS_11silu_kernelIfEEfRKT_EELi16EEEvPT0_PS8_PKT1_PS2_il, .Lfunc_end185-_ZN5aiter23act_and_mul_bias_kernelIttifTnPFfRKT2_EXadL_ZNS_11silu_kernelIfEEfRKT_EELi16EEEvPT0_PS8_PKT1_PS2_il
                                        ; -- End function
	.section	.AMDGPU.csdata,"",@progbits
; Kernel info:
; codeLenInByte = 2652
; NumSgprs: 38
; NumVgprs: 54
; NumAgprs: 0
; TotalNumVgprs: 54
; ScratchSize: 0
; MemoryBound: 0
; FloatMode: 240
; IeeeMode: 1
; LDSByteSize: 0 bytes/workgroup (compile time only)
; SGPRBlocks: 4
; VGPRBlocks: 6
; NumSGPRsForWavesPerEU: 38
; NumVGPRsForWavesPerEU: 54
; AccumOffset: 56
; Occupancy: 8
; WaveLimiterHint : 0
; COMPUTE_PGM_RSRC2:SCRATCH_EN: 0
; COMPUTE_PGM_RSRC2:USER_SGPR: 2
; COMPUTE_PGM_RSRC2:TRAP_HANDLER: 0
; COMPUTE_PGM_RSRC2:TGID_X_EN: 1
; COMPUTE_PGM_RSRC2:TGID_Y_EN: 0
; COMPUTE_PGM_RSRC2:TGID_Z_EN: 0
; COMPUTE_PGM_RSRC2:TIDIG_COMP_CNT: 0
; COMPUTE_PGM_RSRC3_GFX90A:ACCUM_OFFSET: 13
; COMPUTE_PGM_RSRC3_GFX90A:TG_SPLIT: 0
	.section	.text._ZN5aiter23act_and_mul_bias_kernelIttifTnPFfRKT2_EXadL_ZNS_11silu_kernelIfEEfRKT_EELi8EEEvPT0_PS8_PKT1_PS2_il,"axG",@progbits,_ZN5aiter23act_and_mul_bias_kernelIttifTnPFfRKT2_EXadL_ZNS_11silu_kernelIfEEfRKT_EELi8EEEvPT0_PS8_PKT1_PS2_il,comdat
	.protected	_ZN5aiter23act_and_mul_bias_kernelIttifTnPFfRKT2_EXadL_ZNS_11silu_kernelIfEEfRKT_EELi8EEEvPT0_PS8_PKT1_PS2_il ; -- Begin function _ZN5aiter23act_and_mul_bias_kernelIttifTnPFfRKT2_EXadL_ZNS_11silu_kernelIfEEfRKT_EELi8EEEvPT0_PS8_PKT1_PS2_il
	.globl	_ZN5aiter23act_and_mul_bias_kernelIttifTnPFfRKT2_EXadL_ZNS_11silu_kernelIfEEfRKT_EELi8EEEvPT0_PS8_PKT1_PS2_il
	.p2align	8
	.type	_ZN5aiter23act_and_mul_bias_kernelIttifTnPFfRKT2_EXadL_ZNS_11silu_kernelIfEEfRKT_EELi8EEEvPT0_PS8_PKT1_PS2_il,@function
_ZN5aiter23act_and_mul_bias_kernelIttifTnPFfRKT2_EXadL_ZNS_11silu_kernelIfEEfRKT_EELi8EEEvPT0_PS8_PKT1_PS2_il: ; @_ZN5aiter23act_and_mul_bias_kernelIttifTnPFfRKT2_EXadL_ZNS_11silu_kernelIfEEfRKT_EELi8EEEvPT0_PS8_PKT1_PS2_il
; %bb.0:
	s_load_dword s14, s[0:1], 0x20
	s_load_dwordx2 s[4:5], s[0:1], 0x10
	s_load_dwordx2 s[8:9], s[0:1], 0x28
	s_mov_b32 s3, 0
	s_lshl_b64 s[6:7], s[2:3], 2
	s_waitcnt lgkmcnt(0)
	s_ashr_i32 s15, s14, 31
	s_add_u32 s6, s4, s6
	s_addc_u32 s7, s5, s7
	s_add_i32 s3, s14, 1
	s_lshr_b32 s16, s3, 31
	s_load_dword s4, s[6:7], 0x0
	s_load_dwordx2 s[10:11], s[0:1], 0x0
	s_add_i32 s3, s3, s16
	s_lshl_b32 s3, s3, 1
	s_and_b32 s18, s3, -4
	s_mul_hi_u32 s3, s14, s2
	s_mul_i32 s16, s15, s2
	s_add_i32 s17, s3, s16
	s_mul_i32 s16, s14, s2
	s_waitcnt lgkmcnt(0)
	s_ashr_i32 s5, s4, 31
	s_lshl_b64 s[16:17], s[16:17], 1
	v_mov_b64_e32 v[2:3], s[8:9]
	v_cmp_gt_i64_e64 s[12:13], s[4:5], -1
	s_add_u32 s16, s10, s16
	v_cmp_lt_i64_e32 vcc, s[4:5], v[2:3]
	s_addc_u32 s3, s11, s17
	s_and_b64 s[8:9], s[12:13], vcc
	s_mov_b64 s[6:7], -1
	s_and_b32 s17, s3, 0xffff
	s_and_b64 vcc, exec, s[8:9]
	v_lshlrev_b32_e32 v24, 3, v0
	s_cbranch_vccnz .LBB186_5
; %bb.1:
	v_cmp_gt_i32_e32 vcc, s14, v24
	s_and_saveexec_b64 s[6:7], vcc
	s_cbranch_execz .LBB186_4
; %bb.2:
	s_load_dword s3, s[0:1], 0x3c
	v_mov_b32_e32 v25, 0
	s_mov_b32 s9, 0
	v_lshlrev_b32_e32 v6, 4, v0
	s_mov_b64 s[10:11], 0
	s_waitcnt lgkmcnt(0)
	s_and_b32 s3, s3, 0xffff
	s_lshl_b32 s8, s3, 3
	s_lshl_b32 s3, s3, 4
	s_mov_b32 s19, 0x20000
	v_mov_b32_e32 v0, v25
	v_mov_b32_e32 v1, v25
	;; [unrolled: 1-line block ×4, first 2 shown]
	v_mov_b64_e32 v[4:5], v[24:25]
.LBB186_3:                              ; =>This Inner Loop Header: Depth=1
	v_lshl_add_u64 v[4:5], s[8:9], 0, v[4:5]
	v_cmp_le_i64_e32 vcc, s[14:15], v[4:5]
	buffer_store_dwordx4 v[0:3], v6, s[16:19], 0 offen
	s_or_b64 s[10:11], vcc, s[10:11]
	v_add_u32_e32 v6, s3, v6
	s_andn2_b64 exec, exec, s[10:11]
	s_cbranch_execnz .LBB186_3
.LBB186_4:
	s_or_b64 exec, exec, s[6:7]
	s_mov_b64 s[6:7], 0
.LBB186_5:
	s_andn2_b64 vcc, exec, s[6:7]
	s_cbranch_vccnz .LBB186_9
; %bb.6:
	v_cmp_gt_i32_e32 vcc, s14, v24
	s_and_saveexec_b64 s[6:7], vcc
	s_cbranch_execz .LBB186_9
; %bb.7:
	s_load_dwordx2 s[6:7], s[0:1], 0x18
	s_load_dwordx2 s[8:9], s[0:1], 0x8
	s_mul_hi_i32 s5, s14, s4
	s_mul_i32 s4, s14, s4
	s_lshl_b64 s[4:5], s[4:5], 3
	s_waitcnt lgkmcnt(0)
	s_add_u32 s20, s6, s4
	s_addc_u32 s3, s7, s5
	s_lshl_b64 s[4:5], s[14:15], 2
	s_add_u32 s24, s20, s4
	s_addc_u32 s4, s3, s5
	s_and_b32 s21, s3, 0xffff
	s_and_b32 s25, s4, 0xffff
	s_mul_i32 s3, s2, s15
	s_mul_hi_u32 s4, s2, s14
	s_add_i32 s3, s4, s3
	s_mul_i32 s2, s2, s14
	s_lshl_b32 s22, s14, 2
	s_lshl_b64 s[2:3], s[2:3], 2
	s_add_u32 s28, s8, s2
	s_addc_u32 s4, s9, s3
	s_lshl_b64 s[2:3], s[14:15], 1
	s_add_u32 s36, s28, s2
	s_addc_u32 s2, s4, s3
	s_and_b32 s29, s4, 0xffff
	s_and_b32 s37, s2, 0xffff
	s_mov_b32 s19, 0x20000
	s_add_u32 s34, s0, 48
	s_mov_b32 s23, s19
	v_mov_b32_e32 v25, 0
	s_addc_u32 s35, s1, 0
	s_mov_b64 s[40:41], 0
	s_mov_b32 s30, s18
	s_mov_b32 s31, s19
	;; [unrolled: 1-line block ×6, first 2 shown]
	v_mov_b32_e32 v30, 0x7f800000
	s_mov_b32 s46, 0x7060302
	s_mov_b32 s38, s18
	s_mov_b32 s39, s19
.LBB186_8:                              ; =>This Inner Loop Header: Depth=1
	v_lshlrev_b32_e32 v31, 1, v24
	v_lshlrev_b32_e32 v26, 2, v24
	s_mov_b32 s26, s22
	s_mov_b32 s27, s23
	buffer_load_dwordx4 v[20:23], v31, s[36:39], 0 offen
	buffer_load_dwordx4 v[16:19], v31, s[28:31], 0 offen
	;; [unrolled: 1-line block ×6, first 2 shown]
	s_waitcnt vmcnt(5)
	v_and_b32_e32 v35, 0xffff0000, v22
	v_lshlrev_b32_e32 v34, 16, v22
	v_and_b32_e32 v39, 0xffff0000, v23
	v_lshlrev_b32_e32 v38, 16, v23
	s_waitcnt vmcnt(4)
	v_and_b32_e32 v23, 0xffff0000, v19
	v_lshlrev_b32_e32 v22, 16, v19
	v_and_b32_e32 v27, 0xffff0000, v20
	v_lshlrev_b32_e32 v26, 16, v20
	;; [unrolled: 2-line block ×6, first 2 shown]
	s_waitcnt vmcnt(0)
	v_pk_add_f32 v[2:3], v[2:3], v[22:23]
	v_pk_add_f32 v[16:17], v[4:5], v[28:29]
	;; [unrolled: 1-line block ×6, first 2 shown]
	v_mul_f32_e32 v22, 0xbfb8aa3b, v2
	v_mul_f32_e32 v23, 0xbfb8aa3b, v3
	v_pk_add_f32 v[0:1], v[14:15], v[38:39]
	v_mul_f32_e32 v14, 0xbfb8aa3b, v16
	v_mul_f32_e32 v15, 0xbfb8aa3b, v17
	;; [unrolled: 1-line block ×6, first 2 shown]
	v_fma_f32 v40, v2, s33, -v22
	v_rndne_f32_e32 v41, v22
	v_fma_f32 v42, v3, s33, -v23
	v_rndne_f32_e32 v43, v23
	v_pk_add_f32 v[8:9], v[8:9], v[26:27]
	v_fma_f32 v26, v16, s33, -v14
	v_rndne_f32_e32 v27, v14
	v_fma_f32 v28, v17, s33, -v15
	v_rndne_f32_e32 v29, v15
	;; [unrolled: 2-line block ×6, first 2 shown]
	v_fmac_f32_e32 v40, 0xb2a5705f, v2
	v_sub_f32_e32 v22, v22, v41
	v_fmac_f32_e32 v42, 0xb2a5705f, v3
	v_sub_f32_e32 v23, v23, v43
	;; [unrolled: 2-line block ×8, first 2 shown]
	v_add_f32_e32 v22, v22, v40
	v_add_f32_e32 v23, v23, v42
	v_cvt_i32_f32_e32 v41, v41
	v_cvt_i32_f32_e32 v43, v43
	v_add_f32_e32 v14, v14, v26
	v_add_f32_e32 v15, v15, v28
	;; [unrolled: 1-line block ×6, first 2 shown]
	v_exp_f32_e32 v22, v22
	v_exp_f32_e32 v23, v23
	v_cvt_i32_f32_e32 v27, v27
	v_cvt_i32_f32_e32 v29, v29
	;; [unrolled: 1-line block ×6, first 2 shown]
	v_exp_f32_e32 v14, v14
	v_exp_f32_e32 v15, v15
	;; [unrolled: 1-line block ×6, first 2 shown]
	v_ldexp_f32 v22, v22, v41
	v_cmp_nlt_f32_e64 s[8:9], s44, v2
	v_ldexp_f32 v23, v23, v43
	v_cmp_nlt_f32_e64 s[10:11], s44, v3
	v_ldexp_f32 v14, v14, v27
	v_ldexp_f32 v15, v15, v29
	v_cmp_nlt_f32_e32 vcc, s44, v17
	v_ldexp_f32 v18, v18, v33
	v_cmp_nlt_f32_e64 s[0:1], s44, v10
	v_ldexp_f32 v19, v19, v35
	v_cmp_nlt_f32_e64 s[2:3], s44, v11
	;; [unrolled: 2-line block ×4, first 2 shown]
	v_cmp_nlt_f32_e64 s[12:13], s44, v16
	v_cndmask_b32_e64 v22, 0, v22, s[8:9]
	v_cmp_ngt_f32_e64 s[8:9], s45, v2
	v_cndmask_b32_e64 v23, 0, v23, s[10:11]
	v_cmp_ngt_f32_e64 s[10:11], s45, v3
	v_cndmask_b32_e64 v14, 0, v14, s[12:13]
	v_cndmask_b32_e32 v15, 0, v15, vcc
	v_cmp_ngt_f32_e32 vcc, s45, v17
	v_cndmask_b32_e64 v18, 0, v18, s[0:1]
	v_cmp_ngt_f32_e64 s[0:1], s45, v10
	v_cndmask_b32_e64 v19, 0, v19, s[2:3]
	v_cmp_ngt_f32_e64 s[2:3], s45, v11
	;; [unrolled: 2-line block ×4, first 2 shown]
	v_cmp_ngt_f32_e64 s[12:13], s45, v16
	v_cndmask_b32_e64 v22, v30, v22, s[8:9]
	v_cndmask_b32_e64 v23, v30, v23, s[10:11]
	;; [unrolled: 1-line block ×3, first 2 shown]
	v_cndmask_b32_e32 v15, v30, v15, vcc
	v_cndmask_b32_e64 v18, v30, v18, s[0:1]
	v_cndmask_b32_e64 v19, v30, v19, s[2:3]
	;; [unrolled: 1-line block ×4, first 2 shown]
	v_add_f32_e32 v22, 1.0, v22
	v_add_f32_e32 v23, 1.0, v23
	;; [unrolled: 1-line block ×8, first 2 shown]
	v_rcp_f32_e32 v22, v22
	v_rcp_f32_e32 v23, v23
	;; [unrolled: 1-line block ×8, first 2 shown]
	v_pk_mul_f32 v[2:3], v[2:3], v[22:23]
	v_pk_mul_f32 v[14:15], v[16:17], v[14:15]
	v_pk_mul_f32 v[10:11], v[10:11], v[18:19]
	v_pk_mul_f32 v[12:13], v[12:13], v[20:21]
	;;#ASMSTART
	v_pk_mul_f32 v[8:9], v[14:15], v[8:9]
	;;#ASMEND
	;;#ASMSTART
	v_pk_mul_f32 v[4:5], v[10:11], v[4:5]
	;;#ASMEND
	s_nop 0
	;;#ASMSTART
	v_pk_mul_f32 v[6:7], v[12:13], v[6:7]
	;;#ASMEND
	;;#ASMSTART
	v_pk_mul_f32 v[2:3], v[2:3], v[0:1]
	;;#ASMEND
	s_load_dword s0, s[34:35], 0xc
	v_perm_b32 v1, v5, v4, s46
	v_perm_b32 v3, v3, v2, s46
	;; [unrolled: 1-line block ×4, first 2 shown]
	s_waitcnt lgkmcnt(0)
	s_and_b32 s0, s0, 0xffff
	s_lshl_b32 s42, s0, 3
	v_lshl_add_u64 v[24:25], s[42:43], 0, v[24:25]
	v_cmp_le_i64_e32 vcc, s[14:15], v[24:25]
	s_or_b64 s[40:41], vcc, s[40:41]
	buffer_store_dwordx4 v[0:3], v31, s[16:19], 0 offen
	s_andn2_b64 exec, exec, s[40:41]
	s_cbranch_execnz .LBB186_8
.LBB186_9:
	s_endpgm
	.section	.rodata,"a",@progbits
	.p2align	6, 0x0
	.amdhsa_kernel _ZN5aiter23act_and_mul_bias_kernelIttifTnPFfRKT2_EXadL_ZNS_11silu_kernelIfEEfRKT_EELi8EEEvPT0_PS8_PKT1_PS2_il
		.amdhsa_group_segment_fixed_size 0
		.amdhsa_private_segment_fixed_size 0
		.amdhsa_kernarg_size 304
		.amdhsa_user_sgpr_count 2
		.amdhsa_user_sgpr_dispatch_ptr 0
		.amdhsa_user_sgpr_queue_ptr 0
		.amdhsa_user_sgpr_kernarg_segment_ptr 1
		.amdhsa_user_sgpr_dispatch_id 0
		.amdhsa_user_sgpr_kernarg_preload_length 0
		.amdhsa_user_sgpr_kernarg_preload_offset 0
		.amdhsa_user_sgpr_private_segment_size 0
		.amdhsa_uses_dynamic_stack 0
		.amdhsa_enable_private_segment 0
		.amdhsa_system_sgpr_workgroup_id_x 1
		.amdhsa_system_sgpr_workgroup_id_y 0
		.amdhsa_system_sgpr_workgroup_id_z 0
		.amdhsa_system_sgpr_workgroup_info 0
		.amdhsa_system_vgpr_workitem_id 0
		.amdhsa_next_free_vgpr 44
		.amdhsa_next_free_sgpr 47
		.amdhsa_accum_offset 44
		.amdhsa_reserve_vcc 1
		.amdhsa_float_round_mode_32 0
		.amdhsa_float_round_mode_16_64 0
		.amdhsa_float_denorm_mode_32 3
		.amdhsa_float_denorm_mode_16_64 3
		.amdhsa_dx10_clamp 1
		.amdhsa_ieee_mode 1
		.amdhsa_fp16_overflow 0
		.amdhsa_tg_split 0
		.amdhsa_exception_fp_ieee_invalid_op 0
		.amdhsa_exception_fp_denorm_src 0
		.amdhsa_exception_fp_ieee_div_zero 0
		.amdhsa_exception_fp_ieee_overflow 0
		.amdhsa_exception_fp_ieee_underflow 0
		.amdhsa_exception_fp_ieee_inexact 0
		.amdhsa_exception_int_div_zero 0
	.end_amdhsa_kernel
	.section	.text._ZN5aiter23act_and_mul_bias_kernelIttifTnPFfRKT2_EXadL_ZNS_11silu_kernelIfEEfRKT_EELi8EEEvPT0_PS8_PKT1_PS2_il,"axG",@progbits,_ZN5aiter23act_and_mul_bias_kernelIttifTnPFfRKT2_EXadL_ZNS_11silu_kernelIfEEfRKT_EELi8EEEvPT0_PS8_PKT1_PS2_il,comdat
.Lfunc_end186:
	.size	_ZN5aiter23act_and_mul_bias_kernelIttifTnPFfRKT2_EXadL_ZNS_11silu_kernelIfEEfRKT_EELi8EEEvPT0_PS8_PKT1_PS2_il, .Lfunc_end186-_ZN5aiter23act_and_mul_bias_kernelIttifTnPFfRKT2_EXadL_ZNS_11silu_kernelIfEEfRKT_EELi8EEEvPT0_PS8_PKT1_PS2_il
                                        ; -- End function
	.section	.AMDGPU.csdata,"",@progbits
; Kernel info:
; codeLenInByte = 1644
; NumSgprs: 53
; NumVgprs: 44
; NumAgprs: 0
; TotalNumVgprs: 44
; ScratchSize: 0
; MemoryBound: 0
; FloatMode: 240
; IeeeMode: 1
; LDSByteSize: 0 bytes/workgroup (compile time only)
; SGPRBlocks: 6
; VGPRBlocks: 5
; NumSGPRsForWavesPerEU: 53
; NumVGPRsForWavesPerEU: 44
; AccumOffset: 44
; Occupancy: 8
; WaveLimiterHint : 0
; COMPUTE_PGM_RSRC2:SCRATCH_EN: 0
; COMPUTE_PGM_RSRC2:USER_SGPR: 2
; COMPUTE_PGM_RSRC2:TRAP_HANDLER: 0
; COMPUTE_PGM_RSRC2:TGID_X_EN: 1
; COMPUTE_PGM_RSRC2:TGID_Y_EN: 0
; COMPUTE_PGM_RSRC2:TGID_Z_EN: 0
; COMPUTE_PGM_RSRC2:TIDIG_COMP_CNT: 0
; COMPUTE_PGM_RSRC3_GFX90A:ACCUM_OFFSET: 10
; COMPUTE_PGM_RSRC3_GFX90A:TG_SPLIT: 0
	.section	.text._ZN5aiter23act_and_mul_bias_kernelIttifTnPFfRKT2_EXadL_ZNS_11silu_kernelIfEEfRKT_EELi4EEEvPT0_PS8_PKT1_PS2_il,"axG",@progbits,_ZN5aiter23act_and_mul_bias_kernelIttifTnPFfRKT2_EXadL_ZNS_11silu_kernelIfEEfRKT_EELi4EEEvPT0_PS8_PKT1_PS2_il,comdat
	.protected	_ZN5aiter23act_and_mul_bias_kernelIttifTnPFfRKT2_EXadL_ZNS_11silu_kernelIfEEfRKT_EELi4EEEvPT0_PS8_PKT1_PS2_il ; -- Begin function _ZN5aiter23act_and_mul_bias_kernelIttifTnPFfRKT2_EXadL_ZNS_11silu_kernelIfEEfRKT_EELi4EEEvPT0_PS8_PKT1_PS2_il
	.globl	_ZN5aiter23act_and_mul_bias_kernelIttifTnPFfRKT2_EXadL_ZNS_11silu_kernelIfEEfRKT_EELi4EEEvPT0_PS8_PKT1_PS2_il
	.p2align	8
	.type	_ZN5aiter23act_and_mul_bias_kernelIttifTnPFfRKT2_EXadL_ZNS_11silu_kernelIfEEfRKT_EELi4EEEvPT0_PS8_PKT1_PS2_il,@function
_ZN5aiter23act_and_mul_bias_kernelIttifTnPFfRKT2_EXadL_ZNS_11silu_kernelIfEEfRKT_EELi4EEEvPT0_PS8_PKT1_PS2_il: ; @_ZN5aiter23act_and_mul_bias_kernelIttifTnPFfRKT2_EXadL_ZNS_11silu_kernelIfEEfRKT_EELi4EEEvPT0_PS8_PKT1_PS2_il
; %bb.0:
	s_load_dword s6, s[0:1], 0x20
	s_load_dwordx2 s[4:5], s[0:1], 0x10
	s_load_dwordx2 s[14:15], s[0:1], 0x28
	s_mov_b32 s3, 0
	s_lshl_b64 s[8:9], s[2:3], 2
	s_waitcnt lgkmcnt(0)
	s_ashr_i32 s7, s6, 31
	s_add_u32 s8, s4, s8
	s_addc_u32 s9, s5, s9
	s_add_i32 s3, s6, 1
	s_load_dword s4, s[8:9], 0x0
	s_load_dwordx2 s[16:17], s[0:1], 0x0
	s_lshr_b32 s8, s3, 31
	s_add_i32 s3, s3, s8
	s_lshl_b32 s3, s3, 1
	s_and_b32 s10, s3, -4
	s_mul_hi_u32 s3, s6, s2
	s_mul_i32 s8, s7, s2
	s_add_i32 s9, s3, s8
	s_mul_i32 s8, s6, s2
	s_waitcnt lgkmcnt(0)
	s_ashr_i32 s5, s4, 31
	s_lshl_b64 s[8:9], s[8:9], 1
	v_mov_b64_e32 v[2:3], s[14:15]
	v_cmp_gt_i64_e64 s[18:19], s[4:5], -1
	s_add_u32 s8, s16, s8
	v_cmp_lt_i64_e32 vcc, s[4:5], v[2:3]
	s_addc_u32 s3, s17, s9
	s_and_b64 s[14:15], s[18:19], vcc
	s_mov_b64 s[12:13], -1
	s_and_b32 s9, s3, 0xffff
	s_and_b64 vcc, exec, s[14:15]
	v_lshlrev_b32_e32 v2, 2, v0
	s_cbranch_vccnz .LBB187_5
; %bb.1:
	v_cmp_gt_i32_e32 vcc, s6, v2
	s_and_saveexec_b64 s[12:13], vcc
	s_cbranch_execz .LBB187_4
; %bb.2:
	s_load_dword s3, s[0:1], 0x3c
	v_mov_b32_e32 v3, 0
	s_mov_b32 s15, 0
	v_lshlrev_b32_e32 v6, 3, v0
	s_mov_b64 s[16:17], 0
	s_waitcnt lgkmcnt(0)
	s_and_b32 s3, s3, 0xffff
	s_lshl_b32 s14, s3, 2
	s_lshl_b32 s3, s3, 3
	s_mov_b32 s11, 0x20000
	v_mov_b32_e32 v0, v3
	v_mov_b32_e32 v1, v3
	v_mov_b64_e32 v[4:5], v[2:3]
.LBB187_3:                              ; =>This Inner Loop Header: Depth=1
	v_lshl_add_u64 v[4:5], s[14:15], 0, v[4:5]
	v_cmp_le_i64_e32 vcc, s[6:7], v[4:5]
	buffer_store_dwordx2 v[0:1], v6, s[8:11], 0 offen
	s_or_b64 s[16:17], vcc, s[16:17]
	v_add_u32_e32 v6, s3, v6
	s_andn2_b64 exec, exec, s[16:17]
	s_cbranch_execnz .LBB187_3
.LBB187_4:
	s_or_b64 exec, exec, s[12:13]
	s_mov_b64 s[12:13], 0
.LBB187_5:
	s_andn2_b64 vcc, exec, s[12:13]
	s_cbranch_vccnz .LBB187_9
; %bb.6:
	v_cmp_gt_i32_e32 vcc, s6, v2
	s_and_saveexec_b64 s[12:13], vcc
	s_cbranch_execz .LBB187_9
; %bb.7:
	s_load_dwordx2 s[12:13], s[0:1], 0x18
	s_load_dwordx2 s[18:19], s[0:1], 0x8
	s_mul_hi_i32 s5, s6, s4
	s_mul_i32 s4, s6, s4
	s_lshl_b64 s[4:5], s[4:5], 3
	s_waitcnt lgkmcnt(0)
	s_add_u32 s12, s12, s4
	s_addc_u32 s3, s13, s5
	s_lshl_b64 s[4:5], s[6:7], 2
	s_add_u32 s16, s12, s4
	s_addc_u32 s4, s3, s5
	s_and_b32 s13, s3, 0xffff
	s_and_b32 s17, s4, 0xffff
	s_mul_i32 s3, s2, s7
	s_mul_hi_u32 s4, s2, s6
	s_add_i32 s3, s4, s3
	s_mul_i32 s2, s2, s6
	s_lshl_b32 s14, s6, 2
	s_lshl_b64 s[2:3], s[2:3], 2
	s_add_u32 s20, s18, s2
	s_addc_u32 s4, s19, s3
	s_lshl_b64 s[2:3], s[6:7], 1
	s_add_u32 s24, s20, s2
	s_addc_u32 s2, s4, s3
	s_and_b32 s21, s4, 0xffff
	s_and_b32 s25, s2, 0xffff
	s_mov_b32 s11, 0x20000
	s_add_u32 s28, s0, 48
	s_mov_b32 s15, s11
	v_mov_b32_e32 v3, 0
	s_addc_u32 s29, s1, 0
	s_mov_b64 s[30:31], 0
	s_mov_b32 s22, s10
	s_mov_b32 s23, s11
	s_mov_b32 s35, 0
	s_mov_b32 s33, 0xbfb8aa3b
	s_mov_b32 s36, 0x42ce8ed0
	s_mov_b32 s37, 0xc2b17218
	v_mov_b32_e32 v0, 0x7f800000
	s_mov_b32 s38, 0x7060302
	s_mov_b32 s26, s10
	s_mov_b32 s27, s11
.LBB187_8:                              ; =>This Inner Loop Header: Depth=1
	v_lshlrev_b32_e32 v1, 1, v2
	v_lshlrev_b32_e32 v16, 2, v2
	s_mov_b32 s18, s14
	s_mov_b32 s19, s15
	buffer_load_dwordx2 v[12:13], v1, s[24:27], 0 offen
	buffer_load_dwordx2 v[14:15], v1, s[20:23], 0 offen
	buffer_load_dwordx4 v[4:7], v16, s[12:15], 0 offen
	buffer_load_dwordx4 v[8:11], v16, s[16:19], 0 offen
	s_waitcnt vmcnt(3)
	v_and_b32_e32 v17, 0xffff0000, v12
	v_lshlrev_b32_e32 v16, 16, v12
	s_waitcnt vmcnt(2)
	v_and_b32_e32 v19, 0xffff0000, v14
	v_lshlrev_b32_e32 v18, 16, v14
	v_and_b32_e32 v21, 0xffff0000, v13
	v_lshlrev_b32_e32 v20, 16, v13
	;; [unrolled: 2-line block ×3, first 2 shown]
	s_waitcnt vmcnt(1)
	v_pk_add_f32 v[4:5], v[4:5], v[18:19]
	v_pk_add_f32 v[6:7], v[6:7], v[12:13]
	v_mul_f32_e32 v12, 0xbfb8aa3b, v4
	v_mul_f32_e32 v13, 0xbfb8aa3b, v5
	;; [unrolled: 1-line block ×4, first 2 shown]
	s_waitcnt vmcnt(0)
	v_pk_add_f32 v[8:9], v[8:9], v[16:17]
	v_pk_add_f32 v[10:11], v[10:11], v[20:21]
	v_fma_f32 v16, v4, s33, -v12
	v_rndne_f32_e32 v17, v12
	v_fma_f32 v18, v5, s33, -v13
	v_rndne_f32_e32 v19, v13
	;; [unrolled: 2-line block ×4, first 2 shown]
	v_fmac_f32_e32 v16, 0xb2a5705f, v4
	v_sub_f32_e32 v12, v12, v17
	v_fmac_f32_e32 v18, 0xb2a5705f, v5
	v_sub_f32_e32 v13, v13, v19
	;; [unrolled: 2-line block ×4, first 2 shown]
	v_add_f32_e32 v12, v12, v16
	v_add_f32_e32 v13, v13, v18
	;; [unrolled: 1-line block ×4, first 2 shown]
	v_cvt_i32_f32_e32 v17, v17
	v_cvt_i32_f32_e32 v19, v19
	v_cvt_i32_f32_e32 v21, v21
	v_cvt_i32_f32_e32 v23, v23
	v_exp_f32_e32 v12, v12
	v_exp_f32_e32 v13, v13
	;; [unrolled: 1-line block ×4, first 2 shown]
	v_ldexp_f32 v12, v12, v17
	v_ldexp_f32 v13, v13, v19
	v_cmp_nlt_f32_e32 vcc, s36, v5
	v_ldexp_f32 v14, v14, v21
	v_cmp_nlt_f32_e64 s[0:1], s36, v6
	v_ldexp_f32 v15, v15, v23
	v_cmp_nlt_f32_e64 s[2:3], s36, v7
	v_cmp_nlt_f32_e64 s[4:5], s36, v4
	v_cndmask_b32_e32 v13, 0, v13, vcc
	v_cmp_ngt_f32_e32 vcc, s37, v5
	v_cndmask_b32_e64 v12, 0, v12, s[4:5]
	v_cndmask_b32_e64 v14, 0, v14, s[0:1]
	v_cmp_ngt_f32_e64 s[0:1], s37, v6
	v_cndmask_b32_e64 v15, 0, v15, s[2:3]
	v_cmp_ngt_f32_e64 s[2:3], s37, v7
	v_cmp_ngt_f32_e64 s[4:5], s37, v4
	v_cndmask_b32_e32 v13, v0, v13, vcc
	v_cndmask_b32_e64 v14, v0, v14, s[0:1]
	v_cndmask_b32_e64 v12, v0, v12, s[4:5]
	;; [unrolled: 1-line block ×3, first 2 shown]
	v_add_f32_e32 v12, 1.0, v12
	v_add_f32_e32 v13, 1.0, v13
	v_add_f32_e32 v14, 1.0, v14
	v_add_f32_e32 v15, 1.0, v15
	v_rcp_f32_e32 v12, v12
	v_rcp_f32_e32 v13, v13
	;; [unrolled: 1-line block ×4, first 2 shown]
	v_pk_mul_f32 v[4:5], v[4:5], v[12:13]
	s_nop 0
	;;#ASMSTART
	v_pk_mul_f32 v[4:5], v[4:5], v[8:9]
	;;#ASMEND
	v_pk_mul_f32 v[6:7], v[6:7], v[14:15]
	s_nop 0
	;;#ASMSTART
	v_pk_mul_f32 v[6:7], v[6:7], v[10:11]
	;;#ASMEND
	s_load_dword s0, s[28:29], 0xc
	v_perm_b32 v7, v7, v6, s38
	v_perm_b32 v6, v5, v4, s38
	buffer_store_dwordx2 v[6:7], v1, s[8:11], 0 offen
	s_waitcnt lgkmcnt(0)
	s_and_b32 s0, s0, 0xffff
	s_lshl_b32 s34, s0, 2
	v_lshl_add_u64 v[2:3], s[34:35], 0, v[2:3]
	v_cmp_le_i64_e32 vcc, s[6:7], v[2:3]
	s_or_b64 s[30:31], vcc, s[30:31]
	s_andn2_b64 exec, exec, s[30:31]
	s_cbranch_execnz .LBB187_8
.LBB187_9:
	s_endpgm
	.section	.rodata,"a",@progbits
	.p2align	6, 0x0
	.amdhsa_kernel _ZN5aiter23act_and_mul_bias_kernelIttifTnPFfRKT2_EXadL_ZNS_11silu_kernelIfEEfRKT_EELi4EEEvPT0_PS8_PKT1_PS2_il
		.amdhsa_group_segment_fixed_size 0
		.amdhsa_private_segment_fixed_size 0
		.amdhsa_kernarg_size 304
		.amdhsa_user_sgpr_count 2
		.amdhsa_user_sgpr_dispatch_ptr 0
		.amdhsa_user_sgpr_queue_ptr 0
		.amdhsa_user_sgpr_kernarg_segment_ptr 1
		.amdhsa_user_sgpr_dispatch_id 0
		.amdhsa_user_sgpr_kernarg_preload_length 0
		.amdhsa_user_sgpr_kernarg_preload_offset 0
		.amdhsa_user_sgpr_private_segment_size 0
		.amdhsa_uses_dynamic_stack 0
		.amdhsa_enable_private_segment 0
		.amdhsa_system_sgpr_workgroup_id_x 1
		.amdhsa_system_sgpr_workgroup_id_y 0
		.amdhsa_system_sgpr_workgroup_id_z 0
		.amdhsa_system_sgpr_workgroup_info 0
		.amdhsa_system_vgpr_workitem_id 0
		.amdhsa_next_free_vgpr 24
		.amdhsa_next_free_sgpr 39
		.amdhsa_accum_offset 24
		.amdhsa_reserve_vcc 1
		.amdhsa_float_round_mode_32 0
		.amdhsa_float_round_mode_16_64 0
		.amdhsa_float_denorm_mode_32 3
		.amdhsa_float_denorm_mode_16_64 3
		.amdhsa_dx10_clamp 1
		.amdhsa_ieee_mode 1
		.amdhsa_fp16_overflow 0
		.amdhsa_tg_split 0
		.amdhsa_exception_fp_ieee_invalid_op 0
		.amdhsa_exception_fp_denorm_src 0
		.amdhsa_exception_fp_ieee_div_zero 0
		.amdhsa_exception_fp_ieee_overflow 0
		.amdhsa_exception_fp_ieee_underflow 0
		.amdhsa_exception_fp_ieee_inexact 0
		.amdhsa_exception_int_div_zero 0
	.end_amdhsa_kernel
	.section	.text._ZN5aiter23act_and_mul_bias_kernelIttifTnPFfRKT2_EXadL_ZNS_11silu_kernelIfEEfRKT_EELi4EEEvPT0_PS8_PKT1_PS2_il,"axG",@progbits,_ZN5aiter23act_and_mul_bias_kernelIttifTnPFfRKT2_EXadL_ZNS_11silu_kernelIfEEfRKT_EELi4EEEvPT0_PS8_PKT1_PS2_il,comdat
.Lfunc_end187:
	.size	_ZN5aiter23act_and_mul_bias_kernelIttifTnPFfRKT2_EXadL_ZNS_11silu_kernelIfEEfRKT_EELi4EEEvPT0_PS8_PKT1_PS2_il, .Lfunc_end187-_ZN5aiter23act_and_mul_bias_kernelIttifTnPFfRKT2_EXadL_ZNS_11silu_kernelIfEEfRKT_EELi4EEEvPT0_PS8_PKT1_PS2_il
                                        ; -- End function
	.section	.AMDGPU.csdata,"",@progbits
; Kernel info:
; codeLenInByte = 1132
; NumSgprs: 45
; NumVgprs: 24
; NumAgprs: 0
; TotalNumVgprs: 24
; ScratchSize: 0
; MemoryBound: 0
; FloatMode: 240
; IeeeMode: 1
; LDSByteSize: 0 bytes/workgroup (compile time only)
; SGPRBlocks: 5
; VGPRBlocks: 2
; NumSGPRsForWavesPerEU: 45
; NumVGPRsForWavesPerEU: 24
; AccumOffset: 24
; Occupancy: 8
; WaveLimiterHint : 0
; COMPUTE_PGM_RSRC2:SCRATCH_EN: 0
; COMPUTE_PGM_RSRC2:USER_SGPR: 2
; COMPUTE_PGM_RSRC2:TRAP_HANDLER: 0
; COMPUTE_PGM_RSRC2:TGID_X_EN: 1
; COMPUTE_PGM_RSRC2:TGID_Y_EN: 0
; COMPUTE_PGM_RSRC2:TGID_Z_EN: 0
; COMPUTE_PGM_RSRC2:TIDIG_COMP_CNT: 0
; COMPUTE_PGM_RSRC3_GFX90A:ACCUM_OFFSET: 5
; COMPUTE_PGM_RSRC3_GFX90A:TG_SPLIT: 0
	.section	.text._ZN5aiter23act_and_mul_bias_kernelIttifTnPFfRKT2_EXadL_ZNS_11silu_kernelIfEEfRKT_EELi2EEEvPT0_PS8_PKT1_PS2_il,"axG",@progbits,_ZN5aiter23act_and_mul_bias_kernelIttifTnPFfRKT2_EXadL_ZNS_11silu_kernelIfEEfRKT_EELi2EEEvPT0_PS8_PKT1_PS2_il,comdat
	.protected	_ZN5aiter23act_and_mul_bias_kernelIttifTnPFfRKT2_EXadL_ZNS_11silu_kernelIfEEfRKT_EELi2EEEvPT0_PS8_PKT1_PS2_il ; -- Begin function _ZN5aiter23act_and_mul_bias_kernelIttifTnPFfRKT2_EXadL_ZNS_11silu_kernelIfEEfRKT_EELi2EEEvPT0_PS8_PKT1_PS2_il
	.globl	_ZN5aiter23act_and_mul_bias_kernelIttifTnPFfRKT2_EXadL_ZNS_11silu_kernelIfEEfRKT_EELi2EEEvPT0_PS8_PKT1_PS2_il
	.p2align	8
	.type	_ZN5aiter23act_and_mul_bias_kernelIttifTnPFfRKT2_EXadL_ZNS_11silu_kernelIfEEfRKT_EELi2EEEvPT0_PS8_PKT1_PS2_il,@function
_ZN5aiter23act_and_mul_bias_kernelIttifTnPFfRKT2_EXadL_ZNS_11silu_kernelIfEEfRKT_EELi2EEEvPT0_PS8_PKT1_PS2_il: ; @_ZN5aiter23act_and_mul_bias_kernelIttifTnPFfRKT2_EXadL_ZNS_11silu_kernelIfEEfRKT_EELi2EEEvPT0_PS8_PKT1_PS2_il
; %bb.0:
	s_load_dword s24, s[0:1], 0x20
	s_load_dwordx2 s[4:5], s[0:1], 0x10
	s_load_dwordx2 s[12:13], s[0:1], 0x28
	s_mov_b32 s3, 0
	s_lshl_b64 s[6:7], s[2:3], 2
	s_waitcnt lgkmcnt(0)
	s_ashr_i32 s25, s24, 31
	s_add_u32 s4, s4, s6
	s_addc_u32 s5, s5, s7
	s_add_i32 s3, s24, 1
	s_load_dword s8, s[4:5], 0x0
	s_load_dwordx2 s[14:15], s[0:1], 0x0
	s_lshr_b32 s4, s3, 31
	s_add_i32 s3, s3, s4
	s_lshl_b32 s3, s3, 1
	s_and_b32 s6, s3, -4
	s_mul_hi_u32 s3, s24, s2
	s_mul_i32 s4, s25, s2
	s_add_i32 s5, s3, s4
	s_mul_i32 s4, s24, s2
	s_waitcnt lgkmcnt(0)
	s_ashr_i32 s9, s8, 31
	s_lshl_b64 s[4:5], s[4:5], 1
	v_mov_b64_e32 v[2:3], s[12:13]
	v_cmp_gt_i64_e64 s[16:17], s[8:9], -1
	s_add_u32 s4, s14, s4
	v_cmp_lt_i64_e32 vcc, s[8:9], v[2:3]
	s_addc_u32 s3, s15, s5
	s_and_b64 s[12:13], s[16:17], vcc
	s_mov_b64 s[10:11], -1
	s_and_b32 s5, s3, 0xffff
	s_and_b64 vcc, exec, s[12:13]
	v_lshlrev_b32_e32 v2, 1, v0
	s_cbranch_vccnz .LBB188_5
; %bb.1:
	v_cmp_gt_i32_e32 vcc, s24, v2
	s_and_saveexec_b64 s[10:11], vcc
	s_cbranch_execz .LBB188_4
; %bb.2:
	s_load_dword s3, s[0:1], 0x3c
	v_mov_b32_e32 v3, 0
	s_mov_b32 s13, 0
	v_lshlrev_b32_e32 v4, 2, v0
	s_mov_b64 s[14:15], 0
	s_waitcnt lgkmcnt(0)
	s_and_b32 s3, s3, 0xffff
	s_lshl_b32 s12, s3, 1
	s_lshl_b32 s3, s3, 2
	s_mov_b32 s7, 0x20000
	v_mov_b64_e32 v[0:1], v[2:3]
.LBB188_3:                              ; =>This Inner Loop Header: Depth=1
	v_lshl_add_u64 v[0:1], s[12:13], 0, v[0:1]
	v_cmp_le_i64_e32 vcc, s[24:25], v[0:1]
	buffer_store_dword v3, v4, s[4:7], 0 offen
	s_or_b64 s[14:15], vcc, s[14:15]
	v_add_u32_e32 v4, s3, v4
	s_andn2_b64 exec, exec, s[14:15]
	s_cbranch_execnz .LBB188_3
.LBB188_4:
	s_or_b64 exec, exec, s[10:11]
	s_mov_b64 s[10:11], 0
.LBB188_5:
	s_andn2_b64 vcc, exec, s[10:11]
	s_cbranch_vccnz .LBB188_9
; %bb.6:
	v_cmp_gt_i32_e32 vcc, s24, v2
	s_and_saveexec_b64 s[10:11], vcc
	s_cbranch_execz .LBB188_9
; %bb.7:
	s_load_dwordx2 s[10:11], s[0:1], 0x18
	s_load_dwordx2 s[14:15], s[0:1], 0x8
	s_mul_hi_i32 s9, s24, s8
	s_mul_i32 s8, s24, s8
	s_lshl_b64 s[8:9], s[8:9], 3
	s_waitcnt lgkmcnt(0)
	s_add_u32 s8, s10, s8
	s_addc_u32 s3, s11, s9
	s_lshl_b64 s[10:11], s[24:25], 2
	s_add_u32 s12, s8, s10
	s_addc_u32 s13, s3, s11
	s_and_b32 s9, s3, 0xffff
	s_mul_i32 s3, s2, s25
	s_mul_hi_u32 s16, s2, s24
	s_add_i32 s3, s16, s3
	s_mul_i32 s2, s2, s24
	s_lshl_b32 s10, s24, 2
	s_and_b32 s13, s13, 0xffff
	s_lshl_b64 s[2:3], s[2:3], 2
	s_add_u32 s16, s14, s2
	s_addc_u32 s14, s15, s3
	s_lshl_b64 s[2:3], s[24:25], 1
	s_add_u32 s20, s16, s2
	s_addc_u32 s2, s14, s3
	s_and_b32 s17, s14, 0xffff
	s_and_b32 s21, s2, 0xffff
	s_mov_b32 s7, 0x20000
	s_add_u32 s2, s0, 48
	s_mov_b32 s11, s7
	v_mov_b32_e32 v3, 0
	s_addc_u32 s3, s1, 0
	s_mov_b64 s[26:27], 0
	s_mov_b32 s18, s6
	s_mov_b32 s19, s7
	;; [unrolled: 1-line block ×6, first 2 shown]
	v_mov_b32_e32 v0, 0x7f800000
	s_mov_b32 s34, 0x7060302
	s_mov_b32 s22, s6
	;; [unrolled: 1-line block ×3, first 2 shown]
.LBB188_8:                              ; =>This Inner Loop Header: Depth=1
	v_lshlrev_b32_e32 v8, 2, v2
	v_lshlrev_b32_e32 v1, 1, v2
	s_mov_b32 s14, s10
	s_mov_b32 s15, s11
	buffer_load_dwordx2 v[4:5], v8, s[8:11], 0 offen
	buffer_load_dword v10, v1, s[16:19], 0 offen
	buffer_load_dword v12, v1, s[20:23], 0 offen
	buffer_load_dwordx2 v[6:7], v8, s[12:15], 0 offen
	s_waitcnt vmcnt(2)
	v_and_b32_e32 v9, 0xffff0000, v10
	v_lshlrev_b32_e32 v8, 16, v10
	v_pk_add_f32 v[4:5], v[4:5], v[8:9]
	s_waitcnt vmcnt(1)
	v_and_b32_e32 v11, 0xffff0000, v12
	v_mul_f32_e32 v8, 0xbfb8aa3b, v5
	v_mul_f32_e32 v9, 0xbfb8aa3b, v4
	v_fma_f32 v10, v5, s30, -v8
	v_rndne_f32_e32 v13, v8
	v_fma_f32 v14, v4, s30, -v9
	v_rndne_f32_e32 v15, v9
	v_fmac_f32_e32 v10, 0xb2a5705f, v5
	v_sub_f32_e32 v8, v8, v13
	v_fmac_f32_e32 v14, 0xb2a5705f, v4
	v_sub_f32_e32 v9, v9, v15
	v_add_f32_e32 v8, v8, v10
	v_add_f32_e32 v9, v9, v14
	v_cvt_i32_f32_e32 v13, v13
	v_cvt_i32_f32_e32 v15, v15
	v_exp_f32_e32 v8, v8
	v_exp_f32_e32 v9, v9
	v_cmp_nlt_f32_e32 vcc, s31, v4
	v_cmp_nlt_f32_e64 s[0:1], s31, v5
	v_ldexp_f32 v8, v8, v13
	v_ldexp_f32 v9, v9, v15
	v_cndmask_b32_e64 v8, 0, v8, s[0:1]
	v_cndmask_b32_e32 v9, 0, v9, vcc
	v_cmp_ngt_f32_e32 vcc, s33, v4
	v_cmp_ngt_f32_e64 s[0:1], s33, v5
	s_nop 0
	v_cndmask_b32_e32 v9, v0, v9, vcc
	v_cndmask_b32_e64 v8, v0, v8, s[0:1]
	v_add_f32_e32 v8, 1.0, v8
	v_add_f32_e32 v10, 1.0, v9
	v_rcp_f32_e32 v9, v8
	v_rcp_f32_e32 v8, v10
	v_lshlrev_b32_e32 v10, 16, v12
	s_waitcnt vmcnt(0)
	v_pk_add_f32 v[6:7], v[6:7], v[10:11]
	v_pk_mul_f32 v[4:5], v[4:5], v[8:9]
	s_nop 0
	;;#ASMSTART
	v_pk_mul_f32 v[4:5], v[4:5], v[6:7]
	;;#ASMEND
	s_load_dword s0, s[2:3], 0xc
	v_perm_b32 v4, v5, v4, s34
	buffer_store_dword v4, v1, s[4:7], 0 offen
	s_waitcnt lgkmcnt(0)
	s_and_b32 s0, s0, 0xffff
	s_lshl_b32 s28, s0, 1
	v_lshl_add_u64 v[2:3], s[28:29], 0, v[2:3]
	v_cmp_le_i64_e32 vcc, s[24:25], v[2:3]
	s_or_b64 s[26:27], vcc, s[26:27]
	s_andn2_b64 exec, exec, s[26:27]
	s_cbranch_execnz .LBB188_8
.LBB188_9:
	s_endpgm
	.section	.rodata,"a",@progbits
	.p2align	6, 0x0
	.amdhsa_kernel _ZN5aiter23act_and_mul_bias_kernelIttifTnPFfRKT2_EXadL_ZNS_11silu_kernelIfEEfRKT_EELi2EEEvPT0_PS8_PKT1_PS2_il
		.amdhsa_group_segment_fixed_size 0
		.amdhsa_private_segment_fixed_size 0
		.amdhsa_kernarg_size 304
		.amdhsa_user_sgpr_count 2
		.amdhsa_user_sgpr_dispatch_ptr 0
		.amdhsa_user_sgpr_queue_ptr 0
		.amdhsa_user_sgpr_kernarg_segment_ptr 1
		.amdhsa_user_sgpr_dispatch_id 0
		.amdhsa_user_sgpr_kernarg_preload_length 0
		.amdhsa_user_sgpr_kernarg_preload_offset 0
		.amdhsa_user_sgpr_private_segment_size 0
		.amdhsa_uses_dynamic_stack 0
		.amdhsa_enable_private_segment 0
		.amdhsa_system_sgpr_workgroup_id_x 1
		.amdhsa_system_sgpr_workgroup_id_y 0
		.amdhsa_system_sgpr_workgroup_id_z 0
		.amdhsa_system_sgpr_workgroup_info 0
		.amdhsa_system_vgpr_workitem_id 0
		.amdhsa_next_free_vgpr 16
		.amdhsa_next_free_sgpr 35
		.amdhsa_accum_offset 16
		.amdhsa_reserve_vcc 1
		.amdhsa_float_round_mode_32 0
		.amdhsa_float_round_mode_16_64 0
		.amdhsa_float_denorm_mode_32 3
		.amdhsa_float_denorm_mode_16_64 3
		.amdhsa_dx10_clamp 1
		.amdhsa_ieee_mode 1
		.amdhsa_fp16_overflow 0
		.amdhsa_tg_split 0
		.amdhsa_exception_fp_ieee_invalid_op 0
		.amdhsa_exception_fp_denorm_src 0
		.amdhsa_exception_fp_ieee_div_zero 0
		.amdhsa_exception_fp_ieee_overflow 0
		.amdhsa_exception_fp_ieee_underflow 0
		.amdhsa_exception_fp_ieee_inexact 0
		.amdhsa_exception_int_div_zero 0
	.end_amdhsa_kernel
	.section	.text._ZN5aiter23act_and_mul_bias_kernelIttifTnPFfRKT2_EXadL_ZNS_11silu_kernelIfEEfRKT_EELi2EEEvPT0_PS8_PKT1_PS2_il,"axG",@progbits,_ZN5aiter23act_and_mul_bias_kernelIttifTnPFfRKT2_EXadL_ZNS_11silu_kernelIfEEfRKT_EELi2EEEvPT0_PS8_PKT1_PS2_il,comdat
.Lfunc_end188:
	.size	_ZN5aiter23act_and_mul_bias_kernelIttifTnPFfRKT2_EXadL_ZNS_11silu_kernelIfEEfRKT_EELi2EEEvPT0_PS8_PKT1_PS2_il, .Lfunc_end188-_ZN5aiter23act_and_mul_bias_kernelIttifTnPFfRKT2_EXadL_ZNS_11silu_kernelIfEEfRKT_EELi2EEEvPT0_PS8_PKT1_PS2_il
                                        ; -- End function
	.section	.AMDGPU.csdata,"",@progbits
; Kernel info:
; codeLenInByte = 872
; NumSgprs: 41
; NumVgprs: 16
; NumAgprs: 0
; TotalNumVgprs: 16
; ScratchSize: 0
; MemoryBound: 0
; FloatMode: 240
; IeeeMode: 1
; LDSByteSize: 0 bytes/workgroup (compile time only)
; SGPRBlocks: 5
; VGPRBlocks: 1
; NumSGPRsForWavesPerEU: 41
; NumVGPRsForWavesPerEU: 16
; AccumOffset: 16
; Occupancy: 8
; WaveLimiterHint : 0
; COMPUTE_PGM_RSRC2:SCRATCH_EN: 0
; COMPUTE_PGM_RSRC2:USER_SGPR: 2
; COMPUTE_PGM_RSRC2:TRAP_HANDLER: 0
; COMPUTE_PGM_RSRC2:TGID_X_EN: 1
; COMPUTE_PGM_RSRC2:TGID_Y_EN: 0
; COMPUTE_PGM_RSRC2:TGID_Z_EN: 0
; COMPUTE_PGM_RSRC2:TIDIG_COMP_CNT: 0
; COMPUTE_PGM_RSRC3_GFX90A:ACCUM_OFFSET: 3
; COMPUTE_PGM_RSRC3_GFX90A:TG_SPLIT: 0
	.section	.text._ZN5aiter23act_and_mul_bias_kernelIttifTnPFfRKT2_EXadL_ZNS_11silu_kernelIfEEfRKT_EELi1EEEvPT0_PS8_PKT1_PS2_il,"axG",@progbits,_ZN5aiter23act_and_mul_bias_kernelIttifTnPFfRKT2_EXadL_ZNS_11silu_kernelIfEEfRKT_EELi1EEEvPT0_PS8_PKT1_PS2_il,comdat
	.protected	_ZN5aiter23act_and_mul_bias_kernelIttifTnPFfRKT2_EXadL_ZNS_11silu_kernelIfEEfRKT_EELi1EEEvPT0_PS8_PKT1_PS2_il ; -- Begin function _ZN5aiter23act_and_mul_bias_kernelIttifTnPFfRKT2_EXadL_ZNS_11silu_kernelIfEEfRKT_EELi1EEEvPT0_PS8_PKT1_PS2_il
	.globl	_ZN5aiter23act_and_mul_bias_kernelIttifTnPFfRKT2_EXadL_ZNS_11silu_kernelIfEEfRKT_EELi1EEEvPT0_PS8_PKT1_PS2_il
	.p2align	8
	.type	_ZN5aiter23act_and_mul_bias_kernelIttifTnPFfRKT2_EXadL_ZNS_11silu_kernelIfEEfRKT_EELi1EEEvPT0_PS8_PKT1_PS2_il,@function
_ZN5aiter23act_and_mul_bias_kernelIttifTnPFfRKT2_EXadL_ZNS_11silu_kernelIfEEfRKT_EELi1EEEvPT0_PS8_PKT1_PS2_il: ; @_ZN5aiter23act_and_mul_bias_kernelIttifTnPFfRKT2_EXadL_ZNS_11silu_kernelIfEEfRKT_EELi1EEEvPT0_PS8_PKT1_PS2_il
; %bb.0:
	s_load_dword s20, s[0:1], 0x20
	s_load_dwordx2 s[4:5], s[0:1], 0x10
	s_load_dwordx2 s[14:15], s[0:1], 0x28
	s_mov_b32 s3, 0
	s_lshl_b64 s[6:7], s[2:3], 2
	s_waitcnt lgkmcnt(0)
	s_ashr_i32 s21, s20, 31
	s_add_u32 s4, s4, s6
	s_addc_u32 s5, s5, s7
	s_add_i32 s3, s20, 1
	s_lshr_b32 s10, s3, 31
	s_load_dword s6, s[4:5], 0x0
	s_load_dwordx2 s[8:9], s[0:1], 0x0
	s_add_i32 s3, s3, s10
	s_lshl_b32 s3, s3, 1
	s_and_b32 s10, s3, -4
	s_mul_hi_u32 s3, s20, s2
	s_mul_i32 s11, s21, s2
	s_add_i32 s17, s3, s11
	s_mul_i32 s16, s20, s2
	s_waitcnt lgkmcnt(0)
	s_ashr_i32 s7, s6, 31
	s_lshl_b64 s[16:17], s[16:17], 1
	v_mov_b64_e32 v[2:3], s[14:15]
	v_cmp_gt_i64_e64 s[4:5], s[6:7], -1
	s_add_u32 s8, s8, s16
	v_cmp_lt_i64_e32 vcc, s[6:7], v[2:3]
	s_addc_u32 s3, s9, s17
	s_and_b64 s[4:5], s[4:5], vcc
	s_mov_b64 s[12:13], -1
	s_and_b32 s9, s3, 0xffff
	s_and_b64 vcc, exec, s[4:5]
	v_cmp_gt_i32_e64 s[4:5], s20, v0
	s_cbranch_vccnz .LBB189_5
; %bb.1:
	s_and_saveexec_b64 s[12:13], s[4:5]
	s_cbranch_execz .LBB189_4
; %bb.2:
	s_load_dword s3, s[0:1], 0x3c
	v_mov_b32_e32 v1, 0
	s_mov_b32 s5, 0
	v_lshlrev_b32_e32 v4, 1, v0
	s_mov_b64 s[14:15], 0
	s_waitcnt lgkmcnt(0)
	s_and_b32 s4, s3, 0xffff
	s_lshl_b32 s3, s4, 1
	s_mov_b32 s11, 0x20000
	v_mov_b64_e32 v[2:3], v[0:1]
.LBB189_3:                              ; =>This Inner Loop Header: Depth=1
	v_lshl_add_u64 v[2:3], v[2:3], 0, s[4:5]
	v_cmp_le_i64_e32 vcc, s[20:21], v[2:3]
	buffer_store_short v1, v4, s[8:11], 0 offen
	s_or_b64 s[14:15], vcc, s[14:15]
	v_add_u32_e32 v4, s3, v4
	s_andn2_b64 exec, exec, s[14:15]
	s_cbranch_execnz .LBB189_3
.LBB189_4:
	s_or_b64 exec, exec, s[12:13]
	s_mov_b64 s[12:13], 0
.LBB189_5:
	s_andn2_b64 vcc, exec, s[12:13]
	s_cbranch_vccnz .LBB189_9
; %bb.6:
	v_cmp_gt_i32_e32 vcc, s20, v0
	s_and_saveexec_b64 s[4:5], vcc
	s_cbranch_execz .LBB189_9
; %bb.7:
	s_load_dwordx2 s[12:13], s[0:1], 0x8
	s_load_dwordx2 s[4:5], s[0:1], 0x18
	s_mul_hi_i32 s7, s20, s6
	s_mul_i32 s6, s20, s6
	s_lshl_b64 s[6:7], s[6:7], 3
	s_load_dword s14, s[0:1], 0x3c
	s_waitcnt lgkmcnt(0)
	s_add_u32 s4, s4, s6
	s_addc_u32 s3, s5, s7
	s_lshl_b64 s[0:1], s[20:21], 2
	s_add_u32 s0, s4, s0
	s_addc_u32 s1, s3, s1
	s_and_b32 s5, s3, 0xffff
	s_mul_i32 s3, s2, s21
	s_mul_hi_u32 s15, s2, s20
	s_add_i32 s3, s15, s3
	s_mul_i32 s2, s2, s20
	s_lshl_b32 s6, s20, 2
	s_and_b32 s1, s1, 0xffff
	s_lshl_b64 s[2:3], s[2:3], 2
	s_add_u32 s12, s12, s2
	s_addc_u32 s13, s13, s3
	s_lshl_b64 s[2:3], s[20:21], 1
	s_add_u32 s16, s12, s2
	s_mov_b32 s11, 0x20000
	s_addc_u32 s2, s13, s3
	s_and_b32 s22, s14, 0xffff
	s_mov_b32 s7, s11
	s_and_b32 s13, s13, 0xffff
	s_and_b32 s17, s2, 0xffff
	s_mov_b32 s23, 0
	v_mov_b32_e32 v1, 0
	v_lshlrev_b32_e32 v2, 2, v0
	s_lshl_b32 s26, s22, 2
	v_lshlrev_b32_e32 v3, 1, v0
	s_lshl_b32 s27, s22, 1
	s_mov_b64 s[24:25], 0
	s_mov_b32 s14, s10
	s_mov_b32 s15, s11
	;; [unrolled: 1-line block ×5, first 2 shown]
	v_mov_b32_e32 v4, 0x7f800000
	s_mov_b32 s18, s10
	s_mov_b32 s19, s11
.LBB189_8:                              ; =>This Inner Loop Header: Depth=1
	buffer_load_ushort v5, v3, s[12:15], 0 offen
	buffer_load_ushort v8, v3, s[16:19], 0 offen
	s_mov_b32 s2, s6
	s_mov_b32 s3, s7
	buffer_load_dword v7, v2, s[4:7], 0 offen
	buffer_load_dword v6, v2, s[0:3], 0 offen
	v_lshl_add_u64 v[0:1], v[0:1], 0, s[22:23]
	v_add_u32_e32 v2, s26, v2
	s_waitcnt vmcnt(3)
	v_lshlrev_b32_e32 v9, 16, v5
	s_waitcnt vmcnt(2)
	v_lshlrev_b32_e32 v8, 16, v8
	s_waitcnt vmcnt(0)
	v_pk_add_f32 v[6:7], v[8:9], v[6:7]
	s_nop 0
	v_mul_f32_e32 v5, 0xbfb8aa3b, v7
	v_fma_f32 v8, v7, s28, -v5
	v_rndne_f32_e32 v9, v5
	v_fmac_f32_e32 v8, 0xb2a5705f, v7
	v_sub_f32_e32 v5, v5, v9
	v_add_f32_e32 v5, v5, v8
	v_cvt_i32_f32_e32 v9, v9
	v_exp_f32_e32 v5, v5
	v_cmp_nlt_f32_e32 vcc, s29, v7
	v_ldexp_f32 v5, v5, v9
	s_nop 0
	v_cndmask_b32_e32 v5, 0, v5, vcc
	v_cmp_ngt_f32_e32 vcc, s30, v7
	s_nop 1
	v_cndmask_b32_e32 v5, v4, v5, vcc
	v_add_f32_e32 v5, 1.0, v5
	v_rcp_f32_e32 v5, v5
	v_cmp_le_i64_e32 vcc, s[20:21], v[0:1]
	s_or_b64 s[24:25], vcc, s[24:25]
	v_mul_f32_e32 v5, v7, v5
	v_mul_f32_e32 v5, v6, v5
	v_lshrrev_b32_e32 v5, 16, v5
	buffer_store_short v5, v3, s[8:11], 0 offen
	v_add_u32_e32 v3, s27, v3
	s_andn2_b64 exec, exec, s[24:25]
	s_cbranch_execnz .LBB189_8
.LBB189_9:
	s_endpgm
	.section	.rodata,"a",@progbits
	.p2align	6, 0x0
	.amdhsa_kernel _ZN5aiter23act_and_mul_bias_kernelIttifTnPFfRKT2_EXadL_ZNS_11silu_kernelIfEEfRKT_EELi1EEEvPT0_PS8_PKT1_PS2_il
		.amdhsa_group_segment_fixed_size 0
		.amdhsa_private_segment_fixed_size 0
		.amdhsa_kernarg_size 304
		.amdhsa_user_sgpr_count 2
		.amdhsa_user_sgpr_dispatch_ptr 0
		.amdhsa_user_sgpr_queue_ptr 0
		.amdhsa_user_sgpr_kernarg_segment_ptr 1
		.amdhsa_user_sgpr_dispatch_id 0
		.amdhsa_user_sgpr_kernarg_preload_length 0
		.amdhsa_user_sgpr_kernarg_preload_offset 0
		.amdhsa_user_sgpr_private_segment_size 0
		.amdhsa_uses_dynamic_stack 0
		.amdhsa_enable_private_segment 0
		.amdhsa_system_sgpr_workgroup_id_x 1
		.amdhsa_system_sgpr_workgroup_id_y 0
		.amdhsa_system_sgpr_workgroup_id_z 0
		.amdhsa_system_sgpr_workgroup_info 0
		.amdhsa_system_vgpr_workitem_id 0
		.amdhsa_next_free_vgpr 10
		.amdhsa_next_free_sgpr 31
		.amdhsa_accum_offset 12
		.amdhsa_reserve_vcc 1
		.amdhsa_float_round_mode_32 0
		.amdhsa_float_round_mode_16_64 0
		.amdhsa_float_denorm_mode_32 3
		.amdhsa_float_denorm_mode_16_64 3
		.amdhsa_dx10_clamp 1
		.amdhsa_ieee_mode 1
		.amdhsa_fp16_overflow 0
		.amdhsa_tg_split 0
		.amdhsa_exception_fp_ieee_invalid_op 0
		.amdhsa_exception_fp_denorm_src 0
		.amdhsa_exception_fp_ieee_div_zero 0
		.amdhsa_exception_fp_ieee_overflow 0
		.amdhsa_exception_fp_ieee_underflow 0
		.amdhsa_exception_fp_ieee_inexact 0
		.amdhsa_exception_int_div_zero 0
	.end_amdhsa_kernel
	.section	.text._ZN5aiter23act_and_mul_bias_kernelIttifTnPFfRKT2_EXadL_ZNS_11silu_kernelIfEEfRKT_EELi1EEEvPT0_PS8_PKT1_PS2_il,"axG",@progbits,_ZN5aiter23act_and_mul_bias_kernelIttifTnPFfRKT2_EXadL_ZNS_11silu_kernelIfEEfRKT_EELi1EEEvPT0_PS8_PKT1_PS2_il,comdat
.Lfunc_end189:
	.size	_ZN5aiter23act_and_mul_bias_kernelIttifTnPFfRKT2_EXadL_ZNS_11silu_kernelIfEEfRKT_EELi1EEEvPT0_PS8_PKT1_PS2_il, .Lfunc_end189-_ZN5aiter23act_and_mul_bias_kernelIttifTnPFfRKT2_EXadL_ZNS_11silu_kernelIfEEfRKT_EELi1EEEvPT0_PS8_PKT1_PS2_il
                                        ; -- End function
	.section	.AMDGPU.csdata,"",@progbits
; Kernel info:
; codeLenInByte = 736
; NumSgprs: 37
; NumVgprs: 10
; NumAgprs: 0
; TotalNumVgprs: 10
; ScratchSize: 0
; MemoryBound: 0
; FloatMode: 240
; IeeeMode: 1
; LDSByteSize: 0 bytes/workgroup (compile time only)
; SGPRBlocks: 4
; VGPRBlocks: 1
; NumSGPRsForWavesPerEU: 37
; NumVGPRsForWavesPerEU: 10
; AccumOffset: 12
; Occupancy: 8
; WaveLimiterHint : 0
; COMPUTE_PGM_RSRC2:SCRATCH_EN: 0
; COMPUTE_PGM_RSRC2:USER_SGPR: 2
; COMPUTE_PGM_RSRC2:TRAP_HANDLER: 0
; COMPUTE_PGM_RSRC2:TGID_X_EN: 1
; COMPUTE_PGM_RSRC2:TGID_Y_EN: 0
; COMPUTE_PGM_RSRC2:TGID_Z_EN: 0
; COMPUTE_PGM_RSRC2:TIDIG_COMP_CNT: 0
; COMPUTE_PGM_RSRC3_GFX90A:ACCUM_OFFSET: 2
; COMPUTE_PGM_RSRC3_GFX90A:TG_SPLIT: 0
	.section	.text._ZN5aiter23act_and_mul_bias_kernelIftlfTnPFfRKT2_EXadL_ZNS_11silu_kernelIfEEfRKT_EELi16EEEvPT0_PS8_PKT1_PS2_il,"axG",@progbits,_ZN5aiter23act_and_mul_bias_kernelIftlfTnPFfRKT2_EXadL_ZNS_11silu_kernelIfEEfRKT_EELi16EEEvPT0_PS8_PKT1_PS2_il,comdat
	.protected	_ZN5aiter23act_and_mul_bias_kernelIftlfTnPFfRKT2_EXadL_ZNS_11silu_kernelIfEEfRKT_EELi16EEEvPT0_PS8_PKT1_PS2_il ; -- Begin function _ZN5aiter23act_and_mul_bias_kernelIftlfTnPFfRKT2_EXadL_ZNS_11silu_kernelIfEEfRKT_EELi16EEEvPT0_PS8_PKT1_PS2_il
	.globl	_ZN5aiter23act_and_mul_bias_kernelIftlfTnPFfRKT2_EXadL_ZNS_11silu_kernelIfEEfRKT_EELi16EEEvPT0_PS8_PKT1_PS2_il
	.p2align	8
	.type	_ZN5aiter23act_and_mul_bias_kernelIftlfTnPFfRKT2_EXadL_ZNS_11silu_kernelIfEEfRKT_EELi16EEEvPT0_PS8_PKT1_PS2_il,@function
_ZN5aiter23act_and_mul_bias_kernelIftlfTnPFfRKT2_EXadL_ZNS_11silu_kernelIfEEfRKT_EELi16EEEvPT0_PS8_PKT1_PS2_il: ; @_ZN5aiter23act_and_mul_bias_kernelIftlfTnPFfRKT2_EXadL_ZNS_11silu_kernelIfEEfRKT_EELi16EEEvPT0_PS8_PKT1_PS2_il
; %bb.0:
	s_load_dwordx2 s[6:7], s[0:1], 0x0
	s_load_dwordx2 s[4:5], s[0:1], 0x10
	s_load_dword s30, s[0:1], 0x20
	s_load_dwordx2 s[8:9], s[0:1], 0x28
	s_mov_b32 s3, 0
	s_lshl_b64 s[10:11], s[2:3], 3
	s_waitcnt lgkmcnt(0)
	s_add_u32 s4, s4, s10
	s_addc_u32 s5, s5, s11
	s_ashr_i32 s31, s30, 31
	s_mul_hi_u32 s3, s30, s2
	s_mul_i32 s10, s31, s2
	s_load_dwordx2 s[4:5], s[4:5], 0x0
	s_add_i32 s11, s3, s10
	s_mul_i32 s10, s30, s2
	s_lshl_b64 s[10:11], s[10:11], 1
	s_add_u32 s36, s6, s10
	s_addc_u32 s3, s7, s11
	s_add_i32 s6, s30, 1
	s_lshr_b32 s7, s6, 31
	v_mov_b64_e32 v[2:3], s[8:9]
	s_add_i32 s6, s6, s7
	s_waitcnt lgkmcnt(0)
	v_cmp_gt_i64_e64 s[10:11], s[4:5], -1
	v_cmp_lt_i64_e32 vcc, s[4:5], v[2:3]
	s_lshl_b32 s6, s6, 1
	s_and_b64 s[8:9], s[10:11], vcc
	s_and_b32 s38, s6, -4
	s_and_b32 s37, s3, 0xffff
	s_mov_b64 s[6:7], -1
	s_and_b64 vcc, exec, s[8:9]
	v_lshlrev_b32_e32 v52, 4, v0
	s_cbranch_vccnz .LBB190_5
; %bb.1:
	v_cmp_gt_i32_e32 vcc, s30, v52
	s_and_saveexec_b64 s[6:7], vcc
	s_cbranch_execz .LBB190_4
; %bb.2:
	s_load_dword s3, s[0:1], 0x3c
	s_mov_b32 s9, 0
	s_mov_b32 s12, s9
	;; [unrolled: 1-line block ×3, first 2 shown]
	v_mov_b32_e32 v53, 0
	v_lshlrev_b32_e32 v6, 5, v0
	s_waitcnt lgkmcnt(0)
	s_and_b32 s3, s3, 0xffff
	s_mov_b32 s14, s9
	s_mov_b32 s15, s9
	v_mov_b64_e32 v[0:1], s[12:13]
	s_lshl_b32 s8, s3, 4
	s_lshl_b32 s3, s3, 5
	s_mov_b64 s[10:11], 0
	s_mov_b32 s39, 0x20000
	v_mov_b64_e32 v[2:3], s[14:15]
	v_mov_b64_e32 v[4:5], v[52:53]
.LBB190_3:                              ; =>This Inner Loop Header: Depth=1
	v_lshl_add_u64 v[4:5], s[8:9], 0, v[4:5]
	v_cmp_le_i64_e32 vcc, s[30:31], v[4:5]
	buffer_store_dwordx4 v[0:3], v6, s[36:39], 0 offen
	buffer_store_dwordx4 v[0:3], v6, s[36:39], 16 offen
	s_or_b64 s[10:11], vcc, s[10:11]
	v_add_u32_e32 v6, s3, v6
	s_andn2_b64 exec, exec, s[10:11]
	s_cbranch_execnz .LBB190_3
.LBB190_4:
	s_or_b64 exec, exec, s[6:7]
	s_mov_b64 s[6:7], 0
.LBB190_5:
	s_andn2_b64 vcc, exec, s[6:7]
	s_cbranch_vccnz .LBB190_9
; %bb.6:
	v_cmp_gt_i32_e32 vcc, s30, v52
	s_and_saveexec_b64 s[6:7], vcc
	s_cbranch_execz .LBB190_9
; %bb.7:
	s_load_dwordx2 s[6:7], s[0:1], 0x8
	s_load_dwordx2 s[8:9], s[0:1], 0x18
	s_mul_i32 s3, s30, s5
	s_mul_hi_u32 s5, s30, s4
	s_add_i32 s3, s5, s3
	s_mul_i32 s5, s31, s4
	s_add_i32 s5, s3, s5
	s_mul_i32 s4, s30, s4
	s_lshl_b32 s42, s30, 2
	s_lshl_b64 s[4:5], s[4:5], 3
	s_waitcnt lgkmcnt(0)
	s_add_u32 s44, s8, s4
	s_addc_u32 s3, s9, s5
	s_lshl_b64 s[4:5], s[30:31], 2
	s_add_u32 s40, s44, s4
	s_addc_u32 s8, s3, s5
	s_and_b32 s45, s3, 0xffff
	s_and_b32 s41, s8, 0xffff
	s_mul_i32 s3, s2, s31
	s_mul_hi_u32 s8, s2, s30
	s_add_i32 s3, s8, s3
	s_mul_i32 s2, s2, s30
	s_lshl_b64 s[2:3], s[2:3], 3
	s_add_u32 s48, s6, s2
	s_addc_u32 s2, s7, s3
	s_add_u32 s52, s48, s4
	s_addc_u32 s3, s2, s5
	s_and_b32 s49, s2, 0xffff
	s_and_b32 s53, s3, 0xffff
	s_mov_b32 s39, 0x20000
	s_add_u32 s34, s0, 48
	s_mov_b32 s43, s39
	v_mov_b32_e32 v53, 0
	s_addc_u32 s35, s1, 0
	s_mov_b64 s[56:57], 0
	s_mov_b32 s50, s42
	s_mov_b32 s51, s39
	;; [unrolled: 1-line block ×6, first 2 shown]
	v_mov_b32_e32 v54, 0x7f800000
	s_mov_b32 s62, 0x7060302
	s_mov_b32 s54, s42
	;; [unrolled: 1-line block ×5, first 2 shown]
.LBB190_8:                              ; =>This Inner Loop Header: Depth=1
	v_lshlrev_b32_e32 v55, 2, v52
	buffer_load_dwordx4 v[24:27], v55, s[40:43], 0 offen
	buffer_load_dwordx4 v[36:39], v55, s[52:55], 0 offen
	;; [unrolled: 1-line block ×15, first 2 shown]
	s_waitcnt vmcnt(13)
	v_pk_add_f32 v[38:39], v[38:39], v[26:27]
	v_pk_add_f32 v[36:37], v[36:37], v[24:25]
	buffer_load_dwordx4 v[24:27], v55, s[44:47], 48 offen
	s_waitcnt vmcnt(11)
	v_pk_add_f32 v[28:29], v[28:29], v[44:45]
	s_waitcnt vmcnt(10)
	v_pk_add_f32 v[32:33], v[48:49], v[32:33]
	v_pk_add_f32 v[34:35], v[50:51], v[34:35]
	s_waitcnt vmcnt(8)
	v_pk_add_f32 v[42:43], v[42:43], v[58:59]
	v_pk_add_f32 v[40:41], v[40:41], v[56:57]
	v_pk_add_f32 v[30:31], v[30:31], v[46:47]
	v_cmp_nlt_f32_e32 vcc, s60, v34
	s_waitcnt vmcnt(4)
	v_pk_add_f32 v[6:7], v[6:7], v[22:23]
	s_waitcnt vmcnt(3)
	v_pk_add_f32 v[2:3], v[2:3], v[14:15]
	;; [unrolled: 2-line block ×3, first 2 shown]
	v_pk_add_f32 v[4:5], v[4:5], v[20:21]
	v_pk_add_f32 v[0:1], v[0:1], v[12:13]
	v_mul_f32_e32 v20, 0xbfb8aa3b, v40
	v_mul_f32_e32 v21, 0xbfb8aa3b, v41
	;; [unrolled: 1-line block ×4, first 2 shown]
	v_pk_add_f32 v[10:11], v[62:63], v[10:11]
	v_fma_f32 v59, v40, s33, -v20
	v_rndne_f32_e32 v60, v20
	v_fma_f32 v61, v41, s33, -v21
	v_rndne_f32_e32 v62, v21
	;; [unrolled: 2-line block ×4, first 2 shown]
	v_fmac_f32_e32 v59, 0xb2a5705f, v40
	v_sub_f32_e32 v20, v20, v60
	v_fmac_f32_e32 v61, 0xb2a5705f, v41
	v_sub_f32_e32 v21, v21, v62
	;; [unrolled: 2-line block ×4, first 2 shown]
	v_add_f32_e32 v20, v20, v59
	v_add_f32_e32 v21, v21, v61
	;; [unrolled: 1-line block ×4, first 2 shown]
	v_cvt_i32_f32_e32 v60, v60
	v_cvt_i32_f32_e32 v62, v62
	;; [unrolled: 1-line block ×4, first 2 shown]
	v_exp_f32_e32 v20, v20
	v_exp_f32_e32 v21, v21
	;; [unrolled: 1-line block ×4, first 2 shown]
	v_ldexp_f32 v20, v20, v60
	v_ldexp_f32 v21, v21, v62
	;; [unrolled: 1-line block ×4, first 2 shown]
	v_cmp_nlt_f32_e64 s[0:1], s60, v35
	v_cmp_nlt_f32_e64 s[2:3], s60, v40
	;; [unrolled: 1-line block ×11, first 2 shown]
	v_cndmask_b32_e64 v20, 0, v20, s[2:3]
	v_cmp_ngt_f32_e64 s[2:3], s61, v40
	v_cndmask_b32_e64 v21, 0, v21, s[4:5]
	v_cmp_ngt_f32_e64 s[4:5], s61, v41
	;; [unrolled: 2-line block ×4, first 2 shown]
	v_cndmask_b32_e64 v20, v54, v20, s[2:3]
	v_cndmask_b32_e64 v21, v54, v21, s[4:5]
	;; [unrolled: 1-line block ×4, first 2 shown]
	v_add_f32_e32 v20, 1.0, v20
	v_add_f32_e32 v21, 1.0, v21
	;; [unrolled: 1-line block ×4, first 2 shown]
	v_rcp_f32_e32 v20, v20
	v_rcp_f32_e32 v21, v21
	;; [unrolled: 1-line block ×3, first 2 shown]
	s_waitcnt vmcnt(0)
	v_pk_add_f32 v[14:15], v[16:17], v[24:25]
	v_mul_f32_e32 v16, 0xbfb8aa3b, v32
	v_fma_f32 v48, v32, s33, -v16
	v_rndne_f32_e32 v49, v16
	v_pk_add_f32 v[12:13], v[18:19], v[26:27]
	v_mul_f32_e32 v17, 0xbfb8aa3b, v33
	v_mul_f32_e32 v18, 0xbfb8aa3b, v34
	;; [unrolled: 1-line block ×4, first 2 shown]
	v_fmac_f32_e32 v48, 0xb2a5705f, v32
	v_sub_f32_e32 v16, v16, v49
	v_fma_f32 v50, v33, s33, -v17
	v_rndne_f32_e32 v51, v17
	v_fma_f32 v55, v34, s33, -v18
	v_rndne_f32_e32 v56, v18
	;; [unrolled: 2-line block ×3, first 2 shown]
	v_fma_f32 v67, v8, s33, -v24
	v_add_f32_e32 v16, v16, v48
	v_rndne_f32_e32 v48, v24
	v_mul_f32_e32 v25, 0xbfb8aa3b, v9
	v_mul_f32_e32 v26, 0xbfb8aa3b, v10
	;; [unrolled: 1-line block ×4, first 2 shown]
	v_fmac_f32_e32 v50, 0xb2a5705f, v33
	v_sub_f32_e32 v17, v17, v51
	v_fmac_f32_e32 v55, 0xb2a5705f, v34
	v_sub_f32_e32 v18, v18, v56
	;; [unrolled: 2-line block ×4, first 2 shown]
	v_add_f32_e32 v17, v17, v50
	v_fma_f32 v50, v9, s33, -v25
	v_add_f32_e32 v18, v18, v55
	v_rndne_f32_e32 v55, v25
	v_add_f32_e32 v19, v19, v57
	v_fma_f32 v57, v10, s33, -v26
	v_rndne_f32_e32 v59, v26
	v_fma_f32 v61, v11, s33, -v27
	v_rndne_f32_e32 v63, v27
	v_fma_f32 v65, v14, s33, -v44
	v_add_f32_e32 v24, v24, v67
	v_rndne_f32_e32 v67, v44
	v_mul_f32_e32 v45, 0xbfb8aa3b, v15
	v_mul_f32_e32 v46, 0xbfb8aa3b, v12
	v_fmac_f32_e32 v50, 0xb2a5705f, v9
	v_sub_f32_e32 v25, v25, v55
	v_fmac_f32_e32 v57, 0xb2a5705f, v10
	v_sub_f32_e32 v26, v26, v59
	;; [unrolled: 2-line block ×4, first 2 shown]
	v_add_f32_e32 v25, v25, v50
	v_fma_f32 v50, v15, s33, -v45
	v_add_f32_e32 v26, v26, v57
	v_rndne_f32_e32 v57, v45
	v_add_f32_e32 v27, v27, v61
	v_fma_f32 v61, v12, s33, -v46
	v_add_f32_e32 v44, v44, v65
	v_rndne_f32_e32 v65, v46
	v_mul_f32_e32 v47, 0xbfb8aa3b, v13
	v_fmac_f32_e32 v50, 0xb2a5705f, v15
	v_sub_f32_e32 v45, v45, v57
	v_fmac_f32_e32 v61, 0xb2a5705f, v12
	v_sub_f32_e32 v46, v46, v65
	v_add_f32_e32 v45, v45, v50
	v_fma_f32 v50, v13, s33, -v47
	v_add_f32_e32 v46, v46, v61
	v_rndne_f32_e32 v61, v47
	v_fmac_f32_e32 v50, 0xb2a5705f, v13
	v_sub_f32_e32 v47, v47, v61
	v_add_f32_e32 v47, v47, v50
	v_cvt_i32_f32_e32 v49, v49
	v_cvt_i32_f32_e32 v51, v51
	;; [unrolled: 1-line block ×8, first 2 shown]
	v_exp_f32_e32 v16, v16
	v_exp_f32_e32 v17, v17
	;; [unrolled: 1-line block ×8, first 2 shown]
	v_cvt_i32_f32_e32 v67, v67
	v_cvt_i32_f32_e32 v57, v57
	;; [unrolled: 1-line block ×4, first 2 shown]
	v_exp_f32_e32 v44, v44
	v_exp_f32_e32 v45, v45
	;; [unrolled: 1-line block ×4, first 2 shown]
	v_ldexp_f32 v16, v16, v49
	v_ldexp_f32 v17, v17, v51
	;; [unrolled: 1-line block ×11, first 2 shown]
	v_cmp_nlt_f32_e64 s[18:19], s60, v14
	v_cmp_nlt_f32_e64 s[20:21], s60, v15
	v_cmp_nlt_f32_e64 s[22:23], s60, v12
	v_ldexp_f32 v47, v47, v61
	v_cmp_nlt_f32_e64 s[24:25], s60, v13
	v_cndmask_b32_e64 v17, 0, v17, s[28:29]
	v_cmp_ngt_f32_e64 s[28:29], s61, v33
	v_cndmask_b32_e32 v18, 0, v18, vcc
	v_cmp_ngt_f32_e32 vcc, s61, v34
	v_cndmask_b32_e64 v16, 0, v16, s[26:27]
	v_cndmask_b32_e64 v19, 0, v19, s[0:1]
	v_cmp_ngt_f32_e64 s[0:1], s61, v35
	v_cndmask_b32_e64 v24, 0, v24, s[10:11]
	v_cmp_ngt_f32_e64 s[10:11], s61, v8
	;; [unrolled: 2-line block ×5, first 2 shown]
	v_cmp_ngt_f32_e64 s[26:27], s61, v32
	v_cndmask_b32_e64 v44, 0, v44, s[18:19]
	v_cmp_ngt_f32_e64 s[18:19], s61, v14
	v_cndmask_b32_e64 v45, 0, v45, s[20:21]
	;; [unrolled: 2-line block ×5, first 2 shown]
	v_cndmask_b32_e64 v17, v54, v17, s[28:29]
	v_cndmask_b32_e32 v18, v54, v18, vcc
	v_cndmask_b32_e64 v19, v54, v19, s[0:1]
	v_cndmask_b32_e64 v24, v54, v24, s[10:11]
	;; [unrolled: 1-line block ×9, first 2 shown]
	v_add_f32_e32 v16, 1.0, v16
	v_add_f32_e32 v17, 1.0, v17
	;; [unrolled: 1-line block ×12, first 2 shown]
	v_rcp_f32_e32 v16, v16
	v_rcp_f32_e32 v17, v17
	;; [unrolled: 1-line block ×13, first 2 shown]
	v_pk_mul_f32 v[16:17], v[32:33], v[16:17]
	v_pk_mul_f32 v[18:19], v[34:35], v[18:19]
	;; [unrolled: 1-line block ×8, first 2 shown]
	;;#ASMSTART
	v_pk_mul_f32 v[16:17], v[16:17], v[36:37]
	;;#ASMEND
	;;#ASMSTART
	v_pk_mul_f32 v[18:19], v[18:19], v[38:39]
	;;#ASMEND
	;; [unrolled: 3-line block ×7, first 2 shown]
	s_nop 0
	;;#ASMSTART
	v_pk_mul_f32 v[6:7], v[12:13], v[2:3]
	;;#ASMEND
	s_load_dword s0, s[34:35], 0xc
	v_lshlrev_b32_e32 v50, 1, v52
	v_perm_b32 v1, v19, v18, s62
	v_perm_b32 v3, v23, v22, s62
	;; [unrolled: 1-line block ×3, first 2 shown]
	s_waitcnt lgkmcnt(0)
	s_and_b32 s0, s0, 0xffff
	s_lshl_b32 s58, s0, 4
	v_lshl_add_u64 v[52:53], s[58:59], 0, v[52:53]
	v_cmp_le_i64_e32 vcc, s[30:31], v[52:53]
	v_perm_b32 v2, v21, v20, s62
	v_perm_b32 v5, v5, v4, s62
	v_perm_b32 v7, v7, v6, s62
	v_perm_b32 v4, v9, v8, s62
	v_perm_b32 v6, v11, v10, s62
	s_or_b64 s[56:57], vcc, s[56:57]
	buffer_store_dwordx4 v[0:3], v50, s[36:39], 0 offen
	buffer_store_dwordx4 v[4:7], v50, s[36:39], 16 offen
	s_andn2_b64 exec, exec, s[56:57]
	s_cbranch_execnz .LBB190_8
.LBB190_9:
	s_endpgm
	.section	.rodata,"a",@progbits
	.p2align	6, 0x0
	.amdhsa_kernel _ZN5aiter23act_and_mul_bias_kernelIftlfTnPFfRKT2_EXadL_ZNS_11silu_kernelIfEEfRKT_EELi16EEEvPT0_PS8_PKT1_PS2_il
		.amdhsa_group_segment_fixed_size 0
		.amdhsa_private_segment_fixed_size 0
		.amdhsa_kernarg_size 304
		.amdhsa_user_sgpr_count 2
		.amdhsa_user_sgpr_dispatch_ptr 0
		.amdhsa_user_sgpr_queue_ptr 0
		.amdhsa_user_sgpr_kernarg_segment_ptr 1
		.amdhsa_user_sgpr_dispatch_id 0
		.amdhsa_user_sgpr_kernarg_preload_length 0
		.amdhsa_user_sgpr_kernarg_preload_offset 0
		.amdhsa_user_sgpr_private_segment_size 0
		.amdhsa_uses_dynamic_stack 0
		.amdhsa_enable_private_segment 0
		.amdhsa_system_sgpr_workgroup_id_x 1
		.amdhsa_system_sgpr_workgroup_id_y 0
		.amdhsa_system_sgpr_workgroup_id_z 0
		.amdhsa_system_sgpr_workgroup_info 0
		.amdhsa_system_vgpr_workitem_id 0
		.amdhsa_next_free_vgpr 68
		.amdhsa_next_free_sgpr 63
		.amdhsa_accum_offset 68
		.amdhsa_reserve_vcc 1
		.amdhsa_float_round_mode_32 0
		.amdhsa_float_round_mode_16_64 0
		.amdhsa_float_denorm_mode_32 3
		.amdhsa_float_denorm_mode_16_64 3
		.amdhsa_dx10_clamp 1
		.amdhsa_ieee_mode 1
		.amdhsa_fp16_overflow 0
		.amdhsa_tg_split 0
		.amdhsa_exception_fp_ieee_invalid_op 0
		.amdhsa_exception_fp_denorm_src 0
		.amdhsa_exception_fp_ieee_div_zero 0
		.amdhsa_exception_fp_ieee_overflow 0
		.amdhsa_exception_fp_ieee_underflow 0
		.amdhsa_exception_fp_ieee_inexact 0
		.amdhsa_exception_int_div_zero 0
	.end_amdhsa_kernel
	.section	.text._ZN5aiter23act_and_mul_bias_kernelIftlfTnPFfRKT2_EXadL_ZNS_11silu_kernelIfEEfRKT_EELi16EEEvPT0_PS8_PKT1_PS2_il,"axG",@progbits,_ZN5aiter23act_and_mul_bias_kernelIftlfTnPFfRKT2_EXadL_ZNS_11silu_kernelIfEEfRKT_EELi16EEEvPT0_PS8_PKT1_PS2_il,comdat
.Lfunc_end190:
	.size	_ZN5aiter23act_and_mul_bias_kernelIftlfTnPFfRKT2_EXadL_ZNS_11silu_kernelIfEEfRKT_EELi16EEEvPT0_PS8_PKT1_PS2_il, .Lfunc_end190-_ZN5aiter23act_and_mul_bias_kernelIftlfTnPFfRKT2_EXadL_ZNS_11silu_kernelIfEEfRKT_EELi16EEEvPT0_PS8_PKT1_PS2_il
                                        ; -- End function
	.section	.AMDGPU.csdata,"",@progbits
; Kernel info:
; codeLenInByte = 2576
; NumSgprs: 69
; NumVgprs: 68
; NumAgprs: 0
; TotalNumVgprs: 68
; ScratchSize: 0
; MemoryBound: 0
; FloatMode: 240
; IeeeMode: 1
; LDSByteSize: 0 bytes/workgroup (compile time only)
; SGPRBlocks: 8
; VGPRBlocks: 8
; NumSGPRsForWavesPerEU: 69
; NumVGPRsForWavesPerEU: 68
; AccumOffset: 68
; Occupancy: 7
; WaveLimiterHint : 0
; COMPUTE_PGM_RSRC2:SCRATCH_EN: 0
; COMPUTE_PGM_RSRC2:USER_SGPR: 2
; COMPUTE_PGM_RSRC2:TRAP_HANDLER: 0
; COMPUTE_PGM_RSRC2:TGID_X_EN: 1
; COMPUTE_PGM_RSRC2:TGID_Y_EN: 0
; COMPUTE_PGM_RSRC2:TGID_Z_EN: 0
; COMPUTE_PGM_RSRC2:TIDIG_COMP_CNT: 0
; COMPUTE_PGM_RSRC3_GFX90A:ACCUM_OFFSET: 16
; COMPUTE_PGM_RSRC3_GFX90A:TG_SPLIT: 0
	.section	.text._ZN5aiter23act_and_mul_bias_kernelIftlfTnPFfRKT2_EXadL_ZNS_11silu_kernelIfEEfRKT_EELi8EEEvPT0_PS8_PKT1_PS2_il,"axG",@progbits,_ZN5aiter23act_and_mul_bias_kernelIftlfTnPFfRKT2_EXadL_ZNS_11silu_kernelIfEEfRKT_EELi8EEEvPT0_PS8_PKT1_PS2_il,comdat
	.protected	_ZN5aiter23act_and_mul_bias_kernelIftlfTnPFfRKT2_EXadL_ZNS_11silu_kernelIfEEfRKT_EELi8EEEvPT0_PS8_PKT1_PS2_il ; -- Begin function _ZN5aiter23act_and_mul_bias_kernelIftlfTnPFfRKT2_EXadL_ZNS_11silu_kernelIfEEfRKT_EELi8EEEvPT0_PS8_PKT1_PS2_il
	.globl	_ZN5aiter23act_and_mul_bias_kernelIftlfTnPFfRKT2_EXadL_ZNS_11silu_kernelIfEEfRKT_EELi8EEEvPT0_PS8_PKT1_PS2_il
	.p2align	8
	.type	_ZN5aiter23act_and_mul_bias_kernelIftlfTnPFfRKT2_EXadL_ZNS_11silu_kernelIfEEfRKT_EELi8EEEvPT0_PS8_PKT1_PS2_il,@function
_ZN5aiter23act_and_mul_bias_kernelIftlfTnPFfRKT2_EXadL_ZNS_11silu_kernelIfEEfRKT_EELi8EEEvPT0_PS8_PKT1_PS2_il: ; @_ZN5aiter23act_and_mul_bias_kernelIftlfTnPFfRKT2_EXadL_ZNS_11silu_kernelIfEEfRKT_EELi8EEEvPT0_PS8_PKT1_PS2_il
; %bb.0:
	s_load_dwordx2 s[6:7], s[0:1], 0x0
	s_load_dwordx2 s[4:5], s[0:1], 0x10
	s_load_dword s14, s[0:1], 0x20
	s_load_dwordx2 s[8:9], s[0:1], 0x28
	s_mov_b32 s3, 0
	s_lshl_b64 s[10:11], s[2:3], 3
	s_waitcnt lgkmcnt(0)
	s_add_u32 s4, s4, s10
	s_addc_u32 s5, s5, s11
	s_ashr_i32 s15, s14, 31
	s_mul_hi_u32 s3, s14, s2
	s_mul_i32 s10, s15, s2
	s_load_dwordx2 s[4:5], s[4:5], 0x0
	s_add_i32 s11, s3, s10
	s_mul_i32 s10, s14, s2
	s_lshl_b64 s[10:11], s[10:11], 1
	s_add_u32 s16, s6, s10
	s_addc_u32 s3, s7, s11
	s_add_i32 s6, s14, 1
	s_lshr_b32 s7, s6, 31
	v_mov_b64_e32 v[2:3], s[8:9]
	s_add_i32 s6, s6, s7
	s_waitcnt lgkmcnt(0)
	v_cmp_gt_i64_e64 s[10:11], s[4:5], -1
	v_cmp_lt_i64_e32 vcc, s[4:5], v[2:3]
	s_lshl_b32 s6, s6, 1
	s_and_b64 s[8:9], s[10:11], vcc
	s_and_b32 s18, s6, -4
	s_and_b32 s17, s3, 0xffff
	s_mov_b64 s[6:7], -1
	s_and_b64 vcc, exec, s[8:9]
	v_lshlrev_b32_e32 v4, 3, v0
	s_cbranch_vccnz .LBB191_5
; %bb.1:
	v_cmp_gt_i32_e32 vcc, s14, v4
	s_and_saveexec_b64 s[6:7], vcc
	s_cbranch_execz .LBB191_4
; %bb.2:
	s_load_dword s3, s[0:1], 0x3c
	v_mov_b32_e32 v5, 0
	s_mov_b32 s9, 0
	v_lshlrev_b32_e32 v8, 4, v0
	s_mov_b64 s[10:11], 0
	s_waitcnt lgkmcnt(0)
	s_and_b32 s3, s3, 0xffff
	s_lshl_b32 s8, s3, 3
	s_lshl_b32 s3, s3, 4
	s_mov_b32 s19, 0x20000
	v_mov_b32_e32 v0, v5
	v_mov_b32_e32 v1, v5
	;; [unrolled: 1-line block ×4, first 2 shown]
	v_mov_b64_e32 v[6:7], v[4:5]
.LBB191_3:                              ; =>This Inner Loop Header: Depth=1
	v_lshl_add_u64 v[6:7], s[8:9], 0, v[6:7]
	v_cmp_le_i64_e32 vcc, s[14:15], v[6:7]
	buffer_store_dwordx4 v[0:3], v8, s[16:19], 0 offen
	s_or_b64 s[10:11], vcc, s[10:11]
	v_add_u32_e32 v8, s3, v8
	s_andn2_b64 exec, exec, s[10:11]
	s_cbranch_execnz .LBB191_3
.LBB191_4:
	s_or_b64 exec, exec, s[6:7]
	s_mov_b64 s[6:7], 0
.LBB191_5:
	s_andn2_b64 vcc, exec, s[6:7]
	s_cbranch_vccnz .LBB191_9
; %bb.6:
	v_cmp_gt_i32_e32 vcc, s14, v4
	s_and_saveexec_b64 s[6:7], vcc
	s_cbranch_execz .LBB191_9
; %bb.7:
	s_load_dwordx2 s[6:7], s[0:1], 0x8
	s_load_dwordx2 s[8:9], s[0:1], 0x18
	s_mul_i32 s3, s14, s5
	s_mul_hi_u32 s5, s14, s4
	s_add_i32 s3, s5, s3
	s_mul_i32 s5, s15, s4
	s_add_i32 s5, s3, s5
	s_mul_i32 s4, s14, s4
	s_lshl_b32 s22, s14, 2
	s_lshl_b64 s[4:5], s[4:5], 3
	s_waitcnt lgkmcnt(0)
	s_add_u32 s24, s8, s4
	s_addc_u32 s3, s9, s5
	s_lshl_b64 s[4:5], s[14:15], 2
	s_add_u32 s20, s24, s4
	s_addc_u32 s8, s3, s5
	s_and_b32 s25, s3, 0xffff
	s_and_b32 s21, s8, 0xffff
	s_mul_i32 s3, s2, s15
	s_mul_hi_u32 s8, s2, s14
	s_add_i32 s3, s8, s3
	s_mul_i32 s2, s2, s14
	s_lshl_b64 s[2:3], s[2:3], 3
	s_add_u32 s28, s6, s2
	s_addc_u32 s2, s7, s3
	s_add_u32 s36, s28, s4
	s_addc_u32 s3, s2, s5
	s_and_b32 s29, s2, 0xffff
	s_and_b32 s37, s3, 0xffff
	s_mov_b32 s19, 0x20000
	s_add_u32 s34, s0, 48
	s_mov_b32 s23, s19
	v_mov_b32_e32 v5, 0
	s_addc_u32 s35, s1, 0
	s_mov_b64 s[40:41], 0
	s_mov_b32 s30, s22
	s_mov_b32 s31, s19
	;; [unrolled: 1-line block ×6, first 2 shown]
	v_mov_b32_e32 v10, 0x7f800000
	s_mov_b32 s46, 0x7060302
	s_mov_b32 s38, s22
	;; [unrolled: 1-line block ×5, first 2 shown]
.LBB191_8:                              ; =>This Inner Loop Header: Depth=1
	v_lshlrev_b32_e32 v0, 2, v4
	buffer_load_dwordx4 v[6:9], v0, s[20:23], 0 offen
	buffer_load_dwordx4 v[12:15], v0, s[36:39], 0 offen
	;; [unrolled: 1-line block ×8, first 2 shown]
	v_lshlrev_b32_e32 v11, 1, v4
	s_waitcnt vmcnt(6)
	v_pk_add_f32 v[0:1], v[14:15], v[8:9]
	v_pk_add_f32 v[2:3], v[12:13], v[6:7]
	s_waitcnt vmcnt(4)
	v_pk_add_f32 v[14:15], v[16:17], v[20:21]
	v_pk_add_f32 v[12:13], v[18:19], v[22:23]
	v_mul_f32_e32 v20, 0xbfb8aa3b, v14
	v_mul_f32_e32 v21, 0xbfb8aa3b, v15
	s_waitcnt vmcnt(0)
	v_pk_add_f32 v[16:17], v[34:35], v[38:39]
	v_pk_add_f32 v[18:19], v[32:33], v[36:37]
	v_pk_add_f32 v[6:7], v[26:27], v[30:31]
	v_pk_add_f32 v[8:9], v[24:25], v[28:29]
	v_mul_f32_e32 v22, 0xbfb8aa3b, v12
	v_mul_f32_e32 v23, 0xbfb8aa3b, v13
	;; [unrolled: 1-line block ×6, first 2 shown]
	v_fma_f32 v28, v14, s33, -v20
	v_rndne_f32_e32 v29, v20
	v_fma_f32 v30, v15, s33, -v21
	v_rndne_f32_e32 v31, v21
	;; [unrolled: 2-line block ×8, first 2 shown]
	v_fmac_f32_e32 v28, 0xb2a5705f, v14
	v_sub_f32_e32 v20, v20, v29
	v_fmac_f32_e32 v30, 0xb2a5705f, v15
	v_sub_f32_e32 v21, v21, v31
	;; [unrolled: 2-line block ×8, first 2 shown]
	v_add_f32_e32 v20, v20, v28
	v_add_f32_e32 v21, v21, v30
	v_cvt_i32_f32_e32 v29, v29
	v_cvt_i32_f32_e32 v31, v31
	v_add_f32_e32 v22, v22, v32
	v_add_f32_e32 v23, v23, v34
	;; [unrolled: 1-line block ×6, first 2 shown]
	v_exp_f32_e32 v20, v20
	v_exp_f32_e32 v21, v21
	v_cvt_i32_f32_e32 v33, v33
	v_cvt_i32_f32_e32 v35, v35
	;; [unrolled: 1-line block ×6, first 2 shown]
	v_exp_f32_e32 v22, v22
	v_exp_f32_e32 v23, v23
	;; [unrolled: 1-line block ×6, first 2 shown]
	v_ldexp_f32 v20, v20, v29
	v_ldexp_f32 v21, v21, v31
	v_cmp_nlt_f32_e32 vcc, s44, v15
	v_cmp_nlt_f32_e64 s[12:13], s44, v14
	v_ldexp_f32 v22, v22, v33
	v_cmp_nlt_f32_e64 s[0:1], s44, v12
	v_ldexp_f32 v23, v23, v35
	;; [unrolled: 2-line block ×6, first 2 shown]
	v_cmp_nlt_f32_e64 s[10:11], s44, v17
	v_cndmask_b32_e64 v20, 0, v20, s[12:13]
	v_cndmask_b32_e32 v21, 0, v21, vcc
	v_cmp_ngt_f32_e32 vcc, s45, v15
	v_cmp_ngt_f32_e64 s[12:13], s45, v14
	v_cndmask_b32_e64 v22, 0, v22, s[0:1]
	v_cmp_ngt_f32_e64 s[0:1], s45, v12
	v_cndmask_b32_e64 v23, 0, v23, s[2:3]
	;; [unrolled: 2-line block ×7, first 2 shown]
	v_cndmask_b32_e32 v21, v10, v21, vcc
	v_cndmask_b32_e64 v22, v10, v22, s[0:1]
	v_cndmask_b32_e64 v23, v10, v23, s[2:3]
	;; [unrolled: 1-line block ×6, first 2 shown]
	v_add_f32_e32 v20, 1.0, v20
	v_add_f32_e32 v21, 1.0, v21
	;; [unrolled: 1-line block ×8, first 2 shown]
	v_rcp_f32_e32 v20, v20
	v_rcp_f32_e32 v21, v21
	;; [unrolled: 1-line block ×8, first 2 shown]
	v_pk_mul_f32 v[14:15], v[14:15], v[20:21]
	v_pk_mul_f32 v[12:13], v[12:13], v[22:23]
	;; [unrolled: 1-line block ×4, first 2 shown]
	;;#ASMSTART
	v_pk_mul_f32 v[14:15], v[14:15], v[2:3]
	;;#ASMEND
	;;#ASMSTART
	v_pk_mul_f32 v[0:1], v[12:13], v[0:1]
	;;#ASMEND
	;; [unrolled: 3-line block ×3, first 2 shown]
	s_nop 0
	;;#ASMSTART
	v_pk_mul_f32 v[2:3], v[16:17], v[6:7]
	;;#ASMEND
	s_load_dword s0, s[34:35], 0xc
	v_perm_b32 v1, v1, v0, s46
	v_perm_b32 v3, v3, v2, s46
	;; [unrolled: 1-line block ×4, first 2 shown]
	s_waitcnt lgkmcnt(0)
	s_and_b32 s0, s0, 0xffff
	s_lshl_b32 s42, s0, 3
	v_lshl_add_u64 v[4:5], s[42:43], 0, v[4:5]
	v_cmp_le_i64_e32 vcc, s[14:15], v[4:5]
	s_or_b64 s[40:41], vcc, s[40:41]
	buffer_store_dwordx4 v[0:3], v11, s[16:19], 0 offen
	s_andn2_b64 exec, exec, s[40:41]
	s_cbranch_execnz .LBB191_8
.LBB191_9:
	s_endpgm
	.section	.rodata,"a",@progbits
	.p2align	6, 0x0
	.amdhsa_kernel _ZN5aiter23act_and_mul_bias_kernelIftlfTnPFfRKT2_EXadL_ZNS_11silu_kernelIfEEfRKT_EELi8EEEvPT0_PS8_PKT1_PS2_il
		.amdhsa_group_segment_fixed_size 0
		.amdhsa_private_segment_fixed_size 0
		.amdhsa_kernarg_size 304
		.amdhsa_user_sgpr_count 2
		.amdhsa_user_sgpr_dispatch_ptr 0
		.amdhsa_user_sgpr_queue_ptr 0
		.amdhsa_user_sgpr_kernarg_segment_ptr 1
		.amdhsa_user_sgpr_dispatch_id 0
		.amdhsa_user_sgpr_kernarg_preload_length 0
		.amdhsa_user_sgpr_kernarg_preload_offset 0
		.amdhsa_user_sgpr_private_segment_size 0
		.amdhsa_uses_dynamic_stack 0
		.amdhsa_enable_private_segment 0
		.amdhsa_system_sgpr_workgroup_id_x 1
		.amdhsa_system_sgpr_workgroup_id_y 0
		.amdhsa_system_sgpr_workgroup_id_z 0
		.amdhsa_system_sgpr_workgroup_info 0
		.amdhsa_system_vgpr_workitem_id 0
		.amdhsa_next_free_vgpr 44
		.amdhsa_next_free_sgpr 47
		.amdhsa_accum_offset 44
		.amdhsa_reserve_vcc 1
		.amdhsa_float_round_mode_32 0
		.amdhsa_float_round_mode_16_64 0
		.amdhsa_float_denorm_mode_32 3
		.amdhsa_float_denorm_mode_16_64 3
		.amdhsa_dx10_clamp 1
		.amdhsa_ieee_mode 1
		.amdhsa_fp16_overflow 0
		.amdhsa_tg_split 0
		.amdhsa_exception_fp_ieee_invalid_op 0
		.amdhsa_exception_fp_denorm_src 0
		.amdhsa_exception_fp_ieee_div_zero 0
		.amdhsa_exception_fp_ieee_overflow 0
		.amdhsa_exception_fp_ieee_underflow 0
		.amdhsa_exception_fp_ieee_inexact 0
		.amdhsa_exception_int_div_zero 0
	.end_amdhsa_kernel
	.section	.text._ZN5aiter23act_and_mul_bias_kernelIftlfTnPFfRKT2_EXadL_ZNS_11silu_kernelIfEEfRKT_EELi8EEEvPT0_PS8_PKT1_PS2_il,"axG",@progbits,_ZN5aiter23act_and_mul_bias_kernelIftlfTnPFfRKT2_EXadL_ZNS_11silu_kernelIfEEfRKT_EELi8EEEvPT0_PS8_PKT1_PS2_il,comdat
.Lfunc_end191:
	.size	_ZN5aiter23act_and_mul_bias_kernelIftlfTnPFfRKT2_EXadL_ZNS_11silu_kernelIfEEfRKT_EELi8EEEvPT0_PS8_PKT1_PS2_il, .Lfunc_end191-_ZN5aiter23act_and_mul_bias_kernelIftlfTnPFfRKT2_EXadL_ZNS_11silu_kernelIfEEfRKT_EELi8EEEvPT0_PS8_PKT1_PS2_il
                                        ; -- End function
	.section	.AMDGPU.csdata,"",@progbits
; Kernel info:
; codeLenInByte = 1572
; NumSgprs: 53
; NumVgprs: 44
; NumAgprs: 0
; TotalNumVgprs: 44
; ScratchSize: 0
; MemoryBound: 0
; FloatMode: 240
; IeeeMode: 1
; LDSByteSize: 0 bytes/workgroup (compile time only)
; SGPRBlocks: 6
; VGPRBlocks: 5
; NumSGPRsForWavesPerEU: 53
; NumVGPRsForWavesPerEU: 44
; AccumOffset: 44
; Occupancy: 8
; WaveLimiterHint : 0
; COMPUTE_PGM_RSRC2:SCRATCH_EN: 0
; COMPUTE_PGM_RSRC2:USER_SGPR: 2
; COMPUTE_PGM_RSRC2:TRAP_HANDLER: 0
; COMPUTE_PGM_RSRC2:TGID_X_EN: 1
; COMPUTE_PGM_RSRC2:TGID_Y_EN: 0
; COMPUTE_PGM_RSRC2:TGID_Z_EN: 0
; COMPUTE_PGM_RSRC2:TIDIG_COMP_CNT: 0
; COMPUTE_PGM_RSRC3_GFX90A:ACCUM_OFFSET: 10
; COMPUTE_PGM_RSRC3_GFX90A:TG_SPLIT: 0
	.section	.text._ZN5aiter23act_and_mul_bias_kernelIftlfTnPFfRKT2_EXadL_ZNS_11silu_kernelIfEEfRKT_EELi4EEEvPT0_PS8_PKT1_PS2_il,"axG",@progbits,_ZN5aiter23act_and_mul_bias_kernelIftlfTnPFfRKT2_EXadL_ZNS_11silu_kernelIfEEfRKT_EELi4EEEvPT0_PS8_PKT1_PS2_il,comdat
	.protected	_ZN5aiter23act_and_mul_bias_kernelIftlfTnPFfRKT2_EXadL_ZNS_11silu_kernelIfEEfRKT_EELi4EEEvPT0_PS8_PKT1_PS2_il ; -- Begin function _ZN5aiter23act_and_mul_bias_kernelIftlfTnPFfRKT2_EXadL_ZNS_11silu_kernelIfEEfRKT_EELi4EEEvPT0_PS8_PKT1_PS2_il
	.globl	_ZN5aiter23act_and_mul_bias_kernelIftlfTnPFfRKT2_EXadL_ZNS_11silu_kernelIfEEfRKT_EELi4EEEvPT0_PS8_PKT1_PS2_il
	.p2align	8
	.type	_ZN5aiter23act_and_mul_bias_kernelIftlfTnPFfRKT2_EXadL_ZNS_11silu_kernelIfEEfRKT_EELi4EEEvPT0_PS8_PKT1_PS2_il,@function
_ZN5aiter23act_and_mul_bias_kernelIftlfTnPFfRKT2_EXadL_ZNS_11silu_kernelIfEEfRKT_EELi4EEEvPT0_PS8_PKT1_PS2_il: ; @_ZN5aiter23act_and_mul_bias_kernelIftlfTnPFfRKT2_EXadL_ZNS_11silu_kernelIfEEfRKT_EELi4EEEvPT0_PS8_PKT1_PS2_il
; %bb.0:
	s_load_dwordx2 s[8:9], s[0:1], 0x0
	s_load_dwordx2 s[4:5], s[0:1], 0x10
	s_load_dword s6, s[0:1], 0x20
	s_load_dwordx2 s[14:15], s[0:1], 0x28
	s_mov_b32 s3, 0
	s_lshl_b64 s[10:11], s[2:3], 3
	s_waitcnt lgkmcnt(0)
	s_add_u32 s4, s4, s10
	s_addc_u32 s5, s5, s11
	s_ashr_i32 s7, s6, 31
	s_mul_hi_u32 s3, s6, s2
	s_mul_i32 s10, s7, s2
	s_load_dwordx2 s[4:5], s[4:5], 0x0
	s_add_i32 s11, s3, s10
	s_mul_i32 s10, s6, s2
	s_lshl_b64 s[10:11], s[10:11], 1
	s_add_u32 s8, s8, s10
	s_addc_u32 s3, s9, s11
	s_add_i32 s9, s6, 1
	s_lshr_b32 s10, s9, 31
	v_mov_b64_e32 v[2:3], s[14:15]
	s_add_i32 s9, s9, s10
	s_waitcnt lgkmcnt(0)
	v_cmp_gt_i64_e64 s[16:17], s[4:5], -1
	v_cmp_lt_i64_e32 vcc, s[4:5], v[2:3]
	s_lshl_b32 s9, s9, 1
	s_and_b64 s[14:15], s[16:17], vcc
	s_and_b32 s10, s9, -4
	s_and_b32 s9, s3, 0xffff
	s_mov_b64 s[12:13], -1
	s_and_b64 vcc, exec, s[14:15]
	v_lshlrev_b32_e32 v2, 2, v0
	s_cbranch_vccnz .LBB192_5
; %bb.1:
	v_cmp_gt_i32_e32 vcc, s6, v2
	s_and_saveexec_b64 s[12:13], vcc
	s_cbranch_execz .LBB192_4
; %bb.2:
	s_load_dword s3, s[0:1], 0x3c
	v_mov_b32_e32 v3, 0
	s_mov_b32 s15, 0
	v_lshlrev_b32_e32 v6, 3, v0
	s_mov_b64 s[16:17], 0
	s_waitcnt lgkmcnt(0)
	s_and_b32 s3, s3, 0xffff
	s_lshl_b32 s14, s3, 2
	s_lshl_b32 s3, s3, 3
	s_mov_b32 s11, 0x20000
	v_mov_b32_e32 v0, v3
	v_mov_b32_e32 v1, v3
	v_mov_b64_e32 v[4:5], v[2:3]
.LBB192_3:                              ; =>This Inner Loop Header: Depth=1
	v_lshl_add_u64 v[4:5], s[14:15], 0, v[4:5]
	v_cmp_le_i64_e32 vcc, s[6:7], v[4:5]
	buffer_store_dwordx2 v[0:1], v6, s[8:11], 0 offen
	s_or_b64 s[16:17], vcc, s[16:17]
	v_add_u32_e32 v6, s3, v6
	s_andn2_b64 exec, exec, s[16:17]
	s_cbranch_execnz .LBB192_3
.LBB192_4:
	s_or_b64 exec, exec, s[12:13]
	s_mov_b64 s[12:13], 0
.LBB192_5:
	s_andn2_b64 vcc, exec, s[12:13]
	s_cbranch_vccnz .LBB192_9
; %bb.6:
	v_cmp_gt_i32_e32 vcc, s6, v2
	s_and_saveexec_b64 s[12:13], vcc
	s_cbranch_execz .LBB192_9
; %bb.7:
	s_load_dwordx2 s[18:19], s[0:1], 0x8
	s_load_dwordx2 s[12:13], s[0:1], 0x18
	s_mul_i32 s3, s6, s5
	s_mul_hi_u32 s5, s6, s4
	s_add_i32 s3, s5, s3
	s_mul_i32 s5, s7, s4
	s_add_i32 s5, s3, s5
	s_mul_i32 s4, s6, s4
	s_lshl_b32 s14, s6, 2
	s_lshl_b64 s[4:5], s[4:5], 3
	s_waitcnt lgkmcnt(0)
	s_add_u32 s16, s12, s4
	s_addc_u32 s3, s13, s5
	s_lshl_b64 s[4:5], s[6:7], 2
	s_add_u32 s12, s16, s4
	s_addc_u32 s13, s3, s5
	s_and_b32 s17, s3, 0xffff
	s_mul_i32 s3, s2, s7
	s_mul_hi_u32 s20, s2, s6
	s_add_i32 s3, s20, s3
	s_mul_i32 s2, s2, s6
	s_and_b32 s13, s13, 0xffff
	s_lshl_b64 s[2:3], s[2:3], 3
	s_add_u32 s20, s18, s2
	s_addc_u32 s2, s19, s3
	s_add_u32 s24, s20, s4
	s_addc_u32 s3, s2, s5
	s_and_b32 s21, s2, 0xffff
	s_and_b32 s25, s3, 0xffff
	s_mov_b32 s11, 0x20000
	s_add_u32 s28, s0, 48
	s_mov_b32 s15, s11
	v_mov_b32_e32 v3, 0
	s_addc_u32 s29, s1, 0
	s_mov_b64 s[30:31], 0
	s_mov_b32 s22, s14
	s_mov_b32 s23, s11
	;; [unrolled: 1-line block ×6, first 2 shown]
	v_mov_b32_e32 v0, 0x7f800000
	s_mov_b32 s38, 0x7060302
	s_mov_b32 s26, s14
	;; [unrolled: 1-line block ×5, first 2 shown]
.LBB192_8:                              ; =>This Inner Loop Header: Depth=1
	v_lshlrev_b32_e32 v1, 2, v2
	buffer_load_dwordx4 v[4:7], v1, s[20:23], 0 offen
	buffer_load_dwordx4 v[8:11], v1, s[24:27], 0 offen
	;; [unrolled: 1-line block ×4, first 2 shown]
	s_waitcnt vmcnt(1)
	v_pk_add_f32 v[6:7], v[6:7], v[14:15]
	v_pk_add_f32 v[4:5], v[4:5], v[12:13]
	v_mul_f32_e32 v13, 0xbfb8aa3b, v6
	v_mul_f32_e32 v1, 0xbfb8aa3b, v4
	;; [unrolled: 1-line block ×4, first 2 shown]
	s_waitcnt vmcnt(0)
	v_pk_add_f32 v[10:11], v[10:11], v[18:19]
	v_pk_add_f32 v[8:9], v[8:9], v[16:17]
	v_fma_f32 v15, v4, s33, -v1
	v_rndne_f32_e32 v16, v1
	v_fma_f32 v17, v5, s33, -v12
	v_rndne_f32_e32 v18, v12
	;; [unrolled: 2-line block ×4, first 2 shown]
	v_fmac_f32_e32 v15, 0xb2a5705f, v4
	v_sub_f32_e32 v1, v1, v16
	v_fmac_f32_e32 v17, 0xb2a5705f, v5
	v_sub_f32_e32 v12, v12, v18
	;; [unrolled: 2-line block ×4, first 2 shown]
	v_add_f32_e32 v1, v1, v15
	v_add_f32_e32 v12, v12, v17
	;; [unrolled: 1-line block ×4, first 2 shown]
	v_cvt_i32_f32_e32 v16, v16
	v_cvt_i32_f32_e32 v18, v18
	v_cvt_i32_f32_e32 v20, v20
	v_cvt_i32_f32_e32 v22, v22
	v_exp_f32_e32 v1, v1
	v_exp_f32_e32 v12, v12
	;; [unrolled: 1-line block ×4, first 2 shown]
	v_ldexp_f32 v1, v1, v16
	v_ldexp_f32 v12, v12, v18
	v_cmp_nlt_f32_e32 vcc, s36, v5
	v_ldexp_f32 v13, v13, v20
	v_cmp_nlt_f32_e64 s[0:1], s36, v6
	v_ldexp_f32 v14, v14, v22
	v_cmp_nlt_f32_e64 s[2:3], s36, v7
	v_cmp_nlt_f32_e64 s[4:5], s36, v4
	v_cndmask_b32_e32 v12, 0, v12, vcc
	v_cmp_ngt_f32_e32 vcc, s37, v5
	v_cndmask_b32_e64 v1, 0, v1, s[4:5]
	v_cndmask_b32_e64 v13, 0, v13, s[0:1]
	v_cmp_ngt_f32_e64 s[0:1], s37, v6
	v_cndmask_b32_e64 v14, 0, v14, s[2:3]
	v_cmp_ngt_f32_e64 s[2:3], s37, v7
	v_cmp_ngt_f32_e64 s[4:5], s37, v4
	v_cndmask_b32_e32 v12, v0, v12, vcc
	v_cndmask_b32_e64 v13, v0, v13, s[0:1]
	v_cndmask_b32_e64 v1, v0, v1, s[4:5]
	;; [unrolled: 1-line block ×3, first 2 shown]
	v_add_f32_e32 v1, 1.0, v1
	v_add_f32_e32 v15, 1.0, v12
	;; [unrolled: 1-line block ×4, first 2 shown]
	v_rcp_f32_e32 v12, v1
	v_rcp_f32_e32 v13, v15
	v_rcp_f32_e32 v14, v16
	v_rcp_f32_e32 v15, v17
	v_lshlrev_b32_e32 v1, 1, v2
	v_pk_mul_f32 v[4:5], v[4:5], v[12:13]
	v_pk_mul_f32 v[6:7], v[6:7], v[14:15]
	;;#ASMSTART
	v_pk_mul_f32 v[4:5], v[4:5], v[8:9]
	;;#ASMEND
	s_nop 0
	;;#ASMSTART
	v_pk_mul_f32 v[6:7], v[6:7], v[10:11]
	;;#ASMEND
	s_load_dword s0, s[28:29], 0xc
	v_perm_b32 v7, v7, v6, s38
	v_perm_b32 v6, v5, v4, s38
	buffer_store_dwordx2 v[6:7], v1, s[8:11], 0 offen
	s_waitcnt lgkmcnt(0)
	s_and_b32 s0, s0, 0xffff
	s_lshl_b32 s34, s0, 2
	v_lshl_add_u64 v[2:3], s[34:35], 0, v[2:3]
	v_cmp_le_i64_e32 vcc, s[6:7], v[2:3]
	s_or_b64 s[30:31], vcc, s[30:31]
	s_andn2_b64 exec, exec, s[30:31]
	s_cbranch_execnz .LBB192_8
.LBB192_9:
	s_endpgm
	.section	.rodata,"a",@progbits
	.p2align	6, 0x0
	.amdhsa_kernel _ZN5aiter23act_and_mul_bias_kernelIftlfTnPFfRKT2_EXadL_ZNS_11silu_kernelIfEEfRKT_EELi4EEEvPT0_PS8_PKT1_PS2_il
		.amdhsa_group_segment_fixed_size 0
		.amdhsa_private_segment_fixed_size 0
		.amdhsa_kernarg_size 304
		.amdhsa_user_sgpr_count 2
		.amdhsa_user_sgpr_dispatch_ptr 0
		.amdhsa_user_sgpr_queue_ptr 0
		.amdhsa_user_sgpr_kernarg_segment_ptr 1
		.amdhsa_user_sgpr_dispatch_id 0
		.amdhsa_user_sgpr_kernarg_preload_length 0
		.amdhsa_user_sgpr_kernarg_preload_offset 0
		.amdhsa_user_sgpr_private_segment_size 0
		.amdhsa_uses_dynamic_stack 0
		.amdhsa_enable_private_segment 0
		.amdhsa_system_sgpr_workgroup_id_x 1
		.amdhsa_system_sgpr_workgroup_id_y 0
		.amdhsa_system_sgpr_workgroup_id_z 0
		.amdhsa_system_sgpr_workgroup_info 0
		.amdhsa_system_vgpr_workitem_id 0
		.amdhsa_next_free_vgpr 23
		.amdhsa_next_free_sgpr 39
		.amdhsa_accum_offset 24
		.amdhsa_reserve_vcc 1
		.amdhsa_float_round_mode_32 0
		.amdhsa_float_round_mode_16_64 0
		.amdhsa_float_denorm_mode_32 3
		.amdhsa_float_denorm_mode_16_64 3
		.amdhsa_dx10_clamp 1
		.amdhsa_ieee_mode 1
		.amdhsa_fp16_overflow 0
		.amdhsa_tg_split 0
		.amdhsa_exception_fp_ieee_invalid_op 0
		.amdhsa_exception_fp_denorm_src 0
		.amdhsa_exception_fp_ieee_div_zero 0
		.amdhsa_exception_fp_ieee_overflow 0
		.amdhsa_exception_fp_ieee_underflow 0
		.amdhsa_exception_fp_ieee_inexact 0
		.amdhsa_exception_int_div_zero 0
	.end_amdhsa_kernel
	.section	.text._ZN5aiter23act_and_mul_bias_kernelIftlfTnPFfRKT2_EXadL_ZNS_11silu_kernelIfEEfRKT_EELi4EEEvPT0_PS8_PKT1_PS2_il,"axG",@progbits,_ZN5aiter23act_and_mul_bias_kernelIftlfTnPFfRKT2_EXadL_ZNS_11silu_kernelIfEEfRKT_EELi4EEEvPT0_PS8_PKT1_PS2_il,comdat
.Lfunc_end192:
	.size	_ZN5aiter23act_and_mul_bias_kernelIftlfTnPFfRKT2_EXadL_ZNS_11silu_kernelIfEEfRKT_EELi4EEEvPT0_PS8_PKT1_PS2_il, .Lfunc_end192-_ZN5aiter23act_and_mul_bias_kernelIftlfTnPFfRKT2_EXadL_ZNS_11silu_kernelIfEEfRKT_EELi4EEEvPT0_PS8_PKT1_PS2_il
                                        ; -- End function
	.section	.AMDGPU.csdata,"",@progbits
; Kernel info:
; codeLenInByte = 1080
; NumSgprs: 45
; NumVgprs: 23
; NumAgprs: 0
; TotalNumVgprs: 23
; ScratchSize: 0
; MemoryBound: 0
; FloatMode: 240
; IeeeMode: 1
; LDSByteSize: 0 bytes/workgroup (compile time only)
; SGPRBlocks: 5
; VGPRBlocks: 2
; NumSGPRsForWavesPerEU: 45
; NumVGPRsForWavesPerEU: 23
; AccumOffset: 24
; Occupancy: 8
; WaveLimiterHint : 0
; COMPUTE_PGM_RSRC2:SCRATCH_EN: 0
; COMPUTE_PGM_RSRC2:USER_SGPR: 2
; COMPUTE_PGM_RSRC2:TRAP_HANDLER: 0
; COMPUTE_PGM_RSRC2:TGID_X_EN: 1
; COMPUTE_PGM_RSRC2:TGID_Y_EN: 0
; COMPUTE_PGM_RSRC2:TGID_Z_EN: 0
; COMPUTE_PGM_RSRC2:TIDIG_COMP_CNT: 0
; COMPUTE_PGM_RSRC3_GFX90A:ACCUM_OFFSET: 5
; COMPUTE_PGM_RSRC3_GFX90A:TG_SPLIT: 0
	.section	.text._ZN5aiter23act_and_mul_bias_kernelIftlfTnPFfRKT2_EXadL_ZNS_11silu_kernelIfEEfRKT_EELi2EEEvPT0_PS8_PKT1_PS2_il,"axG",@progbits,_ZN5aiter23act_and_mul_bias_kernelIftlfTnPFfRKT2_EXadL_ZNS_11silu_kernelIfEEfRKT_EELi2EEEvPT0_PS8_PKT1_PS2_il,comdat
	.protected	_ZN5aiter23act_and_mul_bias_kernelIftlfTnPFfRKT2_EXadL_ZNS_11silu_kernelIfEEfRKT_EELi2EEEvPT0_PS8_PKT1_PS2_il ; -- Begin function _ZN5aiter23act_and_mul_bias_kernelIftlfTnPFfRKT2_EXadL_ZNS_11silu_kernelIfEEfRKT_EELi2EEEvPT0_PS8_PKT1_PS2_il
	.globl	_ZN5aiter23act_and_mul_bias_kernelIftlfTnPFfRKT2_EXadL_ZNS_11silu_kernelIfEEfRKT_EELi2EEEvPT0_PS8_PKT1_PS2_il
	.p2align	8
	.type	_ZN5aiter23act_and_mul_bias_kernelIftlfTnPFfRKT2_EXadL_ZNS_11silu_kernelIfEEfRKT_EELi2EEEvPT0_PS8_PKT1_PS2_il,@function
_ZN5aiter23act_and_mul_bias_kernelIftlfTnPFfRKT2_EXadL_ZNS_11silu_kernelIfEEfRKT_EELi2EEEvPT0_PS8_PKT1_PS2_il: ; @_ZN5aiter23act_and_mul_bias_kernelIftlfTnPFfRKT2_EXadL_ZNS_11silu_kernelIfEEfRKT_EELi2EEEvPT0_PS8_PKT1_PS2_il
; %bb.0:
	s_load_dwordx2 s[4:5], s[0:1], 0x0
	s_load_dwordx2 s[6:7], s[0:1], 0x10
	s_load_dword s24, s[0:1], 0x20
	s_load_dwordx2 s[12:13], s[0:1], 0x28
	s_mov_b32 s3, 0
	s_lshl_b64 s[8:9], s[2:3], 3
	s_waitcnt lgkmcnt(0)
	s_add_u32 s6, s6, s8
	s_addc_u32 s7, s7, s9
	s_ashr_i32 s25, s24, 31
	s_load_dwordx2 s[8:9], s[6:7], 0x0
	s_mul_hi_u32 s3, s24, s2
	s_mul_i32 s6, s25, s2
	s_add_i32 s7, s3, s6
	s_mul_i32 s6, s24, s2
	s_lshl_b64 s[6:7], s[6:7], 1
	s_add_u32 s4, s4, s6
	s_addc_u32 s3, s5, s7
	s_add_i32 s5, s24, 1
	s_lshr_b32 s6, s5, 31
	v_mov_b64_e32 v[2:3], s[12:13]
	s_add_i32 s5, s5, s6
	s_waitcnt lgkmcnt(0)
	v_cmp_gt_i64_e64 s[14:15], s[8:9], -1
	v_cmp_lt_i64_e32 vcc, s[8:9], v[2:3]
	s_lshl_b32 s5, s5, 1
	s_and_b64 s[12:13], s[14:15], vcc
	s_and_b32 s6, s5, -4
	s_and_b32 s5, s3, 0xffff
	s_mov_b64 s[10:11], -1
	s_and_b64 vcc, exec, s[12:13]
	v_lshlrev_b32_e32 v2, 1, v0
	s_cbranch_vccnz .LBB193_5
; %bb.1:
	v_cmp_gt_i32_e32 vcc, s24, v2
	s_and_saveexec_b64 s[10:11], vcc
	s_cbranch_execz .LBB193_4
; %bb.2:
	s_load_dword s3, s[0:1], 0x3c
	v_mov_b32_e32 v3, 0
	s_mov_b32 s13, 0
	v_lshlrev_b32_e32 v4, 2, v0
	s_mov_b64 s[14:15], 0
	s_waitcnt lgkmcnt(0)
	s_and_b32 s3, s3, 0xffff
	s_lshl_b32 s12, s3, 1
	s_lshl_b32 s3, s3, 2
	s_mov_b32 s7, 0x20000
	v_mov_b64_e32 v[0:1], v[2:3]
.LBB193_3:                              ; =>This Inner Loop Header: Depth=1
	v_lshl_add_u64 v[0:1], s[12:13], 0, v[0:1]
	v_cmp_le_i64_e32 vcc, s[24:25], v[0:1]
	buffer_store_dword v3, v4, s[4:7], 0 offen
	s_or_b64 s[14:15], vcc, s[14:15]
	v_add_u32_e32 v4, s3, v4
	s_andn2_b64 exec, exec, s[14:15]
	s_cbranch_execnz .LBB193_3
.LBB193_4:
	s_or_b64 exec, exec, s[10:11]
	s_mov_b64 s[10:11], 0
.LBB193_5:
	s_andn2_b64 vcc, exec, s[10:11]
	s_cbranch_vccnz .LBB193_9
; %bb.6:
	v_cmp_gt_i32_e32 vcc, s24, v2
	s_and_saveexec_b64 s[10:11], vcc
	s_cbranch_execz .LBB193_9
; %bb.7:
	s_load_dwordx2 s[14:15], s[0:1], 0x8
	s_load_dwordx2 s[12:13], s[0:1], 0x18
	s_mul_i32 s3, s24, s9
	s_mul_hi_u32 s7, s24, s8
	s_add_i32 s3, s7, s3
	s_mul_i32 s7, s25, s8
	s_add_i32 s9, s3, s7
	s_mul_i32 s8, s24, s8
	s_lshl_b32 s10, s24, 2
	s_lshl_b64 s[8:9], s[8:9], 3
	s_waitcnt lgkmcnt(0)
	s_add_u32 s12, s12, s8
	s_addc_u32 s3, s13, s9
	s_lshl_b64 s[18:19], s[24:25], 2
	s_add_u32 s8, s12, s18
	s_addc_u32 s9, s3, s19
	s_and_b32 s13, s3, 0xffff
	s_mul_i32 s3, s2, s25
	s_mul_hi_u32 s16, s2, s24
	s_add_i32 s3, s16, s3
	s_mul_i32 s2, s2, s24
	s_and_b32 s9, s9, 0xffff
	s_lshl_b64 s[2:3], s[2:3], 3
	s_add_u32 s16, s14, s2
	s_addc_u32 s2, s15, s3
	s_add_u32 s20, s16, s18
	s_addc_u32 s3, s2, s19
	s_and_b32 s17, s2, 0xffff
	s_and_b32 s21, s3, 0xffff
	s_mov_b32 s7, 0x20000
	s_add_u32 s2, s0, 48
	s_mov_b32 s11, s7
	v_mov_b32_e32 v3, 0
	s_addc_u32 s3, s1, 0
	s_mov_b64 s[26:27], 0
	s_mov_b32 s18, s10
	s_mov_b32 s19, s7
	;; [unrolled: 1-line block ×6, first 2 shown]
	v_mov_b32_e32 v0, 0x7f800000
	s_mov_b32 s34, 0x7060302
	s_mov_b32 s22, s10
	;; [unrolled: 1-line block ×5, first 2 shown]
.LBB193_8:                              ; =>This Inner Loop Header: Depth=1
	v_lshlrev_b32_e32 v1, 2, v2
	buffer_load_dwordx2 v[4:5], v1, s[12:15], 0 offen
	buffer_load_dwordx2 v[6:7], v1, s[16:19], 0 offen
	;; [unrolled: 1-line block ×4, first 2 shown]
	s_waitcnt vmcnt(2)
	v_pk_add_f32 v[4:5], v[6:7], v[4:5]
	s_nop 0
	v_mul_f32_e32 v1, 0xbfb8aa3b, v5
	v_mul_f32_e32 v6, 0xbfb8aa3b, v4
	v_fma_f32 v7, v5, s30, -v1
	v_rndne_f32_e32 v12, v1
	v_fma_f32 v13, v4, s30, -v6
	v_rndne_f32_e32 v14, v6
	v_fmac_f32_e32 v7, 0xb2a5705f, v5
	v_sub_f32_e32 v1, v1, v12
	v_fmac_f32_e32 v13, 0xb2a5705f, v4
	v_sub_f32_e32 v6, v6, v14
	v_add_f32_e32 v1, v1, v7
	v_add_f32_e32 v6, v6, v13
	v_cvt_i32_f32_e32 v12, v12
	v_cvt_i32_f32_e32 v14, v14
	v_exp_f32_e32 v1, v1
	v_exp_f32_e32 v6, v6
	v_cmp_nlt_f32_e32 vcc, s31, v4
	v_cmp_nlt_f32_e64 s[0:1], s31, v5
	v_ldexp_f32 v1, v1, v12
	v_ldexp_f32 v6, v6, v14
	v_cndmask_b32_e64 v1, 0, v1, s[0:1]
	v_cndmask_b32_e32 v6, 0, v6, vcc
	v_cmp_ngt_f32_e32 vcc, s33, v4
	v_cmp_ngt_f32_e64 s[0:1], s33, v5
	s_waitcnt vmcnt(0)
	v_pk_add_f32 v[8:9], v[8:9], v[10:11]
	v_cndmask_b32_e32 v6, v0, v6, vcc
	v_cndmask_b32_e64 v1, v0, v1, s[0:1]
	v_add_f32_e32 v1, 1.0, v1
	v_add_f32_e32 v6, 1.0, v6
	v_rcp_f32_e32 v7, v1
	v_rcp_f32_e32 v6, v6
	v_lshlrev_b32_e32 v1, 1, v2
	v_pk_mul_f32 v[4:5], v[4:5], v[6:7]
	s_nop 0
	;;#ASMSTART
	v_pk_mul_f32 v[4:5], v[4:5], v[8:9]
	;;#ASMEND
	s_load_dword s0, s[2:3], 0xc
	v_perm_b32 v4, v5, v4, s34
	buffer_store_dword v4, v1, s[4:7], 0 offen
	s_waitcnt lgkmcnt(0)
	s_and_b32 s0, s0, 0xffff
	s_lshl_b32 s28, s0, 1
	v_lshl_add_u64 v[2:3], s[28:29], 0, v[2:3]
	v_cmp_le_i64_e32 vcc, s[24:25], v[2:3]
	s_or_b64 s[26:27], vcc, s[26:27]
	s_andn2_b64 exec, exec, s[26:27]
	s_cbranch_execnz .LBB193_8
.LBB193_9:
	s_endpgm
	.section	.rodata,"a",@progbits
	.p2align	6, 0x0
	.amdhsa_kernel _ZN5aiter23act_and_mul_bias_kernelIftlfTnPFfRKT2_EXadL_ZNS_11silu_kernelIfEEfRKT_EELi2EEEvPT0_PS8_PKT1_PS2_il
		.amdhsa_group_segment_fixed_size 0
		.amdhsa_private_segment_fixed_size 0
		.amdhsa_kernarg_size 304
		.amdhsa_user_sgpr_count 2
		.amdhsa_user_sgpr_dispatch_ptr 0
		.amdhsa_user_sgpr_queue_ptr 0
		.amdhsa_user_sgpr_kernarg_segment_ptr 1
		.amdhsa_user_sgpr_dispatch_id 0
		.amdhsa_user_sgpr_kernarg_preload_length 0
		.amdhsa_user_sgpr_kernarg_preload_offset 0
		.amdhsa_user_sgpr_private_segment_size 0
		.amdhsa_uses_dynamic_stack 0
		.amdhsa_enable_private_segment 0
		.amdhsa_system_sgpr_workgroup_id_x 1
		.amdhsa_system_sgpr_workgroup_id_y 0
		.amdhsa_system_sgpr_workgroup_id_z 0
		.amdhsa_system_sgpr_workgroup_info 0
		.amdhsa_system_vgpr_workitem_id 0
		.amdhsa_next_free_vgpr 15
		.amdhsa_next_free_sgpr 35
		.amdhsa_accum_offset 16
		.amdhsa_reserve_vcc 1
		.amdhsa_float_round_mode_32 0
		.amdhsa_float_round_mode_16_64 0
		.amdhsa_float_denorm_mode_32 3
		.amdhsa_float_denorm_mode_16_64 3
		.amdhsa_dx10_clamp 1
		.amdhsa_ieee_mode 1
		.amdhsa_fp16_overflow 0
		.amdhsa_tg_split 0
		.amdhsa_exception_fp_ieee_invalid_op 0
		.amdhsa_exception_fp_denorm_src 0
		.amdhsa_exception_fp_ieee_div_zero 0
		.amdhsa_exception_fp_ieee_overflow 0
		.amdhsa_exception_fp_ieee_underflow 0
		.amdhsa_exception_fp_ieee_inexact 0
		.amdhsa_exception_int_div_zero 0
	.end_amdhsa_kernel
	.section	.text._ZN5aiter23act_and_mul_bias_kernelIftlfTnPFfRKT2_EXadL_ZNS_11silu_kernelIfEEfRKT_EELi2EEEvPT0_PS8_PKT1_PS2_il,"axG",@progbits,_ZN5aiter23act_and_mul_bias_kernelIftlfTnPFfRKT2_EXadL_ZNS_11silu_kernelIfEEfRKT_EELi2EEEvPT0_PS8_PKT1_PS2_il,comdat
.Lfunc_end193:
	.size	_ZN5aiter23act_and_mul_bias_kernelIftlfTnPFfRKT2_EXadL_ZNS_11silu_kernelIfEEfRKT_EELi2EEEvPT0_PS8_PKT1_PS2_il, .Lfunc_end193-_ZN5aiter23act_and_mul_bias_kernelIftlfTnPFfRKT2_EXadL_ZNS_11silu_kernelIfEEfRKT_EELi2EEEvPT0_PS8_PKT1_PS2_il
                                        ; -- End function
	.section	.AMDGPU.csdata,"",@progbits
; Kernel info:
; codeLenInByte = 852
; NumSgprs: 41
; NumVgprs: 15
; NumAgprs: 0
; TotalNumVgprs: 15
; ScratchSize: 0
; MemoryBound: 0
; FloatMode: 240
; IeeeMode: 1
; LDSByteSize: 0 bytes/workgroup (compile time only)
; SGPRBlocks: 5
; VGPRBlocks: 1
; NumSGPRsForWavesPerEU: 41
; NumVGPRsForWavesPerEU: 15
; AccumOffset: 16
; Occupancy: 8
; WaveLimiterHint : 0
; COMPUTE_PGM_RSRC2:SCRATCH_EN: 0
; COMPUTE_PGM_RSRC2:USER_SGPR: 2
; COMPUTE_PGM_RSRC2:TRAP_HANDLER: 0
; COMPUTE_PGM_RSRC2:TGID_X_EN: 1
; COMPUTE_PGM_RSRC2:TGID_Y_EN: 0
; COMPUTE_PGM_RSRC2:TGID_Z_EN: 0
; COMPUTE_PGM_RSRC2:TIDIG_COMP_CNT: 0
; COMPUTE_PGM_RSRC3_GFX90A:ACCUM_OFFSET: 3
; COMPUTE_PGM_RSRC3_GFX90A:TG_SPLIT: 0
	.section	.text._ZN5aiter23act_and_mul_bias_kernelIftlfTnPFfRKT2_EXadL_ZNS_11silu_kernelIfEEfRKT_EELi1EEEvPT0_PS8_PKT1_PS2_il,"axG",@progbits,_ZN5aiter23act_and_mul_bias_kernelIftlfTnPFfRKT2_EXadL_ZNS_11silu_kernelIfEEfRKT_EELi1EEEvPT0_PS8_PKT1_PS2_il,comdat
	.protected	_ZN5aiter23act_and_mul_bias_kernelIftlfTnPFfRKT2_EXadL_ZNS_11silu_kernelIfEEfRKT_EELi1EEEvPT0_PS8_PKT1_PS2_il ; -- Begin function _ZN5aiter23act_and_mul_bias_kernelIftlfTnPFfRKT2_EXadL_ZNS_11silu_kernelIfEEfRKT_EELi1EEEvPT0_PS8_PKT1_PS2_il
	.globl	_ZN5aiter23act_and_mul_bias_kernelIftlfTnPFfRKT2_EXadL_ZNS_11silu_kernelIfEEfRKT_EELi1EEEvPT0_PS8_PKT1_PS2_il
	.p2align	8
	.type	_ZN5aiter23act_and_mul_bias_kernelIftlfTnPFfRKT2_EXadL_ZNS_11silu_kernelIfEEfRKT_EELi1EEEvPT0_PS8_PKT1_PS2_il,@function
_ZN5aiter23act_and_mul_bias_kernelIftlfTnPFfRKT2_EXadL_ZNS_11silu_kernelIfEEfRKT_EELi1EEEvPT0_PS8_PKT1_PS2_il: ; @_ZN5aiter23act_and_mul_bias_kernelIftlfTnPFfRKT2_EXadL_ZNS_11silu_kernelIfEEfRKT_EELi1EEEvPT0_PS8_PKT1_PS2_il
; %bb.0:
	s_load_dwordx2 s[4:5], s[0:1], 0x0
	s_load_dwordx2 s[6:7], s[0:1], 0x10
	s_load_dword s20, s[0:1], 0x20
	s_load_dwordx2 s[14:15], s[0:1], 0x28
	s_mov_b32 s3, 0
	s_lshl_b64 s[8:9], s[2:3], 3
	s_waitcnt lgkmcnt(0)
	s_add_u32 s6, s6, s8
	s_addc_u32 s7, s7, s9
	s_ashr_i32 s21, s20, 31
	s_load_dwordx2 s[12:13], s[6:7], 0x0
	s_mul_hi_u32 s3, s20, s2
	s_mul_i32 s6, s21, s2
	s_add_i32 s7, s3, s6
	s_mul_i32 s6, s20, s2
	s_lshl_b64 s[6:7], s[6:7], 1
	s_add_u32 s8, s4, s6
	s_addc_u32 s3, s5, s7
	s_add_i32 s4, s20, 1
	s_lshr_b32 s5, s4, 31
	s_add_i32 s4, s4, s5
	s_lshl_b32 s4, s4, 1
	v_mov_b64_e32 v[2:3], s[14:15]
	s_and_b32 s10, s4, -4
	s_waitcnt lgkmcnt(0)
	v_cmp_gt_i64_e64 s[4:5], s[12:13], -1
	v_cmp_lt_i64_e32 vcc, s[12:13], v[2:3]
	s_and_b64 s[4:5], s[4:5], vcc
	s_and_b32 s9, s3, 0xffff
	s_mov_b64 s[6:7], -1
	s_and_b64 vcc, exec, s[4:5]
	v_cmp_gt_i32_e64 s[4:5], s20, v0
	s_cbranch_vccnz .LBB194_5
; %bb.1:
	s_and_saveexec_b64 s[6:7], s[4:5]
	s_cbranch_execz .LBB194_4
; %bb.2:
	s_load_dword s3, s[0:1], 0x3c
	v_mov_b32_e32 v1, 0
	s_mov_b32 s5, 0
	v_lshlrev_b32_e32 v4, 1, v0
	s_mov_b64 s[14:15], 0
	s_waitcnt lgkmcnt(0)
	s_and_b32 s4, s3, 0xffff
	s_lshl_b32 s3, s4, 1
	s_mov_b32 s11, 0x20000
	v_mov_b64_e32 v[2:3], v[0:1]
.LBB194_3:                              ; =>This Inner Loop Header: Depth=1
	v_lshl_add_u64 v[2:3], v[2:3], 0, s[4:5]
	v_cmp_le_i64_e32 vcc, s[20:21], v[2:3]
	buffer_store_short v1, v4, s[8:11], 0 offen
	s_or_b64 s[14:15], vcc, s[14:15]
	v_add_u32_e32 v4, s3, v4
	s_andn2_b64 exec, exec, s[14:15]
	s_cbranch_execnz .LBB194_3
.LBB194_4:
	s_or_b64 exec, exec, s[6:7]
	s_mov_b64 s[6:7], 0
.LBB194_5:
	s_andn2_b64 vcc, exec, s[6:7]
	s_cbranch_vccnz .LBB194_9
; %bb.6:
	v_cmp_gt_i32_e32 vcc, s20, v0
	s_and_saveexec_b64 s[4:5], vcc
	s_cbranch_execz .LBB194_9
; %bb.7:
	s_mul_i32 s3, s20, s13
	s_mul_hi_u32 s4, s20, s12
	s_add_i32 s3, s4, s3
	s_load_dwordx2 s[14:15], s[0:1], 0x8
	s_load_dwordx2 s[4:5], s[0:1], 0x18
	s_mul_i32 s7, s21, s12
	s_add_i32 s13, s3, s7
	s_mul_i32 s12, s20, s12
	s_lshl_b32 s6, s20, 2
	s_lshl_b64 s[12:13], s[12:13], 3
	s_load_dword s18, s[0:1], 0x3c
	s_waitcnt lgkmcnt(0)
	s_add_u32 s0, s4, s12
	s_addc_u32 s1, s5, s13
	s_lshl_b64 s[16:17], s[20:21], 2
	s_add_u32 s4, s0, s16
	s_addc_u32 s3, s1, s17
	s_and_b32 s5, s3, 0xffff
	s_mul_i32 s3, s2, s21
	s_mul_hi_u32 s12, s2, s20
	s_add_i32 s3, s12, s3
	s_mul_i32 s2, s2, s20
	s_and_b32 s1, s1, 0xffff
	s_lshl_b64 s[2:3], s[2:3], 3
	s_add_u32 s12, s14, s2
	s_addc_u32 s2, s15, s3
	s_add_u32 s16, s12, s16
	s_mov_b32 s11, 0x20000
	s_addc_u32 s3, s2, s17
	s_and_b32 s22, s18, 0xffff
	s_mov_b32 s7, s11
	s_and_b32 s13, s2, 0xffff
	s_and_b32 s17, s3, 0xffff
	s_mov_b32 s23, 0
	v_mov_b32_e32 v1, 0
	v_lshlrev_b32_e32 v2, 1, v0
	s_lshl_b32 s26, s22, 1
	v_lshlrev_b32_e32 v3, 2, v0
	s_lshl_b32 s27, s22, 2
	s_mov_b64 s[24:25], 0
	s_mov_b32 s14, s6
	s_mov_b32 s15, s11
	;; [unrolled: 1-line block ×5, first 2 shown]
	v_mov_b32_e32 v4, 0x7f800000
	s_mov_b32 s18, s6
	s_mov_b32 s19, s11
	;; [unrolled: 1-line block ×4, first 2 shown]
.LBB194_8:                              ; =>This Inner Loop Header: Depth=1
	buffer_load_dword v7, v3, s[12:15], 0 offen
	buffer_load_dword v6, v3, s[16:19], 0 offen
	;; [unrolled: 1-line block ×4, first 2 shown]
	v_lshl_add_u64 v[0:1], v[0:1], 0, s[22:23]
	v_add_u32_e32 v3, s27, v3
	s_waitcnt vmcnt(0)
	v_pk_add_f32 v[6:7], v[6:7], v[8:9]
	s_nop 0
	v_mul_f32_e32 v5, 0xbfb8aa3b, v7
	v_fma_f32 v8, v7, s28, -v5
	v_rndne_f32_e32 v9, v5
	v_fmac_f32_e32 v8, 0xb2a5705f, v7
	v_sub_f32_e32 v5, v5, v9
	v_add_f32_e32 v5, v5, v8
	v_cvt_i32_f32_e32 v9, v9
	v_exp_f32_e32 v5, v5
	v_cmp_nlt_f32_e32 vcc, s29, v7
	v_ldexp_f32 v5, v5, v9
	s_nop 0
	v_cndmask_b32_e32 v5, 0, v5, vcc
	v_cmp_ngt_f32_e32 vcc, s30, v7
	s_nop 1
	v_cndmask_b32_e32 v5, v4, v5, vcc
	v_add_f32_e32 v5, 1.0, v5
	v_rcp_f32_e32 v5, v5
	v_cmp_le_i64_e32 vcc, s[20:21], v[0:1]
	s_or_b64 s[24:25], vcc, s[24:25]
	v_mul_f32_e32 v5, v7, v5
	v_mul_f32_e32 v5, v6, v5
	v_lshrrev_b32_e32 v5, 16, v5
	buffer_store_short v5, v2, s[8:11], 0 offen
	v_add_u32_e32 v2, s26, v2
	s_andn2_b64 exec, exec, s[24:25]
	s_cbranch_execnz .LBB194_8
.LBB194_9:
	s_endpgm
	.section	.rodata,"a",@progbits
	.p2align	6, 0x0
	.amdhsa_kernel _ZN5aiter23act_and_mul_bias_kernelIftlfTnPFfRKT2_EXadL_ZNS_11silu_kernelIfEEfRKT_EELi1EEEvPT0_PS8_PKT1_PS2_il
		.amdhsa_group_segment_fixed_size 0
		.amdhsa_private_segment_fixed_size 0
		.amdhsa_kernarg_size 304
		.amdhsa_user_sgpr_count 2
		.amdhsa_user_sgpr_dispatch_ptr 0
		.amdhsa_user_sgpr_queue_ptr 0
		.amdhsa_user_sgpr_kernarg_segment_ptr 1
		.amdhsa_user_sgpr_dispatch_id 0
		.amdhsa_user_sgpr_kernarg_preload_length 0
		.amdhsa_user_sgpr_kernarg_preload_offset 0
		.amdhsa_user_sgpr_private_segment_size 0
		.amdhsa_uses_dynamic_stack 0
		.amdhsa_enable_private_segment 0
		.amdhsa_system_sgpr_workgroup_id_x 1
		.amdhsa_system_sgpr_workgroup_id_y 0
		.amdhsa_system_sgpr_workgroup_id_z 0
		.amdhsa_system_sgpr_workgroup_info 0
		.amdhsa_system_vgpr_workitem_id 0
		.amdhsa_next_free_vgpr 10
		.amdhsa_next_free_sgpr 31
		.amdhsa_accum_offset 12
		.amdhsa_reserve_vcc 1
		.amdhsa_float_round_mode_32 0
		.amdhsa_float_round_mode_16_64 0
		.amdhsa_float_denorm_mode_32 3
		.amdhsa_float_denorm_mode_16_64 3
		.amdhsa_dx10_clamp 1
		.amdhsa_ieee_mode 1
		.amdhsa_fp16_overflow 0
		.amdhsa_tg_split 0
		.amdhsa_exception_fp_ieee_invalid_op 0
		.amdhsa_exception_fp_denorm_src 0
		.amdhsa_exception_fp_ieee_div_zero 0
		.amdhsa_exception_fp_ieee_overflow 0
		.amdhsa_exception_fp_ieee_underflow 0
		.amdhsa_exception_fp_ieee_inexact 0
		.amdhsa_exception_int_div_zero 0
	.end_amdhsa_kernel
	.section	.text._ZN5aiter23act_and_mul_bias_kernelIftlfTnPFfRKT2_EXadL_ZNS_11silu_kernelIfEEfRKT_EELi1EEEvPT0_PS8_PKT1_PS2_il,"axG",@progbits,_ZN5aiter23act_and_mul_bias_kernelIftlfTnPFfRKT2_EXadL_ZNS_11silu_kernelIfEEfRKT_EELi1EEEvPT0_PS8_PKT1_PS2_il,comdat
.Lfunc_end194:
	.size	_ZN5aiter23act_and_mul_bias_kernelIftlfTnPFfRKT2_EXadL_ZNS_11silu_kernelIfEEfRKT_EELi1EEEvPT0_PS8_PKT1_PS2_il, .Lfunc_end194-_ZN5aiter23act_and_mul_bias_kernelIftlfTnPFfRKT2_EXadL_ZNS_11silu_kernelIfEEfRKT_EELi1EEEvPT0_PS8_PKT1_PS2_il
                                        ; -- End function
	.section	.AMDGPU.csdata,"",@progbits
; Kernel info:
; codeLenInByte = 728
; NumSgprs: 37
; NumVgprs: 10
; NumAgprs: 0
; TotalNumVgprs: 10
; ScratchSize: 0
; MemoryBound: 0
; FloatMode: 240
; IeeeMode: 1
; LDSByteSize: 0 bytes/workgroup (compile time only)
; SGPRBlocks: 4
; VGPRBlocks: 1
; NumSGPRsForWavesPerEU: 37
; NumVGPRsForWavesPerEU: 10
; AccumOffset: 12
; Occupancy: 8
; WaveLimiterHint : 0
; COMPUTE_PGM_RSRC2:SCRATCH_EN: 0
; COMPUTE_PGM_RSRC2:USER_SGPR: 2
; COMPUTE_PGM_RSRC2:TRAP_HANDLER: 0
; COMPUTE_PGM_RSRC2:TGID_X_EN: 1
; COMPUTE_PGM_RSRC2:TGID_Y_EN: 0
; COMPUTE_PGM_RSRC2:TGID_Z_EN: 0
; COMPUTE_PGM_RSRC2:TIDIG_COMP_CNT: 0
; COMPUTE_PGM_RSRC3_GFX90A:ACCUM_OFFSET: 2
; COMPUTE_PGM_RSRC3_GFX90A:TG_SPLIT: 0
	.section	.text._ZN5aiter23act_and_mul_bias_kernelIfDF16_lfTnPFfRKT2_EXadL_ZNS_11silu_kernelIfEEfRKT_EELi16EEEvPT0_PS8_PKT1_PS2_il,"axG",@progbits,_ZN5aiter23act_and_mul_bias_kernelIfDF16_lfTnPFfRKT2_EXadL_ZNS_11silu_kernelIfEEfRKT_EELi16EEEvPT0_PS8_PKT1_PS2_il,comdat
	.protected	_ZN5aiter23act_and_mul_bias_kernelIfDF16_lfTnPFfRKT2_EXadL_ZNS_11silu_kernelIfEEfRKT_EELi16EEEvPT0_PS8_PKT1_PS2_il ; -- Begin function _ZN5aiter23act_and_mul_bias_kernelIfDF16_lfTnPFfRKT2_EXadL_ZNS_11silu_kernelIfEEfRKT_EELi16EEEvPT0_PS8_PKT1_PS2_il
	.globl	_ZN5aiter23act_and_mul_bias_kernelIfDF16_lfTnPFfRKT2_EXadL_ZNS_11silu_kernelIfEEfRKT_EELi16EEEvPT0_PS8_PKT1_PS2_il
	.p2align	8
	.type	_ZN5aiter23act_and_mul_bias_kernelIfDF16_lfTnPFfRKT2_EXadL_ZNS_11silu_kernelIfEEfRKT_EELi16EEEvPT0_PS8_PKT1_PS2_il,@function
_ZN5aiter23act_and_mul_bias_kernelIfDF16_lfTnPFfRKT2_EXadL_ZNS_11silu_kernelIfEEfRKT_EELi16EEEvPT0_PS8_PKT1_PS2_il: ; @_ZN5aiter23act_and_mul_bias_kernelIfDF16_lfTnPFfRKT2_EXadL_ZNS_11silu_kernelIfEEfRKT_EELi16EEEvPT0_PS8_PKT1_PS2_il
; %bb.0:
	s_load_dwordx2 s[6:7], s[0:1], 0x0
	s_load_dwordx2 s[4:5], s[0:1], 0x10
	s_load_dword s30, s[0:1], 0x20
	s_load_dwordx2 s[8:9], s[0:1], 0x28
	s_mov_b32 s3, 0
	s_lshl_b64 s[10:11], s[2:3], 3
	s_waitcnt lgkmcnt(0)
	s_add_u32 s4, s4, s10
	s_addc_u32 s5, s5, s11
	s_ashr_i32 s31, s30, 31
	s_mul_hi_u32 s3, s30, s2
	s_mul_i32 s10, s31, s2
	s_load_dwordx2 s[4:5], s[4:5], 0x0
	s_add_i32 s11, s3, s10
	s_mul_i32 s10, s30, s2
	s_lshl_b64 s[10:11], s[10:11], 1
	s_add_u32 s36, s6, s10
	s_addc_u32 s3, s7, s11
	s_add_i32 s6, s30, 1
	s_lshr_b32 s7, s6, 31
	v_mov_b64_e32 v[2:3], s[8:9]
	s_add_i32 s6, s6, s7
	s_waitcnt lgkmcnt(0)
	v_cmp_gt_i64_e64 s[10:11], s[4:5], -1
	v_cmp_lt_i64_e32 vcc, s[4:5], v[2:3]
	s_lshl_b32 s6, s6, 1
	s_and_b64 s[8:9], s[10:11], vcc
	s_and_b32 s38, s6, -4
	s_and_b32 s37, s3, 0xffff
	s_mov_b64 s[6:7], -1
	s_and_b64 vcc, exec, s[8:9]
	v_lshlrev_b32_e32 v56, 4, v0
	s_cbranch_vccnz .LBB195_5
; %bb.1:
	v_cmp_gt_i32_e32 vcc, s30, v56
	s_and_saveexec_b64 s[6:7], vcc
	s_cbranch_execz .LBB195_4
; %bb.2:
	s_load_dword s3, s[0:1], 0x3c
	s_mov_b32 s9, 0
	s_mov_b32 s12, s9
	;; [unrolled: 1-line block ×3, first 2 shown]
	v_mov_b32_e32 v57, 0
	v_lshlrev_b32_e32 v6, 5, v0
	s_waitcnt lgkmcnt(0)
	s_and_b32 s3, s3, 0xffff
	s_mov_b32 s14, s9
	s_mov_b32 s15, s9
	v_mov_b64_e32 v[0:1], s[12:13]
	s_lshl_b32 s8, s3, 4
	s_lshl_b32 s3, s3, 5
	s_mov_b64 s[10:11], 0
	s_mov_b32 s39, 0x20000
	v_mov_b64_e32 v[2:3], s[14:15]
	v_mov_b64_e32 v[4:5], v[56:57]
.LBB195_3:                              ; =>This Inner Loop Header: Depth=1
	v_lshl_add_u64 v[4:5], s[8:9], 0, v[4:5]
	v_cmp_le_i64_e32 vcc, s[30:31], v[4:5]
	buffer_store_dwordx4 v[0:3], v6, s[36:39], 0 offen
	buffer_store_dwordx4 v[0:3], v6, s[36:39], 16 offen
	s_or_b64 s[10:11], vcc, s[10:11]
	v_add_u32_e32 v6, s3, v6
	s_andn2_b64 exec, exec, s[10:11]
	s_cbranch_execnz .LBB195_3
.LBB195_4:
	s_or_b64 exec, exec, s[6:7]
	s_mov_b64 s[6:7], 0
.LBB195_5:
	s_andn2_b64 vcc, exec, s[6:7]
	s_cbranch_vccnz .LBB195_9
; %bb.6:
	v_cmp_gt_i32_e32 vcc, s30, v56
	s_and_saveexec_b64 s[6:7], vcc
	s_cbranch_execz .LBB195_9
; %bb.7:
	s_load_dwordx2 s[6:7], s[0:1], 0x8
	s_load_dwordx2 s[8:9], s[0:1], 0x18
	s_mul_i32 s3, s30, s5
	s_mul_hi_u32 s5, s30, s4
	s_add_i32 s3, s5, s3
	s_mul_i32 s5, s31, s4
	s_add_i32 s5, s3, s5
	s_mul_i32 s4, s30, s4
	s_lshl_b32 s42, s30, 2
	s_lshl_b64 s[4:5], s[4:5], 3
	s_waitcnt lgkmcnt(0)
	s_add_u32 s44, s8, s4
	s_addc_u32 s3, s9, s5
	s_lshl_b64 s[4:5], s[30:31], 2
	s_add_u32 s40, s44, s4
	s_addc_u32 s8, s3, s5
	s_and_b32 s45, s3, 0xffff
	s_and_b32 s41, s8, 0xffff
	s_mul_i32 s3, s2, s31
	s_mul_hi_u32 s8, s2, s30
	s_add_i32 s3, s8, s3
	s_mul_i32 s2, s2, s30
	s_lshl_b64 s[2:3], s[2:3], 3
	s_add_u32 s48, s6, s2
	s_addc_u32 s2, s7, s3
	s_add_u32 s52, s48, s4
	s_addc_u32 s3, s2, s5
	s_and_b32 s49, s2, 0xffff
	s_and_b32 s53, s3, 0xffff
	s_mov_b32 s39, 0x20000
	s_add_u32 s34, s0, 48
	s_mov_b32 s43, s39
	v_mov_b32_e32 v57, 0
	s_addc_u32 s35, s1, 0
	s_mov_b64 s[56:57], 0
	s_mov_b32 s50, s42
	s_mov_b32 s51, s39
	s_mov_b32 s59, 0
	s_mov_b32 s33, 0xbfb8aa3b
	s_mov_b32 s60, 0x42ce8ed0
	s_mov_b32 s61, 0xc2b17218
	v_mov_b32_e32 v58, 0x7f800000
	s_mov_b32 s54, s42
	s_mov_b32 s55, s39
	;; [unrolled: 1-line block ×4, first 2 shown]
.LBB195_8:                              ; =>This Inner Loop Header: Depth=1
	v_lshlrev_b32_e32 v59, 2, v56
	buffer_load_dwordx4 v[24:27], v59, s[40:43], 0 offen
	buffer_load_dwordx4 v[36:39], v59, s[52:55], 0 offen
	buffer_load_dwordx4 v[32:35], v59, s[44:47], 0 offen
	buffer_load_dwordx4 v[28:31], v59, s[52:55], 16 offen
	buffer_load_dwordx4 v[44:47], v59, s[40:43], 16 offen
	buffer_load_dwordx4 v[48:51], v59, s[48:51], 0 offen
	buffer_load_dwordx4 v[40:43], v59, s[48:51], 16 offen
	buffer_load_dwordx4 v[52:55], v59, s[44:47], 16 offen
	buffer_load_dwordx4 v[4:7], v59, s[52:55], 32 offen
	buffer_load_dwordx4 v[0:3], v59, s[52:55], 48 offen
	buffer_load_dwordx4 v[8:11], v59, s[44:47], 32 offen
	buffer_load_dwordx4 v[20:23], v59, s[40:43], 32 offen
	buffer_load_dwordx4 v[12:15], v59, s[40:43], 48 offen
	buffer_load_dwordx4 v[60:63], v59, s[48:51], 32 offen
	buffer_load_dwordx4 v[16:19], v59, s[48:51], 48 offen
	s_waitcnt vmcnt(13)
	v_pk_add_f32 v[38:39], v[38:39], v[26:27]
	v_pk_add_f32 v[36:37], v[36:37], v[24:25]
	buffer_load_dwordx4 v[24:27], v59, s[44:47], 48 offen
	s_waitcnt vmcnt(11)
	v_pk_add_f32 v[28:29], v[28:29], v[44:45]
	s_waitcnt vmcnt(10)
	v_pk_add_f32 v[32:33], v[48:49], v[32:33]
	v_pk_add_f32 v[34:35], v[50:51], v[34:35]
	s_waitcnt vmcnt(8)
	v_pk_add_f32 v[42:43], v[42:43], v[54:55]
	v_pk_add_f32 v[40:41], v[40:41], v[52:53]
	;; [unrolled: 1-line block ×3, first 2 shown]
	v_cmp_nlt_f32_e32 vcc, s60, v34
	s_waitcnt vmcnt(4)
	v_pk_add_f32 v[6:7], v[6:7], v[22:23]
	s_waitcnt vmcnt(3)
	v_pk_add_f32 v[2:3], v[2:3], v[14:15]
	v_pk_add_f32 v[4:5], v[4:5], v[20:21]
	;; [unrolled: 1-line block ×3, first 2 shown]
	v_mul_f32_e32 v20, 0xbfb8aa3b, v40
	v_mul_f32_e32 v21, 0xbfb8aa3b, v41
	;; [unrolled: 1-line block ×4, first 2 shown]
	s_waitcnt vmcnt(2)
	v_pk_add_f32 v[10:11], v[62:63], v[10:11]
	v_pk_add_f32 v[8:9], v[60:61], v[8:9]
	v_fma_f32 v59, v40, s33, -v20
	v_rndne_f32_e32 v60, v20
	v_fma_f32 v61, v41, s33, -v21
	v_rndne_f32_e32 v62, v21
	;; [unrolled: 2-line block ×4, first 2 shown]
	v_fmac_f32_e32 v59, 0xb2a5705f, v40
	v_sub_f32_e32 v20, v20, v60
	v_fmac_f32_e32 v61, 0xb2a5705f, v41
	v_sub_f32_e32 v21, v21, v62
	;; [unrolled: 2-line block ×4, first 2 shown]
	v_add_f32_e32 v20, v20, v59
	v_add_f32_e32 v21, v21, v61
	;; [unrolled: 1-line block ×4, first 2 shown]
	v_cvt_i32_f32_e32 v60, v60
	v_cvt_i32_f32_e32 v62, v62
	;; [unrolled: 1-line block ×4, first 2 shown]
	v_exp_f32_e32 v20, v20
	v_exp_f32_e32 v21, v21
	;; [unrolled: 1-line block ×4, first 2 shown]
	v_ldexp_f32 v20, v20, v60
	v_ldexp_f32 v21, v21, v62
	;; [unrolled: 1-line block ×4, first 2 shown]
	v_cmp_nlt_f32_e64 s[0:1], s60, v35
	v_cmp_nlt_f32_e64 s[2:3], s60, v40
	;; [unrolled: 1-line block ×11, first 2 shown]
	v_cndmask_b32_e64 v20, 0, v20, s[2:3]
	v_cmp_ngt_f32_e64 s[2:3], s61, v40
	v_cndmask_b32_e64 v21, 0, v21, s[4:5]
	v_cmp_ngt_f32_e64 s[4:5], s61, v41
	;; [unrolled: 2-line block ×4, first 2 shown]
	v_cndmask_b32_e64 v20, v58, v20, s[2:3]
	v_cndmask_b32_e64 v21, v58, v21, s[4:5]
	;; [unrolled: 1-line block ×4, first 2 shown]
	s_waitcnt vmcnt(0)
	v_pk_add_f32 v[14:15], v[16:17], v[24:25]
	v_mul_f32_e32 v16, 0xbfb8aa3b, v32
	v_pk_add_f32 v[12:13], v[18:19], v[26:27]
	v_mul_f32_e32 v17, 0xbfb8aa3b, v33
	v_mul_f32_e32 v18, 0xbfb8aa3b, v34
	;; [unrolled: 1-line block ×3, first 2 shown]
	v_fma_f32 v48, v32, s33, -v16
	v_rndne_f32_e32 v49, v16
	v_fma_f32 v50, v33, s33, -v17
	v_rndne_f32_e32 v51, v17
	;; [unrolled: 2-line block ×4, first 2 shown]
	v_fmac_f32_e32 v48, 0xb2a5705f, v32
	v_sub_f32_e32 v16, v16, v49
	v_mul_f32_e32 v25, 0xbfb8aa3b, v9
	v_mul_f32_e32 v26, 0xbfb8aa3b, v10
	;; [unrolled: 1-line block ×4, first 2 shown]
	v_add_f32_e32 v48, v16, v48
	v_fmac_f32_e32 v50, 0xb2a5705f, v33
	v_sub_f32_e32 v16, v17, v51
	v_fmac_f32_e32 v52, 0xb2a5705f, v34
	v_sub_f32_e32 v18, v18, v53
	;; [unrolled: 2-line block ×3, first 2 shown]
	v_add_f32_e32 v17, v16, v50
	v_fma_f32 v16, v9, s33, -v25
	v_add_f32_e32 v18, v18, v52
	v_rndne_f32_e32 v50, v25
	v_add_f32_e32 v19, v19, v54
	v_fma_f32 v52, v10, s33, -v26
	v_rndne_f32_e32 v54, v26
	v_fma_f32 v59, v11, s33, -v27
	v_rndne_f32_e32 v61, v27
	;; [unrolled: 2-line block ×3, first 2 shown]
	v_mul_f32_e32 v45, 0xbfb8aa3b, v15
	v_mul_f32_e32 v46, 0xbfb8aa3b, v12
	v_fmac_f32_e32 v16, 0xb2a5705f, v9
	v_sub_f32_e32 v25, v25, v50
	v_fmac_f32_e32 v52, 0xb2a5705f, v10
	v_sub_f32_e32 v26, v26, v54
	;; [unrolled: 2-line block ×4, first 2 shown]
	v_add_f32_e32 v25, v25, v16
	v_fma_f32 v16, v15, s33, -v45
	v_add_f32_e32 v26, v26, v52
	v_rndne_f32_e32 v52, v45
	v_add_f32_e32 v27, v27, v59
	v_fma_f32 v59, v12, s33, -v46
	v_add_f32_e32 v44, v44, v63
	v_rndne_f32_e32 v63, v46
	v_mul_f32_e32 v24, 0xbfb8aa3b, v8
	v_mul_f32_e32 v47, 0xbfb8aa3b, v13
	v_fmac_f32_e32 v16, 0xb2a5705f, v15
	v_sub_f32_e32 v45, v45, v52
	v_fmac_f32_e32 v59, 0xb2a5705f, v12
	v_sub_f32_e32 v46, v46, v63
	v_fma_f32 v67, v8, s33, -v24
	v_rndne_f32_e32 v68, v24
	v_add_f32_e32 v45, v45, v16
	v_fma_f32 v16, v13, s33, -v47
	v_add_f32_e32 v46, v46, v59
	v_rndne_f32_e32 v59, v47
	v_fmac_f32_e32 v67, 0xb2a5705f, v8
	v_sub_f32_e32 v24, v24, v68
	v_fmac_f32_e32 v16, 0xb2a5705f, v13
	v_sub_f32_e32 v47, v47, v59
	v_add_f32_e32 v24, v24, v67
	v_add_f32_e32 v47, v47, v16
	v_cvt_i32_f32_e32 v49, v49
	v_cvt_i32_f32_e32 v51, v51
	;; [unrolled: 1-line block ×4, first 2 shown]
	v_exp_f32_e32 v48, v48
	v_exp_f32_e32 v17, v17
	;; [unrolled: 1-line block ×4, first 2 shown]
	v_cvt_i32_f32_e32 v67, v68
	v_cvt_i32_f32_e32 v50, v50
	;; [unrolled: 1-line block ×8, first 2 shown]
	v_exp_f32_e32 v24, v24
	v_exp_f32_e32 v25, v25
	;; [unrolled: 1-line block ×8, first 2 shown]
	v_ldexp_f32 v48, v48, v49
	v_ldexp_f32 v17, v17, v51
	;; [unrolled: 1-line block ×11, first 2 shown]
	v_cmp_nlt_f32_e64 s[18:19], s60, v14
	v_cmp_nlt_f32_e64 s[20:21], s60, v15
	;; [unrolled: 1-line block ×3, first 2 shown]
	v_ldexp_f32 v47, v47, v59
	v_cmp_nlt_f32_e64 s[24:25], s60, v13
	v_cndmask_b32_e64 v17, 0, v17, s[28:29]
	v_cmp_ngt_f32_e64 s[28:29], s61, v33
	v_cndmask_b32_e32 v18, 0, v18, vcc
	v_cmp_ngt_f32_e32 vcc, s61, v34
	v_cndmask_b32_e64 v19, 0, v19, s[0:1]
	v_cmp_ngt_f32_e64 s[0:1], s61, v35
	v_cndmask_b32_e64 v48, 0, v48, s[26:27]
	v_cmp_ngt_f32_e64 s[26:27], s61, v32
	;; [unrolled: 2-line block ×10, first 2 shown]
	v_cndmask_b32_e64 v48, v58, v48, s[26:27]
	v_cndmask_b32_e64 v17, v58, v17, s[28:29]
	v_cndmask_b32_e32 v18, v58, v18, vcc
	v_cndmask_b32_e64 v19, v58, v19, s[0:1]
	v_cndmask_b32_e64 v24, v58, v24, s[10:11]
	;; [unrolled: 1-line block ×9, first 2 shown]
	v_add_f32_e32 v48, 1.0, v48
	v_add_f32_e32 v17, 1.0, v17
	;; [unrolled: 1-line block ×16, first 2 shown]
	v_rcp_f32_e32 v18, v48
	v_rcp_f32_e32 v19, v17
	v_rcp_f32_e32 v20, v49
	v_rcp_f32_e32 v21, v50
	v_rcp_f32_e32 v22, v51
	v_rcp_f32_e32 v23, v52
	v_rcp_f32_e32 v24, v53
	v_rcp_f32_e32 v25, v54
	v_rcp_f32_e32 v26, v55
	v_rcp_f32_e32 v27, v59
	v_rcp_f32_e32 v44, v60
	v_rcp_f32_e32 v45, v61
	v_rcp_f32_e32 v46, v62
	v_rcp_f32_e32 v47, v63
	v_rcp_f32_e32 v48, v64
	v_rcp_f32_e32 v49, v65
	v_pk_mul_f32 v[18:19], v[32:33], v[18:19]
	v_pk_mul_f32 v[20:21], v[34:35], v[20:21]
	;; [unrolled: 1-line block ×8, first 2 shown]
	;;#ASMSTART
	v_pk_mul_f32 v[18:19], v[18:19], v[36:37]
	;;#ASMEND
	;;#ASMSTART
	v_pk_mul_f32 v[20:21], v[20:21], v[38:39]
	;;#ASMEND
	;;#ASMSTART
	v_pk_mul_f32 v[22:23], v[22:23], v[28:29]
	;;#ASMEND
	;;#ASMSTART
	v_pk_mul_f32 v[24:25], v[24:25], v[30:31]
	;;#ASMEND
	;;#ASMSTART
	v_pk_mul_f32 v[4:5], v[8:9], v[4:5]
	;;#ASMEND
	;;#ASMSTART
	v_pk_mul_f32 v[6:7], v[10:11], v[6:7]
	;;#ASMEND
	;;#ASMSTART
	v_pk_mul_f32 v[0:1], v[14:15], v[0:1]
	;;#ASMEND
	s_nop 0
	;;#ASMSTART
	v_pk_mul_f32 v[2:3], v[12:13], v[2:3]
	;;#ASMEND
	s_load_dword s0, s[34:35], 0xc
	v_cvt_f16_f32_e32 v8, v18
	v_cvt_f16_f32_e32 v9, v19
	;; [unrolled: 1-line block ×16, first 2 shown]
	s_waitcnt lgkmcnt(0)
	s_and_b32 s0, s0, 0xffff
	s_lshl_b32 s58, s0, 4
	v_lshlrev_b32_e32 v16, 1, v56
	v_lshl_add_u64 v[56:57], s[58:59], 0, v[56:57]
	v_cmp_le_i64_e32 vcc, s[30:31], v[56:57]
	v_pack_b32_f16 v1, v10, v11
	v_pack_b32_f16 v3, v14, v15
	;; [unrolled: 1-line block ×8, first 2 shown]
	s_or_b64 s[56:57], vcc, s[56:57]
	buffer_store_dwordx4 v[0:3], v16, s[36:39], 0 offen
	buffer_store_dwordx4 v[4:7], v16, s[36:39], 16 offen
	s_andn2_b64 exec, exec, s[56:57]
	s_cbranch_execnz .LBB195_8
.LBB195_9:
	s_endpgm
	.section	.rodata,"a",@progbits
	.p2align	6, 0x0
	.amdhsa_kernel _ZN5aiter23act_and_mul_bias_kernelIfDF16_lfTnPFfRKT2_EXadL_ZNS_11silu_kernelIfEEfRKT_EELi16EEEvPT0_PS8_PKT1_PS2_il
		.amdhsa_group_segment_fixed_size 0
		.amdhsa_private_segment_fixed_size 0
		.amdhsa_kernarg_size 304
		.amdhsa_user_sgpr_count 2
		.amdhsa_user_sgpr_dispatch_ptr 0
		.amdhsa_user_sgpr_queue_ptr 0
		.amdhsa_user_sgpr_kernarg_segment_ptr 1
		.amdhsa_user_sgpr_dispatch_id 0
		.amdhsa_user_sgpr_kernarg_preload_length 0
		.amdhsa_user_sgpr_kernarg_preload_offset 0
		.amdhsa_user_sgpr_private_segment_size 0
		.amdhsa_uses_dynamic_stack 0
		.amdhsa_enable_private_segment 0
		.amdhsa_system_sgpr_workgroup_id_x 1
		.amdhsa_system_sgpr_workgroup_id_y 0
		.amdhsa_system_sgpr_workgroup_id_z 0
		.amdhsa_system_sgpr_workgroup_info 0
		.amdhsa_system_vgpr_workitem_id 0
		.amdhsa_next_free_vgpr 69
		.amdhsa_next_free_sgpr 62
		.amdhsa_accum_offset 72
		.amdhsa_reserve_vcc 1
		.amdhsa_float_round_mode_32 0
		.amdhsa_float_round_mode_16_64 0
		.amdhsa_float_denorm_mode_32 3
		.amdhsa_float_denorm_mode_16_64 3
		.amdhsa_dx10_clamp 1
		.amdhsa_ieee_mode 1
		.amdhsa_fp16_overflow 0
		.amdhsa_tg_split 0
		.amdhsa_exception_fp_ieee_invalid_op 0
		.amdhsa_exception_fp_denorm_src 0
		.amdhsa_exception_fp_ieee_div_zero 0
		.amdhsa_exception_fp_ieee_overflow 0
		.amdhsa_exception_fp_ieee_underflow 0
		.amdhsa_exception_fp_ieee_inexact 0
		.amdhsa_exception_int_div_zero 0
	.end_amdhsa_kernel
	.section	.text._ZN5aiter23act_and_mul_bias_kernelIfDF16_lfTnPFfRKT2_EXadL_ZNS_11silu_kernelIfEEfRKT_EELi16EEEvPT0_PS8_PKT1_PS2_il,"axG",@progbits,_ZN5aiter23act_and_mul_bias_kernelIfDF16_lfTnPFfRKT2_EXadL_ZNS_11silu_kernelIfEEfRKT_EELi16EEEvPT0_PS8_PKT1_PS2_il,comdat
.Lfunc_end195:
	.size	_ZN5aiter23act_and_mul_bias_kernelIfDF16_lfTnPFfRKT2_EXadL_ZNS_11silu_kernelIfEEfRKT_EELi16EEEvPT0_PS8_PKT1_PS2_il, .Lfunc_end195-_ZN5aiter23act_and_mul_bias_kernelIfDF16_lfTnPFfRKT2_EXadL_ZNS_11silu_kernelIfEEfRKT_EELi16EEEvPT0_PS8_PKT1_PS2_il
                                        ; -- End function
	.section	.AMDGPU.csdata,"",@progbits
; Kernel info:
; codeLenInByte = 2632
; NumSgprs: 68
; NumVgprs: 69
; NumAgprs: 0
; TotalNumVgprs: 69
; ScratchSize: 0
; MemoryBound: 0
; FloatMode: 240
; IeeeMode: 1
; LDSByteSize: 0 bytes/workgroup (compile time only)
; SGPRBlocks: 8
; VGPRBlocks: 8
; NumSGPRsForWavesPerEU: 68
; NumVGPRsForWavesPerEU: 69
; AccumOffset: 72
; Occupancy: 7
; WaveLimiterHint : 0
; COMPUTE_PGM_RSRC2:SCRATCH_EN: 0
; COMPUTE_PGM_RSRC2:USER_SGPR: 2
; COMPUTE_PGM_RSRC2:TRAP_HANDLER: 0
; COMPUTE_PGM_RSRC2:TGID_X_EN: 1
; COMPUTE_PGM_RSRC2:TGID_Y_EN: 0
; COMPUTE_PGM_RSRC2:TGID_Z_EN: 0
; COMPUTE_PGM_RSRC2:TIDIG_COMP_CNT: 0
; COMPUTE_PGM_RSRC3_GFX90A:ACCUM_OFFSET: 17
; COMPUTE_PGM_RSRC3_GFX90A:TG_SPLIT: 0
	.section	.text._ZN5aiter23act_and_mul_bias_kernelIfDF16_lfTnPFfRKT2_EXadL_ZNS_11silu_kernelIfEEfRKT_EELi8EEEvPT0_PS8_PKT1_PS2_il,"axG",@progbits,_ZN5aiter23act_and_mul_bias_kernelIfDF16_lfTnPFfRKT2_EXadL_ZNS_11silu_kernelIfEEfRKT_EELi8EEEvPT0_PS8_PKT1_PS2_il,comdat
	.protected	_ZN5aiter23act_and_mul_bias_kernelIfDF16_lfTnPFfRKT2_EXadL_ZNS_11silu_kernelIfEEfRKT_EELi8EEEvPT0_PS8_PKT1_PS2_il ; -- Begin function _ZN5aiter23act_and_mul_bias_kernelIfDF16_lfTnPFfRKT2_EXadL_ZNS_11silu_kernelIfEEfRKT_EELi8EEEvPT0_PS8_PKT1_PS2_il
	.globl	_ZN5aiter23act_and_mul_bias_kernelIfDF16_lfTnPFfRKT2_EXadL_ZNS_11silu_kernelIfEEfRKT_EELi8EEEvPT0_PS8_PKT1_PS2_il
	.p2align	8
	.type	_ZN5aiter23act_and_mul_bias_kernelIfDF16_lfTnPFfRKT2_EXadL_ZNS_11silu_kernelIfEEfRKT_EELi8EEEvPT0_PS8_PKT1_PS2_il,@function
_ZN5aiter23act_and_mul_bias_kernelIfDF16_lfTnPFfRKT2_EXadL_ZNS_11silu_kernelIfEEfRKT_EELi8EEEvPT0_PS8_PKT1_PS2_il: ; @_ZN5aiter23act_and_mul_bias_kernelIfDF16_lfTnPFfRKT2_EXadL_ZNS_11silu_kernelIfEEfRKT_EELi8EEEvPT0_PS8_PKT1_PS2_il
; %bb.0:
	s_load_dwordx2 s[6:7], s[0:1], 0x0
	s_load_dwordx2 s[4:5], s[0:1], 0x10
	s_load_dword s14, s[0:1], 0x20
	s_load_dwordx2 s[8:9], s[0:1], 0x28
	s_mov_b32 s3, 0
	s_lshl_b64 s[10:11], s[2:3], 3
	s_waitcnt lgkmcnt(0)
	s_add_u32 s4, s4, s10
	s_addc_u32 s5, s5, s11
	s_ashr_i32 s15, s14, 31
	s_mul_hi_u32 s3, s14, s2
	s_mul_i32 s10, s15, s2
	s_load_dwordx2 s[4:5], s[4:5], 0x0
	s_add_i32 s11, s3, s10
	s_mul_i32 s10, s14, s2
	s_lshl_b64 s[10:11], s[10:11], 1
	s_add_u32 s16, s6, s10
	s_addc_u32 s3, s7, s11
	s_add_i32 s6, s14, 1
	s_lshr_b32 s7, s6, 31
	v_mov_b64_e32 v[2:3], s[8:9]
	s_add_i32 s6, s6, s7
	s_waitcnt lgkmcnt(0)
	v_cmp_gt_i64_e64 s[10:11], s[4:5], -1
	v_cmp_lt_i64_e32 vcc, s[4:5], v[2:3]
	s_lshl_b32 s6, s6, 1
	s_and_b64 s[8:9], s[10:11], vcc
	s_and_b32 s18, s6, -4
	s_and_b32 s17, s3, 0xffff
	s_mov_b64 s[6:7], -1
	s_and_b64 vcc, exec, s[8:9]
	v_lshlrev_b32_e32 v4, 3, v0
	s_cbranch_vccnz .LBB196_5
; %bb.1:
	v_cmp_gt_i32_e32 vcc, s14, v4
	s_and_saveexec_b64 s[6:7], vcc
	s_cbranch_execz .LBB196_4
; %bb.2:
	s_load_dword s3, s[0:1], 0x3c
	v_mov_b32_e32 v5, 0
	s_mov_b32 s9, 0
	v_lshlrev_b32_e32 v8, 4, v0
	s_mov_b64 s[10:11], 0
	s_waitcnt lgkmcnt(0)
	s_and_b32 s3, s3, 0xffff
	s_lshl_b32 s8, s3, 3
	s_lshl_b32 s3, s3, 4
	s_mov_b32 s19, 0x20000
	v_mov_b32_e32 v0, v5
	v_mov_b32_e32 v1, v5
	;; [unrolled: 1-line block ×4, first 2 shown]
	v_mov_b64_e32 v[6:7], v[4:5]
.LBB196_3:                              ; =>This Inner Loop Header: Depth=1
	v_lshl_add_u64 v[6:7], s[8:9], 0, v[6:7]
	v_cmp_le_i64_e32 vcc, s[14:15], v[6:7]
	buffer_store_dwordx4 v[0:3], v8, s[16:19], 0 offen
	s_or_b64 s[10:11], vcc, s[10:11]
	v_add_u32_e32 v8, s3, v8
	s_andn2_b64 exec, exec, s[10:11]
	s_cbranch_execnz .LBB196_3
.LBB196_4:
	s_or_b64 exec, exec, s[6:7]
	s_mov_b64 s[6:7], 0
.LBB196_5:
	s_andn2_b64 vcc, exec, s[6:7]
	s_cbranch_vccnz .LBB196_9
; %bb.6:
	v_cmp_gt_i32_e32 vcc, s14, v4
	s_and_saveexec_b64 s[6:7], vcc
	s_cbranch_execz .LBB196_9
; %bb.7:
	s_load_dwordx2 s[6:7], s[0:1], 0x8
	s_load_dwordx2 s[8:9], s[0:1], 0x18
	s_mul_i32 s3, s14, s5
	s_mul_hi_u32 s5, s14, s4
	s_add_i32 s3, s5, s3
	s_mul_i32 s5, s15, s4
	s_add_i32 s5, s3, s5
	s_mul_i32 s4, s14, s4
	s_lshl_b32 s22, s14, 2
	s_lshl_b64 s[4:5], s[4:5], 3
	s_waitcnt lgkmcnt(0)
	s_add_u32 s24, s8, s4
	s_addc_u32 s3, s9, s5
	s_lshl_b64 s[4:5], s[14:15], 2
	s_add_u32 s20, s24, s4
	s_addc_u32 s8, s3, s5
	s_and_b32 s25, s3, 0xffff
	s_and_b32 s21, s8, 0xffff
	s_mul_i32 s3, s2, s15
	s_mul_hi_u32 s8, s2, s14
	s_add_i32 s3, s8, s3
	s_mul_i32 s2, s2, s14
	s_lshl_b64 s[2:3], s[2:3], 3
	s_add_u32 s28, s6, s2
	s_addc_u32 s2, s7, s3
	s_add_u32 s36, s28, s4
	s_addc_u32 s3, s2, s5
	s_and_b32 s29, s2, 0xffff
	s_and_b32 s37, s3, 0xffff
	s_mov_b32 s19, 0x20000
	s_add_u32 s34, s0, 48
	s_mov_b32 s23, s19
	v_mov_b32_e32 v5, 0
	s_addc_u32 s35, s1, 0
	s_mov_b64 s[40:41], 0
	s_mov_b32 s30, s22
	s_mov_b32 s31, s19
	;; [unrolled: 1-line block ×6, first 2 shown]
	v_mov_b32_e32 v10, 0x7f800000
	s_mov_b32 s38, s22
	s_mov_b32 s39, s19
	;; [unrolled: 1-line block ×4, first 2 shown]
.LBB196_8:                              ; =>This Inner Loop Header: Depth=1
	v_lshlrev_b32_e32 v0, 2, v4
	buffer_load_dwordx4 v[6:9], v0, s[20:23], 0 offen
	buffer_load_dwordx4 v[12:15], v0, s[36:39], 0 offen
	;; [unrolled: 1-line block ×8, first 2 shown]
	v_lshlrev_b32_e32 v11, 1, v4
	s_waitcnt vmcnt(6)
	v_pk_add_f32 v[0:1], v[14:15], v[8:9]
	v_pk_add_f32 v[2:3], v[12:13], v[6:7]
	s_waitcnt vmcnt(4)
	v_pk_add_f32 v[12:13], v[18:19], v[22:23]
	v_pk_add_f32 v[14:15], v[16:17], v[20:21]
	;; [unrolled: 3-line block ×4, first 2 shown]
	v_mul_f32_e32 v20, 0xbfb8aa3b, v14
	v_mul_f32_e32 v21, 0xbfb8aa3b, v15
	v_mul_f32_e32 v22, 0xbfb8aa3b, v12
	v_mul_f32_e32 v23, 0xbfb8aa3b, v13
	v_mul_f32_e32 v24, 0xbfb8aa3b, v18
	v_mul_f32_e32 v25, 0xbfb8aa3b, v19
	v_mul_f32_e32 v26, 0xbfb8aa3b, v16
	v_mul_f32_e32 v27, 0xbfb8aa3b, v17
	v_fma_f32 v28, v14, s33, -v20
	v_rndne_f32_e32 v29, v20
	v_fma_f32 v30, v15, s33, -v21
	v_rndne_f32_e32 v31, v21
	;; [unrolled: 2-line block ×8, first 2 shown]
	v_fmac_f32_e32 v28, 0xb2a5705f, v14
	v_sub_f32_e32 v20, v20, v29
	v_fmac_f32_e32 v30, 0xb2a5705f, v15
	v_sub_f32_e32 v21, v21, v31
	;; [unrolled: 2-line block ×8, first 2 shown]
	v_add_f32_e32 v20, v20, v28
	v_add_f32_e32 v21, v21, v30
	;; [unrolled: 1-line block ×8, first 2 shown]
	v_cvt_i32_f32_e32 v29, v29
	v_cvt_i32_f32_e32 v31, v31
	;; [unrolled: 1-line block ×8, first 2 shown]
	v_exp_f32_e32 v20, v20
	v_exp_f32_e32 v21, v21
	v_exp_f32_e32 v22, v22
	v_exp_f32_e32 v23, v23
	v_exp_f32_e32 v24, v24
	v_exp_f32_e32 v25, v25
	v_exp_f32_e32 v26, v26
	v_exp_f32_e32 v27, v27
	v_ldexp_f32 v20, v20, v29
	v_ldexp_f32 v21, v21, v31
	v_cmp_nlt_f32_e32 vcc, s44, v15
	v_ldexp_f32 v22, v22, v33
	v_cmp_nlt_f32_e64 s[0:1], s44, v12
	v_ldexp_f32 v23, v23, v35
	v_cmp_nlt_f32_e64 s[2:3], s44, v13
	;; [unrolled: 2-line block ×6, first 2 shown]
	v_cmp_nlt_f32_e64 s[12:13], s44, v14
	v_cndmask_b32_e32 v21, 0, v21, vcc
	v_cmp_ngt_f32_e32 vcc, s45, v15
	v_cndmask_b32_e64 v20, 0, v20, s[12:13]
	v_cndmask_b32_e64 v22, 0, v22, s[0:1]
	v_cmp_ngt_f32_e64 s[0:1], s45, v12
	v_cndmask_b32_e64 v23, 0, v23, s[2:3]
	v_cmp_ngt_f32_e64 s[2:3], s45, v13
	;; [unrolled: 2-line block ×6, first 2 shown]
	v_cmp_ngt_f32_e64 s[12:13], s45, v14
	v_cndmask_b32_e32 v21, v10, v21, vcc
	v_cndmask_b32_e64 v22, v10, v22, s[0:1]
	v_cndmask_b32_e64 v20, v10, v20, s[12:13]
	;; [unrolled: 1-line block ×7, first 2 shown]
	v_add_f32_e32 v20, 1.0, v20
	v_add_f32_e32 v21, 1.0, v21
	;; [unrolled: 1-line block ×8, first 2 shown]
	v_rcp_f32_e32 v20, v20
	v_rcp_f32_e32 v21, v21
	v_rcp_f32_e32 v22, v22
	v_rcp_f32_e32 v23, v23
	v_rcp_f32_e32 v24, v24
	v_rcp_f32_e32 v25, v25
	v_rcp_f32_e32 v26, v26
	v_rcp_f32_e32 v27, v27
	v_pk_mul_f32 v[14:15], v[14:15], v[20:21]
	v_pk_mul_f32 v[12:13], v[12:13], v[22:23]
	;; [unrolled: 1-line block ×4, first 2 shown]
	;;#ASMSTART
	v_pk_mul_f32 v[2:3], v[14:15], v[2:3]
	;;#ASMEND
	;;#ASMSTART
	v_pk_mul_f32 v[0:1], v[12:13], v[0:1]
	;;#ASMEND
	;; [unrolled: 3-line block ×3, first 2 shown]
	s_nop 0
	;;#ASMSTART
	v_pk_mul_f32 v[6:7], v[16:17], v[6:7]
	;;#ASMEND
	s_load_dword s0, s[34:35], 0xc
	v_cvt_f16_f32_e32 v2, v2
	v_cvt_f16_f32_e32 v12, v3
	;; [unrolled: 1-line block ×8, first 2 shown]
	s_waitcnt lgkmcnt(0)
	s_and_b32 s0, s0, 0xffff
	s_lshl_b32 s42, s0, 3
	v_lshl_add_u64 v[4:5], s[42:43], 0, v[4:5]
	v_cmp_le_i64_e32 vcc, s[14:15], v[4:5]
	v_pack_b32_f16 v1, v0, v1
	v_pack_b32_f16 v3, v3, v6
	;; [unrolled: 1-line block ×4, first 2 shown]
	s_or_b64 s[40:41], vcc, s[40:41]
	buffer_store_dwordx4 v[0:3], v11, s[16:19], 0 offen
	s_andn2_b64 exec, exec, s[40:41]
	s_cbranch_execnz .LBB196_8
.LBB196_9:
	s_endpgm
	.section	.rodata,"a",@progbits
	.p2align	6, 0x0
	.amdhsa_kernel _ZN5aiter23act_and_mul_bias_kernelIfDF16_lfTnPFfRKT2_EXadL_ZNS_11silu_kernelIfEEfRKT_EELi8EEEvPT0_PS8_PKT1_PS2_il
		.amdhsa_group_segment_fixed_size 0
		.amdhsa_private_segment_fixed_size 0
		.amdhsa_kernarg_size 304
		.amdhsa_user_sgpr_count 2
		.amdhsa_user_sgpr_dispatch_ptr 0
		.amdhsa_user_sgpr_queue_ptr 0
		.amdhsa_user_sgpr_kernarg_segment_ptr 1
		.amdhsa_user_sgpr_dispatch_id 0
		.amdhsa_user_sgpr_kernarg_preload_length 0
		.amdhsa_user_sgpr_kernarg_preload_offset 0
		.amdhsa_user_sgpr_private_segment_size 0
		.amdhsa_uses_dynamic_stack 0
		.amdhsa_enable_private_segment 0
		.amdhsa_system_sgpr_workgroup_id_x 1
		.amdhsa_system_sgpr_workgroup_id_y 0
		.amdhsa_system_sgpr_workgroup_id_z 0
		.amdhsa_system_sgpr_workgroup_info 0
		.amdhsa_system_vgpr_workitem_id 0
		.amdhsa_next_free_vgpr 44
		.amdhsa_next_free_sgpr 46
		.amdhsa_accum_offset 44
		.amdhsa_reserve_vcc 1
		.amdhsa_float_round_mode_32 0
		.amdhsa_float_round_mode_16_64 0
		.amdhsa_float_denorm_mode_32 3
		.amdhsa_float_denorm_mode_16_64 3
		.amdhsa_dx10_clamp 1
		.amdhsa_ieee_mode 1
		.amdhsa_fp16_overflow 0
		.amdhsa_tg_split 0
		.amdhsa_exception_fp_ieee_invalid_op 0
		.amdhsa_exception_fp_denorm_src 0
		.amdhsa_exception_fp_ieee_div_zero 0
		.amdhsa_exception_fp_ieee_overflow 0
		.amdhsa_exception_fp_ieee_underflow 0
		.amdhsa_exception_fp_ieee_inexact 0
		.amdhsa_exception_int_div_zero 0
	.end_amdhsa_kernel
	.section	.text._ZN5aiter23act_and_mul_bias_kernelIfDF16_lfTnPFfRKT2_EXadL_ZNS_11silu_kernelIfEEfRKT_EELi8EEEvPT0_PS8_PKT1_PS2_il,"axG",@progbits,_ZN5aiter23act_and_mul_bias_kernelIfDF16_lfTnPFfRKT2_EXadL_ZNS_11silu_kernelIfEEfRKT_EELi8EEEvPT0_PS8_PKT1_PS2_il,comdat
.Lfunc_end196:
	.size	_ZN5aiter23act_and_mul_bias_kernelIfDF16_lfTnPFfRKT2_EXadL_ZNS_11silu_kernelIfEEfRKT_EELi8EEEvPT0_PS8_PKT1_PS2_il, .Lfunc_end196-_ZN5aiter23act_and_mul_bias_kernelIfDF16_lfTnPFfRKT2_EXadL_ZNS_11silu_kernelIfEEfRKT_EELi8EEEvPT0_PS8_PKT1_PS2_il
                                        ; -- End function
	.section	.AMDGPU.csdata,"",@progbits
; Kernel info:
; codeLenInByte = 1600
; NumSgprs: 52
; NumVgprs: 44
; NumAgprs: 0
; TotalNumVgprs: 44
; ScratchSize: 0
; MemoryBound: 0
; FloatMode: 240
; IeeeMode: 1
; LDSByteSize: 0 bytes/workgroup (compile time only)
; SGPRBlocks: 6
; VGPRBlocks: 5
; NumSGPRsForWavesPerEU: 52
; NumVGPRsForWavesPerEU: 44
; AccumOffset: 44
; Occupancy: 8
; WaveLimiterHint : 0
; COMPUTE_PGM_RSRC2:SCRATCH_EN: 0
; COMPUTE_PGM_RSRC2:USER_SGPR: 2
; COMPUTE_PGM_RSRC2:TRAP_HANDLER: 0
; COMPUTE_PGM_RSRC2:TGID_X_EN: 1
; COMPUTE_PGM_RSRC2:TGID_Y_EN: 0
; COMPUTE_PGM_RSRC2:TGID_Z_EN: 0
; COMPUTE_PGM_RSRC2:TIDIG_COMP_CNT: 0
; COMPUTE_PGM_RSRC3_GFX90A:ACCUM_OFFSET: 10
; COMPUTE_PGM_RSRC3_GFX90A:TG_SPLIT: 0
	.section	.text._ZN5aiter23act_and_mul_bias_kernelIfDF16_lfTnPFfRKT2_EXadL_ZNS_11silu_kernelIfEEfRKT_EELi4EEEvPT0_PS8_PKT1_PS2_il,"axG",@progbits,_ZN5aiter23act_and_mul_bias_kernelIfDF16_lfTnPFfRKT2_EXadL_ZNS_11silu_kernelIfEEfRKT_EELi4EEEvPT0_PS8_PKT1_PS2_il,comdat
	.protected	_ZN5aiter23act_and_mul_bias_kernelIfDF16_lfTnPFfRKT2_EXadL_ZNS_11silu_kernelIfEEfRKT_EELi4EEEvPT0_PS8_PKT1_PS2_il ; -- Begin function _ZN5aiter23act_and_mul_bias_kernelIfDF16_lfTnPFfRKT2_EXadL_ZNS_11silu_kernelIfEEfRKT_EELi4EEEvPT0_PS8_PKT1_PS2_il
	.globl	_ZN5aiter23act_and_mul_bias_kernelIfDF16_lfTnPFfRKT2_EXadL_ZNS_11silu_kernelIfEEfRKT_EELi4EEEvPT0_PS8_PKT1_PS2_il
	.p2align	8
	.type	_ZN5aiter23act_and_mul_bias_kernelIfDF16_lfTnPFfRKT2_EXadL_ZNS_11silu_kernelIfEEfRKT_EELi4EEEvPT0_PS8_PKT1_PS2_il,@function
_ZN5aiter23act_and_mul_bias_kernelIfDF16_lfTnPFfRKT2_EXadL_ZNS_11silu_kernelIfEEfRKT_EELi4EEEvPT0_PS8_PKT1_PS2_il: ; @_ZN5aiter23act_and_mul_bias_kernelIfDF16_lfTnPFfRKT2_EXadL_ZNS_11silu_kernelIfEEfRKT_EELi4EEEvPT0_PS8_PKT1_PS2_il
; %bb.0:
	s_load_dwordx2 s[8:9], s[0:1], 0x0
	s_load_dwordx2 s[4:5], s[0:1], 0x10
	s_load_dword s6, s[0:1], 0x20
	s_load_dwordx2 s[14:15], s[0:1], 0x28
	s_mov_b32 s3, 0
	s_lshl_b64 s[10:11], s[2:3], 3
	s_waitcnt lgkmcnt(0)
	s_add_u32 s4, s4, s10
	s_addc_u32 s5, s5, s11
	s_ashr_i32 s7, s6, 31
	s_mul_hi_u32 s3, s6, s2
	s_mul_i32 s10, s7, s2
	s_load_dwordx2 s[4:5], s[4:5], 0x0
	s_add_i32 s11, s3, s10
	s_mul_i32 s10, s6, s2
	s_lshl_b64 s[10:11], s[10:11], 1
	s_add_u32 s8, s8, s10
	s_addc_u32 s3, s9, s11
	s_add_i32 s9, s6, 1
	s_lshr_b32 s10, s9, 31
	v_mov_b64_e32 v[2:3], s[14:15]
	s_add_i32 s9, s9, s10
	s_waitcnt lgkmcnt(0)
	v_cmp_gt_i64_e64 s[16:17], s[4:5], -1
	v_cmp_lt_i64_e32 vcc, s[4:5], v[2:3]
	s_lshl_b32 s9, s9, 1
	s_and_b64 s[14:15], s[16:17], vcc
	s_and_b32 s10, s9, -4
	s_and_b32 s9, s3, 0xffff
	s_mov_b64 s[12:13], -1
	s_and_b64 vcc, exec, s[14:15]
	v_lshlrev_b32_e32 v2, 2, v0
	s_cbranch_vccnz .LBB197_5
; %bb.1:
	v_cmp_gt_i32_e32 vcc, s6, v2
	s_and_saveexec_b64 s[12:13], vcc
	s_cbranch_execz .LBB197_4
; %bb.2:
	s_load_dword s3, s[0:1], 0x3c
	v_mov_b32_e32 v3, 0
	s_mov_b32 s15, 0
	v_lshlrev_b32_e32 v6, 3, v0
	s_mov_b64 s[16:17], 0
	s_waitcnt lgkmcnt(0)
	s_and_b32 s3, s3, 0xffff
	s_lshl_b32 s14, s3, 2
	s_lshl_b32 s3, s3, 3
	s_mov_b32 s11, 0x20000
	v_mov_b32_e32 v0, v3
	v_mov_b32_e32 v1, v3
	v_mov_b64_e32 v[4:5], v[2:3]
.LBB197_3:                              ; =>This Inner Loop Header: Depth=1
	v_lshl_add_u64 v[4:5], s[14:15], 0, v[4:5]
	v_cmp_le_i64_e32 vcc, s[6:7], v[4:5]
	buffer_store_dwordx2 v[0:1], v6, s[8:11], 0 offen
	s_or_b64 s[16:17], vcc, s[16:17]
	v_add_u32_e32 v6, s3, v6
	s_andn2_b64 exec, exec, s[16:17]
	s_cbranch_execnz .LBB197_3
.LBB197_4:
	s_or_b64 exec, exec, s[12:13]
	s_mov_b64 s[12:13], 0
.LBB197_5:
	s_andn2_b64 vcc, exec, s[12:13]
	s_cbranch_vccnz .LBB197_9
; %bb.6:
	v_cmp_gt_i32_e32 vcc, s6, v2
	s_and_saveexec_b64 s[12:13], vcc
	s_cbranch_execz .LBB197_9
; %bb.7:
	s_load_dwordx2 s[18:19], s[0:1], 0x8
	s_load_dwordx2 s[12:13], s[0:1], 0x18
	s_mul_i32 s3, s6, s5
	s_mul_hi_u32 s5, s6, s4
	s_add_i32 s3, s5, s3
	s_mul_i32 s5, s7, s4
	s_add_i32 s5, s3, s5
	s_mul_i32 s4, s6, s4
	s_lshl_b32 s14, s6, 2
	s_lshl_b64 s[4:5], s[4:5], 3
	s_waitcnt lgkmcnt(0)
	s_add_u32 s16, s12, s4
	s_addc_u32 s3, s13, s5
	s_lshl_b64 s[4:5], s[6:7], 2
	s_add_u32 s12, s16, s4
	s_addc_u32 s13, s3, s5
	s_and_b32 s17, s3, 0xffff
	s_mul_i32 s3, s2, s7
	s_mul_hi_u32 s20, s2, s6
	s_add_i32 s3, s20, s3
	s_mul_i32 s2, s2, s6
	s_and_b32 s13, s13, 0xffff
	s_lshl_b64 s[2:3], s[2:3], 3
	s_add_u32 s20, s18, s2
	s_addc_u32 s2, s19, s3
	s_add_u32 s24, s20, s4
	s_addc_u32 s3, s2, s5
	s_and_b32 s21, s2, 0xffff
	s_and_b32 s25, s3, 0xffff
	s_mov_b32 s11, 0x20000
	s_add_u32 s28, s0, 48
	s_mov_b32 s15, s11
	v_mov_b32_e32 v3, 0
	s_addc_u32 s29, s1, 0
	s_mov_b64 s[30:31], 0
	s_mov_b32 s22, s14
	s_mov_b32 s23, s11
	;; [unrolled: 1-line block ×6, first 2 shown]
	v_mov_b32_e32 v0, 0x7f800000
	s_mov_b32 s26, s14
	s_mov_b32 s27, s11
	;; [unrolled: 1-line block ×4, first 2 shown]
.LBB197_8:                              ; =>This Inner Loop Header: Depth=1
	v_lshlrev_b32_e32 v1, 2, v2
	buffer_load_dwordx4 v[4:7], v1, s[20:23], 0 offen
	buffer_load_dwordx4 v[8:11], v1, s[24:27], 0 offen
	;; [unrolled: 1-line block ×4, first 2 shown]
	v_lshlrev_b32_e32 v1, 1, v2
	s_waitcnt vmcnt(1)
	v_pk_add_f32 v[6:7], v[6:7], v[14:15]
	v_pk_add_f32 v[4:5], v[4:5], v[12:13]
	v_mul_f32_e32 v14, 0xbfb8aa3b, v6
	v_mul_f32_e32 v12, 0xbfb8aa3b, v4
	;; [unrolled: 1-line block ×4, first 2 shown]
	s_waitcnt vmcnt(0)
	v_pk_add_f32 v[10:11], v[10:11], v[18:19]
	v_pk_add_f32 v[8:9], v[8:9], v[16:17]
	v_fma_f32 v16, v4, s33, -v12
	v_rndne_f32_e32 v17, v12
	v_fma_f32 v18, v5, s33, -v13
	v_rndne_f32_e32 v19, v13
	;; [unrolled: 2-line block ×4, first 2 shown]
	v_fmac_f32_e32 v16, 0xb2a5705f, v4
	v_sub_f32_e32 v12, v12, v17
	v_fmac_f32_e32 v18, 0xb2a5705f, v5
	v_sub_f32_e32 v13, v13, v19
	;; [unrolled: 2-line block ×4, first 2 shown]
	v_add_f32_e32 v12, v12, v16
	v_add_f32_e32 v13, v13, v18
	;; [unrolled: 1-line block ×4, first 2 shown]
	v_cvt_i32_f32_e32 v17, v17
	v_cvt_i32_f32_e32 v19, v19
	;; [unrolled: 1-line block ×4, first 2 shown]
	v_exp_f32_e32 v12, v12
	v_exp_f32_e32 v13, v13
	;; [unrolled: 1-line block ×4, first 2 shown]
	v_ldexp_f32 v12, v12, v17
	v_ldexp_f32 v13, v13, v19
	v_cmp_nlt_f32_e32 vcc, s36, v5
	v_ldexp_f32 v14, v14, v21
	v_cmp_nlt_f32_e64 s[0:1], s36, v6
	v_ldexp_f32 v15, v15, v23
	v_cmp_nlt_f32_e64 s[2:3], s36, v7
	v_cmp_nlt_f32_e64 s[4:5], s36, v4
	v_cndmask_b32_e32 v13, 0, v13, vcc
	v_cmp_ngt_f32_e32 vcc, s37, v5
	v_cndmask_b32_e64 v12, 0, v12, s[4:5]
	v_cndmask_b32_e64 v14, 0, v14, s[0:1]
	v_cmp_ngt_f32_e64 s[0:1], s37, v6
	v_cndmask_b32_e64 v15, 0, v15, s[2:3]
	v_cmp_ngt_f32_e64 s[2:3], s37, v7
	v_cmp_ngt_f32_e64 s[4:5], s37, v4
	v_cndmask_b32_e32 v13, v0, v13, vcc
	v_cndmask_b32_e64 v14, v0, v14, s[0:1]
	v_cndmask_b32_e64 v12, v0, v12, s[4:5]
	;; [unrolled: 1-line block ×3, first 2 shown]
	v_add_f32_e32 v12, 1.0, v12
	v_add_f32_e32 v13, 1.0, v13
	;; [unrolled: 1-line block ×4, first 2 shown]
	v_rcp_f32_e32 v12, v12
	v_rcp_f32_e32 v13, v13
	;; [unrolled: 1-line block ×4, first 2 shown]
	v_pk_mul_f32 v[4:5], v[4:5], v[12:13]
	s_nop 0
	;;#ASMSTART
	v_pk_mul_f32 v[4:5], v[4:5], v[8:9]
	;;#ASMEND
	v_pk_mul_f32 v[6:7], v[6:7], v[14:15]
	v_cvt_f16_f32_e32 v4, v4
	;;#ASMSTART
	v_pk_mul_f32 v[6:7], v[6:7], v[10:11]
	;;#ASMEND
	s_load_dword s0, s[28:29], 0xc
	v_cvt_f16_f32_e32 v6, v6
	v_cvt_f16_f32_e32 v7, v7
	v_cvt_f16_f32_e32 v8, v5
	s_waitcnt lgkmcnt(0)
	s_and_b32 s0, s0, 0xffff
	s_lshl_b32 s34, s0, 2
	v_lshl_add_u64 v[2:3], s[34:35], 0, v[2:3]
	v_cmp_le_i64_e32 vcc, s[6:7], v[2:3]
	v_pack_b32_f16 v5, v6, v7
	v_pack_b32_f16 v4, v4, v8
	s_or_b64 s[30:31], vcc, s[30:31]
	buffer_store_dwordx2 v[4:5], v1, s[8:11], 0 offen
	s_andn2_b64 exec, exec, s[30:31]
	s_cbranch_execnz .LBB197_8
.LBB197_9:
	s_endpgm
	.section	.rodata,"a",@progbits
	.p2align	6, 0x0
	.amdhsa_kernel _ZN5aiter23act_and_mul_bias_kernelIfDF16_lfTnPFfRKT2_EXadL_ZNS_11silu_kernelIfEEfRKT_EELi4EEEvPT0_PS8_PKT1_PS2_il
		.amdhsa_group_segment_fixed_size 0
		.amdhsa_private_segment_fixed_size 0
		.amdhsa_kernarg_size 304
		.amdhsa_user_sgpr_count 2
		.amdhsa_user_sgpr_dispatch_ptr 0
		.amdhsa_user_sgpr_queue_ptr 0
		.amdhsa_user_sgpr_kernarg_segment_ptr 1
		.amdhsa_user_sgpr_dispatch_id 0
		.amdhsa_user_sgpr_kernarg_preload_length 0
		.amdhsa_user_sgpr_kernarg_preload_offset 0
		.amdhsa_user_sgpr_private_segment_size 0
		.amdhsa_uses_dynamic_stack 0
		.amdhsa_enable_private_segment 0
		.amdhsa_system_sgpr_workgroup_id_x 1
		.amdhsa_system_sgpr_workgroup_id_y 0
		.amdhsa_system_sgpr_workgroup_id_z 0
		.amdhsa_system_sgpr_workgroup_info 0
		.amdhsa_system_vgpr_workitem_id 0
		.amdhsa_next_free_vgpr 24
		.amdhsa_next_free_sgpr 38
		.amdhsa_accum_offset 24
		.amdhsa_reserve_vcc 1
		.amdhsa_float_round_mode_32 0
		.amdhsa_float_round_mode_16_64 0
		.amdhsa_float_denorm_mode_32 3
		.amdhsa_float_denorm_mode_16_64 3
		.amdhsa_dx10_clamp 1
		.amdhsa_ieee_mode 1
		.amdhsa_fp16_overflow 0
		.amdhsa_tg_split 0
		.amdhsa_exception_fp_ieee_invalid_op 0
		.amdhsa_exception_fp_denorm_src 0
		.amdhsa_exception_fp_ieee_div_zero 0
		.amdhsa_exception_fp_ieee_overflow 0
		.amdhsa_exception_fp_ieee_underflow 0
		.amdhsa_exception_fp_ieee_inexact 0
		.amdhsa_exception_int_div_zero 0
	.end_amdhsa_kernel
	.section	.text._ZN5aiter23act_and_mul_bias_kernelIfDF16_lfTnPFfRKT2_EXadL_ZNS_11silu_kernelIfEEfRKT_EELi4EEEvPT0_PS8_PKT1_PS2_il,"axG",@progbits,_ZN5aiter23act_and_mul_bias_kernelIfDF16_lfTnPFfRKT2_EXadL_ZNS_11silu_kernelIfEEfRKT_EELi4EEEvPT0_PS8_PKT1_PS2_il,comdat
.Lfunc_end197:
	.size	_ZN5aiter23act_and_mul_bias_kernelIfDF16_lfTnPFfRKT2_EXadL_ZNS_11silu_kernelIfEEfRKT_EELi4EEEvPT0_PS8_PKT1_PS2_il, .Lfunc_end197-_ZN5aiter23act_and_mul_bias_kernelIfDF16_lfTnPFfRKT2_EXadL_ZNS_11silu_kernelIfEEfRKT_EELi4EEEvPT0_PS8_PKT1_PS2_il
                                        ; -- End function
	.section	.AMDGPU.csdata,"",@progbits
; Kernel info:
; codeLenInByte = 1088
; NumSgprs: 44
; NumVgprs: 24
; NumAgprs: 0
; TotalNumVgprs: 24
; ScratchSize: 0
; MemoryBound: 0
; FloatMode: 240
; IeeeMode: 1
; LDSByteSize: 0 bytes/workgroup (compile time only)
; SGPRBlocks: 5
; VGPRBlocks: 2
; NumSGPRsForWavesPerEU: 44
; NumVGPRsForWavesPerEU: 24
; AccumOffset: 24
; Occupancy: 8
; WaveLimiterHint : 0
; COMPUTE_PGM_RSRC2:SCRATCH_EN: 0
; COMPUTE_PGM_RSRC2:USER_SGPR: 2
; COMPUTE_PGM_RSRC2:TRAP_HANDLER: 0
; COMPUTE_PGM_RSRC2:TGID_X_EN: 1
; COMPUTE_PGM_RSRC2:TGID_Y_EN: 0
; COMPUTE_PGM_RSRC2:TGID_Z_EN: 0
; COMPUTE_PGM_RSRC2:TIDIG_COMP_CNT: 0
; COMPUTE_PGM_RSRC3_GFX90A:ACCUM_OFFSET: 5
; COMPUTE_PGM_RSRC3_GFX90A:TG_SPLIT: 0
	.section	.text._ZN5aiter23act_and_mul_bias_kernelIfDF16_lfTnPFfRKT2_EXadL_ZNS_11silu_kernelIfEEfRKT_EELi2EEEvPT0_PS8_PKT1_PS2_il,"axG",@progbits,_ZN5aiter23act_and_mul_bias_kernelIfDF16_lfTnPFfRKT2_EXadL_ZNS_11silu_kernelIfEEfRKT_EELi2EEEvPT0_PS8_PKT1_PS2_il,comdat
	.protected	_ZN5aiter23act_and_mul_bias_kernelIfDF16_lfTnPFfRKT2_EXadL_ZNS_11silu_kernelIfEEfRKT_EELi2EEEvPT0_PS8_PKT1_PS2_il ; -- Begin function _ZN5aiter23act_and_mul_bias_kernelIfDF16_lfTnPFfRKT2_EXadL_ZNS_11silu_kernelIfEEfRKT_EELi2EEEvPT0_PS8_PKT1_PS2_il
	.globl	_ZN5aiter23act_and_mul_bias_kernelIfDF16_lfTnPFfRKT2_EXadL_ZNS_11silu_kernelIfEEfRKT_EELi2EEEvPT0_PS8_PKT1_PS2_il
	.p2align	8
	.type	_ZN5aiter23act_and_mul_bias_kernelIfDF16_lfTnPFfRKT2_EXadL_ZNS_11silu_kernelIfEEfRKT_EELi2EEEvPT0_PS8_PKT1_PS2_il,@function
_ZN5aiter23act_and_mul_bias_kernelIfDF16_lfTnPFfRKT2_EXadL_ZNS_11silu_kernelIfEEfRKT_EELi2EEEvPT0_PS8_PKT1_PS2_il: ; @_ZN5aiter23act_and_mul_bias_kernelIfDF16_lfTnPFfRKT2_EXadL_ZNS_11silu_kernelIfEEfRKT_EELi2EEEvPT0_PS8_PKT1_PS2_il
; %bb.0:
	s_load_dwordx2 s[4:5], s[0:1], 0x0
	s_load_dwordx2 s[6:7], s[0:1], 0x10
	s_load_dword s24, s[0:1], 0x20
	s_load_dwordx2 s[12:13], s[0:1], 0x28
	s_mov_b32 s3, 0
	s_lshl_b64 s[8:9], s[2:3], 3
	s_waitcnt lgkmcnt(0)
	s_add_u32 s6, s6, s8
	s_addc_u32 s7, s7, s9
	s_ashr_i32 s25, s24, 31
	s_load_dwordx2 s[8:9], s[6:7], 0x0
	s_mul_hi_u32 s3, s24, s2
	s_mul_i32 s6, s25, s2
	s_add_i32 s7, s3, s6
	s_mul_i32 s6, s24, s2
	s_lshl_b64 s[6:7], s[6:7], 1
	s_add_u32 s4, s4, s6
	s_addc_u32 s3, s5, s7
	s_add_i32 s5, s24, 1
	s_lshr_b32 s6, s5, 31
	v_mov_b64_e32 v[2:3], s[12:13]
	s_add_i32 s5, s5, s6
	s_waitcnt lgkmcnt(0)
	v_cmp_gt_i64_e64 s[14:15], s[8:9], -1
	v_cmp_lt_i64_e32 vcc, s[8:9], v[2:3]
	s_lshl_b32 s5, s5, 1
	s_and_b64 s[12:13], s[14:15], vcc
	s_and_b32 s6, s5, -4
	s_and_b32 s5, s3, 0xffff
	s_mov_b64 s[10:11], -1
	s_and_b64 vcc, exec, s[12:13]
	v_lshlrev_b32_e32 v2, 1, v0
	s_cbranch_vccnz .LBB198_5
; %bb.1:
	v_cmp_gt_i32_e32 vcc, s24, v2
	s_and_saveexec_b64 s[10:11], vcc
	s_cbranch_execz .LBB198_4
; %bb.2:
	s_load_dword s3, s[0:1], 0x3c
	v_mov_b32_e32 v3, 0
	s_mov_b32 s13, 0
	v_lshlrev_b32_e32 v4, 2, v0
	s_mov_b64 s[14:15], 0
	s_waitcnt lgkmcnt(0)
	s_and_b32 s3, s3, 0xffff
	s_lshl_b32 s12, s3, 1
	s_lshl_b32 s3, s3, 2
	s_mov_b32 s7, 0x20000
	v_mov_b64_e32 v[0:1], v[2:3]
.LBB198_3:                              ; =>This Inner Loop Header: Depth=1
	v_lshl_add_u64 v[0:1], s[12:13], 0, v[0:1]
	v_cmp_le_i64_e32 vcc, s[24:25], v[0:1]
	buffer_store_dword v3, v4, s[4:7], 0 offen
	s_or_b64 s[14:15], vcc, s[14:15]
	v_add_u32_e32 v4, s3, v4
	s_andn2_b64 exec, exec, s[14:15]
	s_cbranch_execnz .LBB198_3
.LBB198_4:
	s_or_b64 exec, exec, s[10:11]
	s_mov_b64 s[10:11], 0
.LBB198_5:
	s_andn2_b64 vcc, exec, s[10:11]
	s_cbranch_vccnz .LBB198_9
; %bb.6:
	v_cmp_gt_i32_e32 vcc, s24, v2
	s_and_saveexec_b64 s[10:11], vcc
	s_cbranch_execz .LBB198_9
; %bb.7:
	s_load_dwordx2 s[14:15], s[0:1], 0x8
	s_load_dwordx2 s[12:13], s[0:1], 0x18
	s_mul_i32 s3, s24, s9
	s_mul_hi_u32 s7, s24, s8
	s_add_i32 s3, s7, s3
	s_mul_i32 s7, s25, s8
	s_add_i32 s9, s3, s7
	s_mul_i32 s8, s24, s8
	s_lshl_b32 s10, s24, 2
	s_lshl_b64 s[8:9], s[8:9], 3
	s_waitcnt lgkmcnt(0)
	s_add_u32 s12, s12, s8
	s_addc_u32 s3, s13, s9
	s_lshl_b64 s[18:19], s[24:25], 2
	s_add_u32 s8, s12, s18
	s_addc_u32 s9, s3, s19
	s_and_b32 s13, s3, 0xffff
	s_mul_i32 s3, s2, s25
	s_mul_hi_u32 s16, s2, s24
	s_add_i32 s3, s16, s3
	s_mul_i32 s2, s2, s24
	s_and_b32 s9, s9, 0xffff
	s_lshl_b64 s[2:3], s[2:3], 3
	s_add_u32 s16, s14, s2
	s_addc_u32 s2, s15, s3
	s_add_u32 s20, s16, s18
	s_addc_u32 s3, s2, s19
	s_and_b32 s17, s2, 0xffff
	s_and_b32 s21, s3, 0xffff
	s_mov_b32 s7, 0x20000
	s_add_u32 s2, s0, 48
	s_mov_b32 s11, s7
	v_mov_b32_e32 v3, 0
	s_addc_u32 s3, s1, 0
	s_mov_b64 s[26:27], 0
	s_mov_b32 s18, s10
	s_mov_b32 s19, s7
	;; [unrolled: 1-line block ×6, first 2 shown]
	v_mov_b32_e32 v0, 0x7f800000
	s_mov_b32 s22, s10
	s_mov_b32 s23, s7
	;; [unrolled: 1-line block ×4, first 2 shown]
.LBB198_8:                              ; =>This Inner Loop Header: Depth=1
	v_lshlrev_b32_e32 v1, 2, v2
	buffer_load_dwordx2 v[4:5], v1, s[16:19], 0 offen
	buffer_load_dwordx2 v[6:7], v1, s[20:23], 0 offen
	;; [unrolled: 1-line block ×4, first 2 shown]
	v_lshlrev_b32_e32 v1, 1, v2
	s_waitcnt vmcnt(1)
	v_pk_add_f32 v[4:5], v[4:5], v[8:9]
	s_nop 0
	v_mul_f32_e32 v8, 0xbfb8aa3b, v5
	v_mul_f32_e32 v9, 0xbfb8aa3b, v4
	s_waitcnt vmcnt(0)
	v_pk_add_f32 v[6:7], v[6:7], v[10:11]
	v_fma_f32 v10, v5, s30, -v8
	v_rndne_f32_e32 v11, v8
	v_fma_f32 v12, v4, s30, -v9
	v_rndne_f32_e32 v13, v9
	v_fmac_f32_e32 v10, 0xb2a5705f, v5
	v_sub_f32_e32 v8, v8, v11
	v_fmac_f32_e32 v12, 0xb2a5705f, v4
	v_sub_f32_e32 v9, v9, v13
	v_add_f32_e32 v8, v8, v10
	v_add_f32_e32 v9, v9, v12
	v_cvt_i32_f32_e32 v11, v11
	v_cvt_i32_f32_e32 v13, v13
	v_exp_f32_e32 v8, v8
	v_exp_f32_e32 v9, v9
	v_cmp_nlt_f32_e32 vcc, s31, v4
	v_cmp_nlt_f32_e64 s[0:1], s31, v5
	v_ldexp_f32 v8, v8, v11
	v_ldexp_f32 v9, v9, v13
	v_cndmask_b32_e64 v8, 0, v8, s[0:1]
	v_cndmask_b32_e32 v9, 0, v9, vcc
	v_cmp_ngt_f32_e32 vcc, s33, v4
	v_cmp_ngt_f32_e64 s[0:1], s33, v5
	s_nop 0
	v_cndmask_b32_e32 v9, v0, v9, vcc
	v_cndmask_b32_e64 v8, v0, v8, s[0:1]
	v_add_f32_e32 v8, 1.0, v8
	v_add_f32_e32 v10, 1.0, v9
	v_rcp_f32_e32 v9, v8
	v_rcp_f32_e32 v8, v10
	s_nop 0
	v_pk_mul_f32 v[4:5], v[4:5], v[8:9]
	s_nop 0
	;;#ASMSTART
	v_pk_mul_f32 v[4:5], v[4:5], v[6:7]
	;;#ASMEND
	s_load_dword s0, s[2:3], 0xc
	v_cvt_f16_f32_e32 v4, v4
	v_cvt_f16_f32_e32 v5, v5
	s_waitcnt lgkmcnt(0)
	s_and_b32 s0, s0, 0xffff
	s_lshl_b32 s28, s0, 1
	v_lshl_add_u64 v[2:3], s[28:29], 0, v[2:3]
	v_cmp_le_i64_e32 vcc, s[24:25], v[2:3]
	v_pack_b32_f16 v4, v4, v5
	s_or_b64 s[26:27], vcc, s[26:27]
	buffer_store_dword v4, v1, s[4:7], 0 offen
	s_andn2_b64 exec, exec, s[26:27]
	s_cbranch_execnz .LBB198_8
.LBB198_9:
	s_endpgm
	.section	.rodata,"a",@progbits
	.p2align	6, 0x0
	.amdhsa_kernel _ZN5aiter23act_and_mul_bias_kernelIfDF16_lfTnPFfRKT2_EXadL_ZNS_11silu_kernelIfEEfRKT_EELi2EEEvPT0_PS8_PKT1_PS2_il
		.amdhsa_group_segment_fixed_size 0
		.amdhsa_private_segment_fixed_size 0
		.amdhsa_kernarg_size 304
		.amdhsa_user_sgpr_count 2
		.amdhsa_user_sgpr_dispatch_ptr 0
		.amdhsa_user_sgpr_queue_ptr 0
		.amdhsa_user_sgpr_kernarg_segment_ptr 1
		.amdhsa_user_sgpr_dispatch_id 0
		.amdhsa_user_sgpr_kernarg_preload_length 0
		.amdhsa_user_sgpr_kernarg_preload_offset 0
		.amdhsa_user_sgpr_private_segment_size 0
		.amdhsa_uses_dynamic_stack 0
		.amdhsa_enable_private_segment 0
		.amdhsa_system_sgpr_workgroup_id_x 1
		.amdhsa_system_sgpr_workgroup_id_y 0
		.amdhsa_system_sgpr_workgroup_id_z 0
		.amdhsa_system_sgpr_workgroup_info 0
		.amdhsa_system_vgpr_workitem_id 0
		.amdhsa_next_free_vgpr 14
		.amdhsa_next_free_sgpr 34
		.amdhsa_accum_offset 16
		.amdhsa_reserve_vcc 1
		.amdhsa_float_round_mode_32 0
		.amdhsa_float_round_mode_16_64 0
		.amdhsa_float_denorm_mode_32 3
		.amdhsa_float_denorm_mode_16_64 3
		.amdhsa_dx10_clamp 1
		.amdhsa_ieee_mode 1
		.amdhsa_fp16_overflow 0
		.amdhsa_tg_split 0
		.amdhsa_exception_fp_ieee_invalid_op 0
		.amdhsa_exception_fp_denorm_src 0
		.amdhsa_exception_fp_ieee_div_zero 0
		.amdhsa_exception_fp_ieee_overflow 0
		.amdhsa_exception_fp_ieee_underflow 0
		.amdhsa_exception_fp_ieee_inexact 0
		.amdhsa_exception_int_div_zero 0
	.end_amdhsa_kernel
	.section	.text._ZN5aiter23act_and_mul_bias_kernelIfDF16_lfTnPFfRKT2_EXadL_ZNS_11silu_kernelIfEEfRKT_EELi2EEEvPT0_PS8_PKT1_PS2_il,"axG",@progbits,_ZN5aiter23act_and_mul_bias_kernelIfDF16_lfTnPFfRKT2_EXadL_ZNS_11silu_kernelIfEEfRKT_EELi2EEEvPT0_PS8_PKT1_PS2_il,comdat
.Lfunc_end198:
	.size	_ZN5aiter23act_and_mul_bias_kernelIfDF16_lfTnPFfRKT2_EXadL_ZNS_11silu_kernelIfEEfRKT_EELi2EEEvPT0_PS8_PKT1_PS2_il, .Lfunc_end198-_ZN5aiter23act_and_mul_bias_kernelIfDF16_lfTnPFfRKT2_EXadL_ZNS_11silu_kernelIfEEfRKT_EELi2EEEvPT0_PS8_PKT1_PS2_il
                                        ; -- End function
	.section	.AMDGPU.csdata,"",@progbits
; Kernel info:
; codeLenInByte = 860
; NumSgprs: 40
; NumVgprs: 14
; NumAgprs: 0
; TotalNumVgprs: 14
; ScratchSize: 0
; MemoryBound: 0
; FloatMode: 240
; IeeeMode: 1
; LDSByteSize: 0 bytes/workgroup (compile time only)
; SGPRBlocks: 4
; VGPRBlocks: 1
; NumSGPRsForWavesPerEU: 40
; NumVGPRsForWavesPerEU: 14
; AccumOffset: 16
; Occupancy: 8
; WaveLimiterHint : 0
; COMPUTE_PGM_RSRC2:SCRATCH_EN: 0
; COMPUTE_PGM_RSRC2:USER_SGPR: 2
; COMPUTE_PGM_RSRC2:TRAP_HANDLER: 0
; COMPUTE_PGM_RSRC2:TGID_X_EN: 1
; COMPUTE_PGM_RSRC2:TGID_Y_EN: 0
; COMPUTE_PGM_RSRC2:TGID_Z_EN: 0
; COMPUTE_PGM_RSRC2:TIDIG_COMP_CNT: 0
; COMPUTE_PGM_RSRC3_GFX90A:ACCUM_OFFSET: 3
; COMPUTE_PGM_RSRC3_GFX90A:TG_SPLIT: 0
	.section	.text._ZN5aiter23act_and_mul_bias_kernelIfDF16_lfTnPFfRKT2_EXadL_ZNS_11silu_kernelIfEEfRKT_EELi1EEEvPT0_PS8_PKT1_PS2_il,"axG",@progbits,_ZN5aiter23act_and_mul_bias_kernelIfDF16_lfTnPFfRKT2_EXadL_ZNS_11silu_kernelIfEEfRKT_EELi1EEEvPT0_PS8_PKT1_PS2_il,comdat
	.protected	_ZN5aiter23act_and_mul_bias_kernelIfDF16_lfTnPFfRKT2_EXadL_ZNS_11silu_kernelIfEEfRKT_EELi1EEEvPT0_PS8_PKT1_PS2_il ; -- Begin function _ZN5aiter23act_and_mul_bias_kernelIfDF16_lfTnPFfRKT2_EXadL_ZNS_11silu_kernelIfEEfRKT_EELi1EEEvPT0_PS8_PKT1_PS2_il
	.globl	_ZN5aiter23act_and_mul_bias_kernelIfDF16_lfTnPFfRKT2_EXadL_ZNS_11silu_kernelIfEEfRKT_EELi1EEEvPT0_PS8_PKT1_PS2_il
	.p2align	8
	.type	_ZN5aiter23act_and_mul_bias_kernelIfDF16_lfTnPFfRKT2_EXadL_ZNS_11silu_kernelIfEEfRKT_EELi1EEEvPT0_PS8_PKT1_PS2_il,@function
_ZN5aiter23act_and_mul_bias_kernelIfDF16_lfTnPFfRKT2_EXadL_ZNS_11silu_kernelIfEEfRKT_EELi1EEEvPT0_PS8_PKT1_PS2_il: ; @_ZN5aiter23act_and_mul_bias_kernelIfDF16_lfTnPFfRKT2_EXadL_ZNS_11silu_kernelIfEEfRKT_EELi1EEEvPT0_PS8_PKT1_PS2_il
; %bb.0:
	s_load_dwordx2 s[4:5], s[0:1], 0x0
	s_load_dwordx2 s[6:7], s[0:1], 0x10
	s_load_dword s20, s[0:1], 0x20
	s_load_dwordx2 s[14:15], s[0:1], 0x28
	s_mov_b32 s3, 0
	s_lshl_b64 s[8:9], s[2:3], 3
	s_waitcnt lgkmcnt(0)
	s_add_u32 s6, s6, s8
	s_addc_u32 s7, s7, s9
	s_ashr_i32 s21, s20, 31
	s_load_dwordx2 s[12:13], s[6:7], 0x0
	s_mul_hi_u32 s3, s20, s2
	s_mul_i32 s6, s21, s2
	s_add_i32 s7, s3, s6
	s_mul_i32 s6, s20, s2
	s_lshl_b64 s[6:7], s[6:7], 1
	s_add_u32 s8, s4, s6
	s_addc_u32 s3, s5, s7
	s_add_i32 s4, s20, 1
	s_lshr_b32 s5, s4, 31
	s_add_i32 s4, s4, s5
	s_lshl_b32 s4, s4, 1
	v_mov_b64_e32 v[2:3], s[14:15]
	s_and_b32 s10, s4, -4
	s_waitcnt lgkmcnt(0)
	v_cmp_gt_i64_e64 s[4:5], s[12:13], -1
	v_cmp_lt_i64_e32 vcc, s[12:13], v[2:3]
	s_and_b64 s[4:5], s[4:5], vcc
	s_and_b32 s9, s3, 0xffff
	s_mov_b64 s[6:7], -1
	s_and_b64 vcc, exec, s[4:5]
	v_cmp_gt_i32_e64 s[4:5], s20, v0
	s_cbranch_vccnz .LBB199_5
; %bb.1:
	s_and_saveexec_b64 s[6:7], s[4:5]
	s_cbranch_execz .LBB199_4
; %bb.2:
	s_load_dword s3, s[0:1], 0x3c
	v_mov_b32_e32 v1, 0
	s_mov_b32 s5, 0
	v_lshlrev_b32_e32 v4, 1, v0
	s_mov_b64 s[14:15], 0
	s_waitcnt lgkmcnt(0)
	s_and_b32 s4, s3, 0xffff
	s_lshl_b32 s3, s4, 1
	s_mov_b32 s11, 0x20000
	v_mov_b64_e32 v[2:3], v[0:1]
.LBB199_3:                              ; =>This Inner Loop Header: Depth=1
	v_lshl_add_u64 v[2:3], v[2:3], 0, s[4:5]
	v_cmp_le_i64_e32 vcc, s[20:21], v[2:3]
	buffer_store_short v1, v4, s[8:11], 0 offen
	s_or_b64 s[14:15], vcc, s[14:15]
	v_add_u32_e32 v4, s3, v4
	s_andn2_b64 exec, exec, s[14:15]
	s_cbranch_execnz .LBB199_3
.LBB199_4:
	s_or_b64 exec, exec, s[6:7]
	s_mov_b64 s[6:7], 0
.LBB199_5:
	s_andn2_b64 vcc, exec, s[6:7]
	s_cbranch_vccnz .LBB199_9
; %bb.6:
	v_cmp_gt_i32_e32 vcc, s20, v0
	s_and_saveexec_b64 s[4:5], vcc
	s_cbranch_execz .LBB199_9
; %bb.7:
	s_mul_i32 s3, s20, s13
	s_mul_hi_u32 s4, s20, s12
	s_add_i32 s3, s4, s3
	s_load_dwordx2 s[14:15], s[0:1], 0x8
	s_load_dwordx2 s[4:5], s[0:1], 0x18
	s_mul_i32 s7, s21, s12
	s_add_i32 s13, s3, s7
	s_mul_i32 s12, s20, s12
	s_lshl_b32 s6, s20, 2
	s_lshl_b64 s[12:13], s[12:13], 3
	s_load_dword s18, s[0:1], 0x3c
	s_waitcnt lgkmcnt(0)
	s_add_u32 s0, s4, s12
	s_addc_u32 s1, s5, s13
	s_lshl_b64 s[16:17], s[20:21], 2
	s_add_u32 s4, s0, s16
	s_addc_u32 s3, s1, s17
	s_and_b32 s5, s3, 0xffff
	s_mul_i32 s3, s2, s21
	s_mul_hi_u32 s12, s2, s20
	s_add_i32 s3, s12, s3
	s_mul_i32 s2, s2, s20
	s_and_b32 s1, s1, 0xffff
	s_lshl_b64 s[2:3], s[2:3], 3
	s_add_u32 s12, s14, s2
	s_addc_u32 s2, s15, s3
	s_add_u32 s16, s12, s16
	s_mov_b32 s11, 0x20000
	s_addc_u32 s3, s2, s17
	s_and_b32 s22, s18, 0xffff
	s_mov_b32 s7, s11
	s_and_b32 s13, s2, 0xffff
	s_and_b32 s17, s3, 0xffff
	s_mov_b32 s23, 0
	v_mov_b32_e32 v1, 0
	v_lshlrev_b32_e32 v2, 1, v0
	s_lshl_b32 s26, s22, 1
	v_lshlrev_b32_e32 v3, 2, v0
	s_lshl_b32 s27, s22, 2
	s_mov_b64 s[24:25], 0
	s_mov_b32 s14, s6
	s_mov_b32 s15, s11
	;; [unrolled: 1-line block ×5, first 2 shown]
	v_mov_b32_e32 v4, 0x7f800000
	s_mov_b32 s18, s6
	s_mov_b32 s19, s11
	;; [unrolled: 1-line block ×4, first 2 shown]
.LBB199_8:                              ; =>This Inner Loop Header: Depth=1
	buffer_load_dword v7, v3, s[12:15], 0 offen
	buffer_load_dword v6, v3, s[16:19], 0 offen
	;; [unrolled: 1-line block ×4, first 2 shown]
	v_lshl_add_u64 v[0:1], v[0:1], 0, s[22:23]
	v_add_u32_e32 v3, s27, v3
	s_waitcnt vmcnt(0)
	v_pk_add_f32 v[6:7], v[6:7], v[8:9]
	s_nop 0
	v_mul_f32_e32 v5, 0xbfb8aa3b, v7
	v_fma_f32 v8, v7, s28, -v5
	v_rndne_f32_e32 v9, v5
	v_fmac_f32_e32 v8, 0xb2a5705f, v7
	v_sub_f32_e32 v5, v5, v9
	v_add_f32_e32 v5, v5, v8
	v_cvt_i32_f32_e32 v9, v9
	v_exp_f32_e32 v5, v5
	v_cmp_nlt_f32_e32 vcc, s29, v7
	v_ldexp_f32 v5, v5, v9
	s_nop 0
	v_cndmask_b32_e32 v5, 0, v5, vcc
	v_cmp_ngt_f32_e32 vcc, s30, v7
	s_nop 1
	v_cndmask_b32_e32 v5, v4, v5, vcc
	v_add_f32_e32 v5, 1.0, v5
	v_rcp_f32_e32 v5, v5
	v_cmp_le_i64_e32 vcc, s[20:21], v[0:1]
	s_or_b64 s[24:25], vcc, s[24:25]
	v_mul_f32_e32 v5, v7, v5
	v_fma_mixlo_f16 v5, v6, v5, 0
	buffer_store_short v5, v2, s[8:11], 0 offen
	v_add_u32_e32 v2, s26, v2
	s_andn2_b64 exec, exec, s[24:25]
	s_cbranch_execnz .LBB199_8
.LBB199_9:
	s_endpgm
	.section	.rodata,"a",@progbits
	.p2align	6, 0x0
	.amdhsa_kernel _ZN5aiter23act_and_mul_bias_kernelIfDF16_lfTnPFfRKT2_EXadL_ZNS_11silu_kernelIfEEfRKT_EELi1EEEvPT0_PS8_PKT1_PS2_il
		.amdhsa_group_segment_fixed_size 0
		.amdhsa_private_segment_fixed_size 0
		.amdhsa_kernarg_size 304
		.amdhsa_user_sgpr_count 2
		.amdhsa_user_sgpr_dispatch_ptr 0
		.amdhsa_user_sgpr_queue_ptr 0
		.amdhsa_user_sgpr_kernarg_segment_ptr 1
		.amdhsa_user_sgpr_dispatch_id 0
		.amdhsa_user_sgpr_kernarg_preload_length 0
		.amdhsa_user_sgpr_kernarg_preload_offset 0
		.amdhsa_user_sgpr_private_segment_size 0
		.amdhsa_uses_dynamic_stack 0
		.amdhsa_enable_private_segment 0
		.amdhsa_system_sgpr_workgroup_id_x 1
		.amdhsa_system_sgpr_workgroup_id_y 0
		.amdhsa_system_sgpr_workgroup_id_z 0
		.amdhsa_system_sgpr_workgroup_info 0
		.amdhsa_system_vgpr_workitem_id 0
		.amdhsa_next_free_vgpr 10
		.amdhsa_next_free_sgpr 31
		.amdhsa_accum_offset 12
		.amdhsa_reserve_vcc 1
		.amdhsa_float_round_mode_32 0
		.amdhsa_float_round_mode_16_64 0
		.amdhsa_float_denorm_mode_32 3
		.amdhsa_float_denorm_mode_16_64 3
		.amdhsa_dx10_clamp 1
		.amdhsa_ieee_mode 1
		.amdhsa_fp16_overflow 0
		.amdhsa_tg_split 0
		.amdhsa_exception_fp_ieee_invalid_op 0
		.amdhsa_exception_fp_denorm_src 0
		.amdhsa_exception_fp_ieee_div_zero 0
		.amdhsa_exception_fp_ieee_overflow 0
		.amdhsa_exception_fp_ieee_underflow 0
		.amdhsa_exception_fp_ieee_inexact 0
		.amdhsa_exception_int_div_zero 0
	.end_amdhsa_kernel
	.section	.text._ZN5aiter23act_and_mul_bias_kernelIfDF16_lfTnPFfRKT2_EXadL_ZNS_11silu_kernelIfEEfRKT_EELi1EEEvPT0_PS8_PKT1_PS2_il,"axG",@progbits,_ZN5aiter23act_and_mul_bias_kernelIfDF16_lfTnPFfRKT2_EXadL_ZNS_11silu_kernelIfEEfRKT_EELi1EEEvPT0_PS8_PKT1_PS2_il,comdat
.Lfunc_end199:
	.size	_ZN5aiter23act_and_mul_bias_kernelIfDF16_lfTnPFfRKT2_EXadL_ZNS_11silu_kernelIfEEfRKT_EELi1EEEvPT0_PS8_PKT1_PS2_il, .Lfunc_end199-_ZN5aiter23act_and_mul_bias_kernelIfDF16_lfTnPFfRKT2_EXadL_ZNS_11silu_kernelIfEEfRKT_EELi1EEEvPT0_PS8_PKT1_PS2_il
                                        ; -- End function
	.section	.AMDGPU.csdata,"",@progbits
; Kernel info:
; codeLenInByte = 728
; NumSgprs: 37
; NumVgprs: 10
; NumAgprs: 0
; TotalNumVgprs: 10
; ScratchSize: 0
; MemoryBound: 0
; FloatMode: 240
; IeeeMode: 1
; LDSByteSize: 0 bytes/workgroup (compile time only)
; SGPRBlocks: 4
; VGPRBlocks: 1
; NumSGPRsForWavesPerEU: 37
; NumVGPRsForWavesPerEU: 10
; AccumOffset: 12
; Occupancy: 8
; WaveLimiterHint : 0
; COMPUTE_PGM_RSRC2:SCRATCH_EN: 0
; COMPUTE_PGM_RSRC2:USER_SGPR: 2
; COMPUTE_PGM_RSRC2:TRAP_HANDLER: 0
; COMPUTE_PGM_RSRC2:TGID_X_EN: 1
; COMPUTE_PGM_RSRC2:TGID_Y_EN: 0
; COMPUTE_PGM_RSRC2:TGID_Z_EN: 0
; COMPUTE_PGM_RSRC2:TIDIG_COMP_CNT: 0
; COMPUTE_PGM_RSRC3_GFX90A:ACCUM_OFFSET: 2
; COMPUTE_PGM_RSRC3_GFX90A:TG_SPLIT: 0
	.section	.text._ZN5aiter23act_and_mul_bias_kernelIfflfTnPFfRKT2_EXadL_ZNS_11silu_kernelIfEEfRKT_EELi16EEEvPT0_PS8_PKT1_PS2_il,"axG",@progbits,_ZN5aiter23act_and_mul_bias_kernelIfflfTnPFfRKT2_EXadL_ZNS_11silu_kernelIfEEfRKT_EELi16EEEvPT0_PS8_PKT1_PS2_il,comdat
	.protected	_ZN5aiter23act_and_mul_bias_kernelIfflfTnPFfRKT2_EXadL_ZNS_11silu_kernelIfEEfRKT_EELi16EEEvPT0_PS8_PKT1_PS2_il ; -- Begin function _ZN5aiter23act_and_mul_bias_kernelIfflfTnPFfRKT2_EXadL_ZNS_11silu_kernelIfEEfRKT_EELi16EEEvPT0_PS8_PKT1_PS2_il
	.globl	_ZN5aiter23act_and_mul_bias_kernelIfflfTnPFfRKT2_EXadL_ZNS_11silu_kernelIfEEfRKT_EELi16EEEvPT0_PS8_PKT1_PS2_il
	.p2align	8
	.type	_ZN5aiter23act_and_mul_bias_kernelIfflfTnPFfRKT2_EXadL_ZNS_11silu_kernelIfEEfRKT_EELi16EEEvPT0_PS8_PKT1_PS2_il,@function
_ZN5aiter23act_and_mul_bias_kernelIfflfTnPFfRKT2_EXadL_ZNS_11silu_kernelIfEEfRKT_EELi16EEEvPT0_PS8_PKT1_PS2_il: ; @_ZN5aiter23act_and_mul_bias_kernelIfflfTnPFfRKT2_EXadL_ZNS_11silu_kernelIfEEfRKT_EELi16EEEvPT0_PS8_PKT1_PS2_il
; %bb.0:
	s_load_dword s30, s[0:1], 0x20
	s_load_dwordx2 s[6:7], s[0:1], 0x0
	s_load_dwordx2 s[4:5], s[0:1], 0x10
	;; [unrolled: 1-line block ×3, first 2 shown]
	s_mov_b32 s3, 0
	s_waitcnt lgkmcnt(0)
	s_ashr_i32 s31, s30, 31
	s_lshl_b64 s[10:11], s[2:3], 3
	s_add_u32 s4, s4, s10
	s_addc_u32 s5, s5, s11
	s_load_dwordx2 s[4:5], s[4:5], 0x0
	s_mul_hi_u32 s3, s30, s2
	s_mul_i32 s10, s31, s2
	s_add_i32 s11, s3, s10
	s_mul_i32 s10, s30, s2
	s_lshl_b32 s38, s30, 2
	s_lshl_b64 s[10:11], s[10:11], 2
	s_add_u32 s36, s6, s10
	v_mov_b64_e32 v[2:3], s[8:9]
	s_addc_u32 s3, s7, s11
	s_waitcnt lgkmcnt(0)
	v_cmp_gt_i64_e64 s[10:11], s[4:5], -1
	v_cmp_lt_i64_e32 vcc, s[4:5], v[2:3]
	s_and_b64 s[8:9], s[10:11], vcc
	s_and_b32 s37, s3, 0xffff
	s_mov_b64 s[6:7], -1
	s_and_b64 vcc, exec, s[8:9]
	v_lshlrev_b32_e32 v56, 4, v0
	s_cbranch_vccnz .LBB200_5
; %bb.1:
	v_cmp_gt_i32_e32 vcc, s30, v56
	s_and_saveexec_b64 s[6:7], vcc
	s_cbranch_execz .LBB200_4
; %bb.2:
	s_load_dword s3, s[0:1], 0x3c
	s_mov_b32 s9, 0
	s_mov_b32 s12, s9
	;; [unrolled: 1-line block ×3, first 2 shown]
	v_mov_b32_e32 v57, 0
	v_lshlrev_b32_e32 v6, 6, v0
	s_waitcnt lgkmcnt(0)
	s_and_b32 s3, s3, 0xffff
	s_mov_b32 s14, s9
	s_mov_b32 s15, s9
	v_mov_b64_e32 v[0:1], s[12:13]
	s_lshl_b32 s8, s3, 4
	s_lshl_b32 s3, s3, 6
	s_mov_b64 s[10:11], 0
	s_mov_b32 s39, 0x20000
	v_mov_b64_e32 v[2:3], s[14:15]
	v_mov_b64_e32 v[4:5], v[56:57]
.LBB200_3:                              ; =>This Inner Loop Header: Depth=1
	v_lshl_add_u64 v[4:5], s[8:9], 0, v[4:5]
	v_cmp_le_i64_e32 vcc, s[30:31], v[4:5]
	buffer_store_dwordx4 v[0:3], v6, s[36:39], 0 offen
	buffer_store_dwordx4 v[0:3], v6, s[36:39], 16 offen
	buffer_store_dwordx4 v[0:3], v6, s[36:39], 32 offen
	buffer_store_dwordx4 v[0:3], v6, s[36:39], 48 offen
	s_or_b64 s[10:11], vcc, s[10:11]
	v_add_u32_e32 v6, s3, v6
	s_andn2_b64 exec, exec, s[10:11]
	s_cbranch_execnz .LBB200_3
.LBB200_4:
	s_or_b64 exec, exec, s[6:7]
	s_mov_b64 s[6:7], 0
.LBB200_5:
	s_andn2_b64 vcc, exec, s[6:7]
	s_cbranch_vccnz .LBB200_9
; %bb.6:
	v_cmp_gt_i32_e32 vcc, s30, v56
	s_and_saveexec_b64 s[6:7], vcc
	s_cbranch_execz .LBB200_9
; %bb.7:
	s_load_dwordx2 s[6:7], s[0:1], 0x8
	s_load_dwordx2 s[8:9], s[0:1], 0x18
	s_mul_i32 s3, s30, s5
	s_mul_hi_u32 s5, s30, s4
	s_add_i32 s3, s5, s3
	s_mul_i32 s5, s31, s4
	s_add_i32 s5, s3, s5
	s_mul_i32 s4, s30, s4
	s_lshl_b64 s[4:5], s[4:5], 3
	s_waitcnt lgkmcnt(0)
	s_add_u32 s40, s8, s4
	s_addc_u32 s3, s9, s5
	s_lshl_b64 s[4:5], s[30:31], 2
	s_add_u32 s44, s40, s4
	s_addc_u32 s8, s3, s5
	s_and_b32 s41, s3, 0xffff
	s_and_b32 s45, s8, 0xffff
	s_mul_i32 s3, s2, s31
	s_mul_hi_u32 s8, s2, s30
	s_add_i32 s3, s8, s3
	s_mul_i32 s2, s2, s30
	s_lshl_b64 s[2:3], s[2:3], 3
	s_add_u32 s48, s6, s2
	s_addc_u32 s2, s7, s3
	s_add_u32 s52, s48, s4
	s_addc_u32 s3, s2, s5
	s_and_b32 s49, s2, 0xffff
	s_and_b32 s53, s3, 0xffff
	s_mov_b32 s39, 0x20000
	s_add_u32 s34, s0, 48
	v_mov_b32_e32 v57, 0
	s_addc_u32 s35, s1, 0
	s_mov_b64 s[56:57], 0
	s_mov_b32 s47, s39
	s_mov_b32 s46, s38
	;; [unrolled: 1-line block ×8, first 2 shown]
	v_mov_b32_e32 v58, 0x7f800000
	s_mov_b32 s54, s38
	s_mov_b32 s55, s39
	;; [unrolled: 1-line block ×4, first 2 shown]
.LBB200_8:                              ; =>This Inner Loop Header: Depth=1
	v_lshlrev_b32_e32 v59, 2, v56
	buffer_load_dwordx4 v[48:51], v59, s[44:47], 0 offen
	buffer_load_dwordx4 v[52:55], v59, s[52:55], 0 offen
	;; [unrolled: 1-line block ×15, first 2 shown]
	s_waitcnt vmcnt(13)
	v_pk_add_f32 v[50:51], v[54:55], v[50:51]
	v_pk_add_f32 v[48:49], v[52:53], v[48:49]
	buffer_load_dwordx4 v[52:55], v59, s[40:43], 48 offen
	s_waitcnt vmcnt(11)
	v_pk_add_f32 v[10:11], v[10:11], v[22:23]
	s_waitcnt vmcnt(10)
	v_pk_add_f32 v[26:27], v[26:27], v[14:15]
	v_pk_add_f32 v[24:25], v[24:25], v[12:13]
	s_waitcnt vmcnt(8)
	v_pk_add_f32 v[18:19], v[18:19], v[30:31]
	v_pk_add_f32 v[16:17], v[16:17], v[28:29]
	;; [unrolled: 1-line block ×3, first 2 shown]
	v_mul_f32_e32 v28, 0xbfb8aa3b, v24
	v_mul_f32_e32 v29, 0xbfb8aa3b, v25
	;; [unrolled: 1-line block ×3, first 2 shown]
	s_waitcnt vmcnt(2)
	v_pk_add_f32 v[20:21], v[34:35], v[62:63]
	v_pk_add_f32 v[22:23], v[32:33], v[60:61]
	v_mul_f32_e32 v31, 0xbfb8aa3b, v27
	v_mul_f32_e32 v32, 0xbfb8aa3b, v16
	;; [unrolled: 1-line block ×5, first 2 shown]
	s_waitcnt vmcnt(1)
	v_pk_add_f32 v[6:7], v[6:7], v[46:47]
	v_pk_add_f32 v[4:5], v[4:5], v[44:45]
	v_fma_f32 v44, v24, s33, -v28
	v_rndne_f32_e32 v45, v28
	v_fma_f32 v46, v25, s33, -v29
	v_rndne_f32_e32 v47, v29
	v_fma_f32 v60, v16, s33, -v32
	v_rndne_f32_e32 v61, v32
	v_fma_f32 v62, v17, s33, -v33
	v_rndne_f32_e32 v63, v33
	v_fma_f32 v64, v18, s33, -v34
	v_rndne_f32_e32 v65, v34
	v_fma_f32 v66, v19, s33, -v35
	v_rndne_f32_e32 v67, v35
	v_pk_add_f32 v[12:13], v[42:43], v[38:39]
	v_pk_add_f32 v[14:15], v[40:41], v[36:37]
	v_mul_f32_e32 v36, 0xbfb8aa3b, v22
	v_mul_f32_e32 v37, 0xbfb8aa3b, v23
	;; [unrolled: 1-line block ×4, first 2 shown]
	v_fmac_f32_e32 v44, 0xb2a5705f, v24
	v_sub_f32_e32 v28, v28, v45
	v_fmac_f32_e32 v46, 0xb2a5705f, v25
	v_sub_f32_e32 v29, v29, v47
	;; [unrolled: 2-line block ×6, first 2 shown]
	v_add_f32_e32 v28, v28, v44
	v_fma_f32 v44, v22, s33, -v36
	v_add_f32_e32 v29, v29, v46
	v_rndne_f32_e32 v46, v36
	v_add_f32_e32 v32, v32, v60
	v_fma_f32 v60, v20, s33, -v38
	v_add_f32_e32 v33, v33, v62
	v_rndne_f32_e32 v62, v38
	v_add_f32_e32 v34, v34, v64
	v_fma_f32 v64, v21, s33, -v39
	v_add_f32_e32 v35, v35, v66
	v_rndne_f32_e32 v66, v39
	v_fmac_f32_e32 v44, 0xb2a5705f, v22
	v_sub_f32_e32 v36, v36, v46
	v_fmac_f32_e32 v60, 0xb2a5705f, v20
	v_sub_f32_e32 v38, v38, v62
	;; [unrolled: 2-line block ×3, first 2 shown]
	v_add_f32_e32 v36, v36, v44
	v_add_f32_e32 v38, v38, v60
	;; [unrolled: 1-line block ×3, first 2 shown]
	v_exp_f32_e32 v32, v32
	v_exp_f32_e32 v33, v33
	v_cvt_i32_f32_e32 v46, v46
	v_cvt_i32_f32_e32 v62, v62
	;; [unrolled: 1-line block ×3, first 2 shown]
	v_exp_f32_e32 v28, v28
	v_exp_f32_e32 v29, v29
	;; [unrolled: 1-line block ×5, first 2 shown]
	s_waitcnt vmcnt(0)
	v_pk_add_f32 v[2:3], v[2:3], v[54:55]
	v_pk_add_f32 v[0:1], v[0:1], v[52:53]
	v_fma_f32 v52, v26, s33, -v30
	v_rndne_f32_e32 v53, v30
	v_fma_f32 v54, v27, s33, -v31
	v_rndne_f32_e32 v55, v31
	v_fmac_f32_e32 v52, 0xb2a5705f, v26
	v_sub_f32_e32 v30, v30, v53
	v_fmac_f32_e32 v54, 0xb2a5705f, v27
	v_sub_f32_e32 v31, v31, v55
	v_add_f32_e32 v30, v30, v52
	v_fma_f32 v52, v23, s33, -v37
	v_add_f32_e32 v31, v31, v54
	v_rndne_f32_e32 v54, v37
	v_mul_f32_e32 v40, 0xbfb8aa3b, v0
	v_mul_f32_e32 v41, 0xbfb8aa3b, v1
	v_fmac_f32_e32 v52, 0xb2a5705f, v23
	v_sub_f32_e32 v37, v37, v54
	v_fma_f32 v44, v0, s33, -v40
	v_add_f32_e32 v37, v37, v52
	v_rndne_f32_e32 v52, v40
	v_fma_f32 v60, v1, s33, -v41
	v_rndne_f32_e32 v64, v41
	v_mul_f32_e32 v42, 0xbfb8aa3b, v2
	v_fmac_f32_e32 v44, 0xb2a5705f, v0
	v_sub_f32_e32 v40, v40, v52
	v_fmac_f32_e32 v60, 0xb2a5705f, v1
	v_sub_f32_e32 v41, v41, v64
	v_add_f32_e32 v40, v40, v44
	v_fma_f32 v44, v2, s33, -v42
	v_add_f32_e32 v41, v41, v60
	v_rndne_f32_e32 v60, v42
	v_mul_f32_e32 v43, 0xbfb8aa3b, v3
	v_fmac_f32_e32 v44, 0xb2a5705f, v2
	v_sub_f32_e32 v42, v42, v60
	v_add_f32_e32 v42, v42, v44
	v_fma_f32 v44, v3, s33, -v43
	v_rndne_f32_e32 v68, v43
	v_fmac_f32_e32 v44, 0xb2a5705f, v3
	v_sub_f32_e32 v43, v43, v68
	v_add_f32_e32 v43, v43, v44
	v_cvt_i32_f32_e32 v44, v45
	v_cvt_i32_f32_e32 v45, v47
	;; [unrolled: 1-line block ×13, first 2 shown]
	v_exp_f32_e32 v30, v30
	v_exp_f32_e32 v31, v31
	;; [unrolled: 1-line block ×9, first 2 shown]
	v_ldexp_f32 v32, v32, v55
	v_ldexp_f32 v33, v33, v61
	v_cmp_nlt_f32_e64 s[2:3], s60, v16
	v_cmp_nlt_f32_e64 s[4:5], s60, v17
	v_ldexp_f32 v28, v28, v44
	v_ldexp_f32 v29, v29, v45
	;; [unrolled: 1-line block ×13, first 2 shown]
	v_cmp_nlt_f32_e32 vcc, s60, v26
	v_cmp_nlt_f32_e64 s[0:1], s60, v27
	v_cmp_nlt_f32_e64 s[6:7], s60, v18
	;; [unrolled: 1-line block ×10, first 2 shown]
	v_ldexp_f32 v43, v43, v67
	v_cmp_nlt_f32_e64 s[24:25], s60, v3
	v_cmp_nlt_f32_e64 s[26:27], s60, v24
	;; [unrolled: 1-line block ×3, first 2 shown]
	v_cndmask_b32_e64 v32, 0, v32, s[2:3]
	v_cmp_ngt_f32_e64 s[2:3], s61, v16
	v_cndmask_b32_e64 v33, 0, v33, s[4:5]
	v_cmp_ngt_f32_e64 s[4:5], s61, v17
	;; [unrolled: 2-line block ×3, first 2 shown]
	v_cndmask_b32_e32 v30, 0, v30, vcc
	v_cmp_ngt_f32_e32 vcc, s61, v26
	v_cndmask_b32_e64 v31, 0, v31, s[0:1]
	v_cmp_ngt_f32_e64 s[0:1], s61, v27
	v_cndmask_b32_e64 v28, 0, v28, s[26:27]
	v_cndmask_b32_e64 v34, 0, v34, s[6:7]
	v_cmp_ngt_f32_e64 s[6:7], s61, v18
	v_cndmask_b32_e64 v35, 0, v35, s[8:9]
	v_cmp_ngt_f32_e64 s[8:9], s61, v19
	;; [unrolled: 2-line block ×10, first 2 shown]
	v_cmp_ngt_f32_e64 s[26:27], s61, v24
	v_cndmask_b32_e64 v32, v58, v32, s[2:3]
	v_cndmask_b32_e64 v33, v58, v33, s[4:5]
	;; [unrolled: 1-line block ×4, first 2 shown]
	v_cndmask_b32_e32 v30, v58, v30, vcc
	v_cndmask_b32_e64 v31, v58, v31, s[0:1]
	v_cndmask_b32_e64 v34, v58, v34, s[6:7]
	;; [unrolled: 1-line block ×11, first 2 shown]
	v_add_f32_e32 v32, 1.0, v32
	v_add_f32_e32 v33, 1.0, v33
	v_add_f32_e32 v28, 1.0, v28
	v_add_f32_e32 v29, 1.0, v29
	v_add_f32_e32 v30, 1.0, v30
	v_add_f32_e32 v31, 1.0, v31
	v_add_f32_e32 v34, 1.0, v34
	v_add_f32_e32 v35, 1.0, v35
	v_add_f32_e32 v36, 1.0, v36
	v_add_f32_e32 v37, 1.0, v37
	v_add_f32_e32 v38, 1.0, v38
	v_add_f32_e32 v39, 1.0, v39
	v_add_f32_e32 v40, 1.0, v40
	v_add_f32_e32 v41, 1.0, v41
	v_add_f32_e32 v42, 1.0, v42
	v_add_f32_e32 v43, 1.0, v43
	v_rcp_f32_e32 v32, v32
	v_rcp_f32_e32 v33, v33
	;; [unrolled: 1-line block ×16, first 2 shown]
	v_pk_mul_f32 v[16:17], v[16:17], v[32:33]
	v_pk_mul_f32 v[24:25], v[24:25], v[28:29]
	;; [unrolled: 1-line block ×8, first 2 shown]
	;;#ASMSTART
	v_pk_mul_f32 v[0:1], v[24:25], v[48:49]
	;;#ASMEND
	;;#ASMSTART
	v_pk_mul_f32 v[2:3], v[26:27], v[50:51]
	;;#ASMEND
	;; [unrolled: 3-line block ×7, first 2 shown]
	s_nop 0
	;;#ASMSTART
	v_pk_mul_f32 v[6:7], v[30:31], v[6:7]
	;;#ASMEND
	s_load_dword s0, s[34:35], 0xc
	buffer_store_dwordx4 v[0:3], v59, s[36:39], 0 offen
	buffer_store_dwordx4 v[8:11], v59, s[36:39], 16 offen
	;; [unrolled: 1-line block ×4, first 2 shown]
	s_waitcnt lgkmcnt(0)
	s_and_b32 s0, s0, 0xffff
	s_lshl_b32 s58, s0, 4
	v_lshl_add_u64 v[56:57], s[58:59], 0, v[56:57]
	v_cmp_le_i64_e32 vcc, s[30:31], v[56:57]
	s_or_b64 s[56:57], vcc, s[56:57]
	s_andn2_b64 exec, exec, s[56:57]
	s_cbranch_execnz .LBB200_8
.LBB200_9:
	s_endpgm
	.section	.rodata,"a",@progbits
	.p2align	6, 0x0
	.amdhsa_kernel _ZN5aiter23act_and_mul_bias_kernelIfflfTnPFfRKT2_EXadL_ZNS_11silu_kernelIfEEfRKT_EELi16EEEvPT0_PS8_PKT1_PS2_il
		.amdhsa_group_segment_fixed_size 0
		.amdhsa_private_segment_fixed_size 0
		.amdhsa_kernarg_size 304
		.amdhsa_user_sgpr_count 2
		.amdhsa_user_sgpr_dispatch_ptr 0
		.amdhsa_user_sgpr_queue_ptr 0
		.amdhsa_user_sgpr_kernarg_segment_ptr 1
		.amdhsa_user_sgpr_dispatch_id 0
		.amdhsa_user_sgpr_kernarg_preload_length 0
		.amdhsa_user_sgpr_kernarg_preload_offset 0
		.amdhsa_user_sgpr_private_segment_size 0
		.amdhsa_uses_dynamic_stack 0
		.amdhsa_enable_private_segment 0
		.amdhsa_system_sgpr_workgroup_id_x 1
		.amdhsa_system_sgpr_workgroup_id_y 0
		.amdhsa_system_sgpr_workgroup_id_z 0
		.amdhsa_system_sgpr_workgroup_info 0
		.amdhsa_system_vgpr_workitem_id 0
		.amdhsa_next_free_vgpr 69
		.amdhsa_next_free_sgpr 62
		.amdhsa_accum_offset 72
		.amdhsa_reserve_vcc 1
		.amdhsa_float_round_mode_32 0
		.amdhsa_float_round_mode_16_64 0
		.amdhsa_float_denorm_mode_32 3
		.amdhsa_float_denorm_mode_16_64 3
		.amdhsa_dx10_clamp 1
		.amdhsa_ieee_mode 1
		.amdhsa_fp16_overflow 0
		.amdhsa_tg_split 0
		.amdhsa_exception_fp_ieee_invalid_op 0
		.amdhsa_exception_fp_denorm_src 0
		.amdhsa_exception_fp_ieee_div_zero 0
		.amdhsa_exception_fp_ieee_overflow 0
		.amdhsa_exception_fp_ieee_underflow 0
		.amdhsa_exception_fp_ieee_inexact 0
		.amdhsa_exception_int_div_zero 0
	.end_amdhsa_kernel
	.section	.text._ZN5aiter23act_and_mul_bias_kernelIfflfTnPFfRKT2_EXadL_ZNS_11silu_kernelIfEEfRKT_EELi16EEEvPT0_PS8_PKT1_PS2_il,"axG",@progbits,_ZN5aiter23act_and_mul_bias_kernelIfflfTnPFfRKT2_EXadL_ZNS_11silu_kernelIfEEfRKT_EELi16EEEvPT0_PS8_PKT1_PS2_il,comdat
.Lfunc_end200:
	.size	_ZN5aiter23act_and_mul_bias_kernelIfflfTnPFfRKT2_EXadL_ZNS_11silu_kernelIfEEfRKT_EELi16EEEvPT0_PS8_PKT1_PS2_il, .Lfunc_end200-_ZN5aiter23act_and_mul_bias_kernelIfflfTnPFfRKT2_EXadL_ZNS_11silu_kernelIfEEfRKT_EELi16EEEvPT0_PS8_PKT1_PS2_il
                                        ; -- End function
	.section	.AMDGPU.csdata,"",@progbits
; Kernel info:
; codeLenInByte = 2512
; NumSgprs: 68
; NumVgprs: 69
; NumAgprs: 0
; TotalNumVgprs: 69
; ScratchSize: 0
; MemoryBound: 0
; FloatMode: 240
; IeeeMode: 1
; LDSByteSize: 0 bytes/workgroup (compile time only)
; SGPRBlocks: 8
; VGPRBlocks: 8
; NumSGPRsForWavesPerEU: 68
; NumVGPRsForWavesPerEU: 69
; AccumOffset: 72
; Occupancy: 7
; WaveLimiterHint : 0
; COMPUTE_PGM_RSRC2:SCRATCH_EN: 0
; COMPUTE_PGM_RSRC2:USER_SGPR: 2
; COMPUTE_PGM_RSRC2:TRAP_HANDLER: 0
; COMPUTE_PGM_RSRC2:TGID_X_EN: 1
; COMPUTE_PGM_RSRC2:TGID_Y_EN: 0
; COMPUTE_PGM_RSRC2:TGID_Z_EN: 0
; COMPUTE_PGM_RSRC2:TIDIG_COMP_CNT: 0
; COMPUTE_PGM_RSRC3_GFX90A:ACCUM_OFFSET: 17
; COMPUTE_PGM_RSRC3_GFX90A:TG_SPLIT: 0
	.section	.text._ZN5aiter23act_and_mul_bias_kernelIfflfTnPFfRKT2_EXadL_ZNS_11silu_kernelIfEEfRKT_EELi8EEEvPT0_PS8_PKT1_PS2_il,"axG",@progbits,_ZN5aiter23act_and_mul_bias_kernelIfflfTnPFfRKT2_EXadL_ZNS_11silu_kernelIfEEfRKT_EELi8EEEvPT0_PS8_PKT1_PS2_il,comdat
	.protected	_ZN5aiter23act_and_mul_bias_kernelIfflfTnPFfRKT2_EXadL_ZNS_11silu_kernelIfEEfRKT_EELi8EEEvPT0_PS8_PKT1_PS2_il ; -- Begin function _ZN5aiter23act_and_mul_bias_kernelIfflfTnPFfRKT2_EXadL_ZNS_11silu_kernelIfEEfRKT_EELi8EEEvPT0_PS8_PKT1_PS2_il
	.globl	_ZN5aiter23act_and_mul_bias_kernelIfflfTnPFfRKT2_EXadL_ZNS_11silu_kernelIfEEfRKT_EELi8EEEvPT0_PS8_PKT1_PS2_il
	.p2align	8
	.type	_ZN5aiter23act_and_mul_bias_kernelIfflfTnPFfRKT2_EXadL_ZNS_11silu_kernelIfEEfRKT_EELi8EEEvPT0_PS8_PKT1_PS2_il,@function
_ZN5aiter23act_and_mul_bias_kernelIfflfTnPFfRKT2_EXadL_ZNS_11silu_kernelIfEEfRKT_EELi8EEEvPT0_PS8_PKT1_PS2_il: ; @_ZN5aiter23act_and_mul_bias_kernelIfflfTnPFfRKT2_EXadL_ZNS_11silu_kernelIfEEfRKT_EELi8EEEvPT0_PS8_PKT1_PS2_il
; %bb.0:
	s_load_dword s14, s[0:1], 0x20
	s_load_dwordx2 s[6:7], s[0:1], 0x0
	s_load_dwordx2 s[4:5], s[0:1], 0x10
	;; [unrolled: 1-line block ×3, first 2 shown]
	s_mov_b32 s3, 0
	s_waitcnt lgkmcnt(0)
	s_ashr_i32 s15, s14, 31
	s_lshl_b64 s[10:11], s[2:3], 3
	s_add_u32 s4, s4, s10
	s_addc_u32 s5, s5, s11
	s_load_dwordx2 s[4:5], s[4:5], 0x0
	s_mul_hi_u32 s3, s14, s2
	s_mul_i32 s10, s15, s2
	s_add_i32 s11, s3, s10
	s_mul_i32 s10, s14, s2
	s_lshl_b32 s18, s14, 2
	s_lshl_b64 s[10:11], s[10:11], 2
	s_add_u32 s16, s6, s10
	v_mov_b64_e32 v[2:3], s[8:9]
	s_addc_u32 s3, s7, s11
	s_waitcnt lgkmcnt(0)
	v_cmp_gt_i64_e64 s[10:11], s[4:5], -1
	v_cmp_lt_i64_e32 vcc, s[4:5], v[2:3]
	s_and_b64 s[8:9], s[10:11], vcc
	s_and_b32 s17, s3, 0xffff
	s_mov_b64 s[6:7], -1
	s_and_b64 vcc, exec, s[8:9]
	v_lshlrev_b32_e32 v4, 3, v0
	s_cbranch_vccnz .LBB201_5
; %bb.1:
	v_cmp_gt_i32_e32 vcc, s14, v4
	s_and_saveexec_b64 s[6:7], vcc
	s_cbranch_execz .LBB201_4
; %bb.2:
	s_load_dword s3, s[0:1], 0x3c
	s_mov_b32 s9, 0
	s_mov_b32 s20, s9
	s_mov_b32 s21, s9
	v_mov_b32_e32 v5, 0
	v_lshlrev_b32_e32 v8, 5, v0
	s_waitcnt lgkmcnt(0)
	s_and_b32 s3, s3, 0xffff
	s_mov_b32 s22, s9
	s_mov_b32 s23, s9
	v_mov_b64_e32 v[0:1], s[20:21]
	s_lshl_b32 s8, s3, 3
	s_lshl_b32 s3, s3, 5
	s_mov_b64 s[10:11], 0
	s_mov_b32 s19, 0x20000
	v_mov_b64_e32 v[2:3], s[22:23]
	v_mov_b64_e32 v[6:7], v[4:5]
.LBB201_3:                              ; =>This Inner Loop Header: Depth=1
	v_lshl_add_u64 v[6:7], s[8:9], 0, v[6:7]
	v_cmp_le_i64_e32 vcc, s[14:15], v[6:7]
	buffer_store_dwordx4 v[0:3], v8, s[16:19], 0 offen
	buffer_store_dwordx4 v[0:3], v8, s[16:19], 16 offen
	s_or_b64 s[10:11], vcc, s[10:11]
	v_add_u32_e32 v8, s3, v8
	s_andn2_b64 exec, exec, s[10:11]
	s_cbranch_execnz .LBB201_3
.LBB201_4:
	s_or_b64 exec, exec, s[6:7]
	s_mov_b64 s[6:7], 0
.LBB201_5:
	s_andn2_b64 vcc, exec, s[6:7]
	s_cbranch_vccnz .LBB201_9
; %bb.6:
	v_cmp_gt_i32_e32 vcc, s14, v4
	s_and_saveexec_b64 s[6:7], vcc
	s_cbranch_execz .LBB201_9
; %bb.7:
	s_load_dwordx2 s[6:7], s[0:1], 0x8
	s_load_dwordx2 s[8:9], s[0:1], 0x18
	s_mul_i32 s3, s14, s5
	s_mul_hi_u32 s5, s14, s4
	s_add_i32 s3, s5, s3
	s_mul_i32 s5, s15, s4
	s_add_i32 s5, s3, s5
	s_mul_i32 s4, s14, s4
	s_lshl_b64 s[4:5], s[4:5], 3
	s_waitcnt lgkmcnt(0)
	s_add_u32 s20, s8, s4
	s_addc_u32 s3, s9, s5
	s_lshl_b64 s[4:5], s[14:15], 2
	s_add_u32 s24, s20, s4
	s_addc_u32 s8, s3, s5
	s_and_b32 s21, s3, 0xffff
	s_and_b32 s25, s8, 0xffff
	s_mul_i32 s3, s2, s15
	s_mul_hi_u32 s8, s2, s14
	s_add_i32 s3, s8, s3
	s_mul_i32 s2, s2, s14
	s_lshl_b64 s[2:3], s[2:3], 3
	s_add_u32 s28, s6, s2
	s_addc_u32 s2, s7, s3
	s_add_u32 s36, s28, s4
	s_addc_u32 s3, s2, s5
	s_and_b32 s29, s2, 0xffff
	s_and_b32 s37, s3, 0xffff
	s_mov_b32 s19, 0x20000
	s_add_u32 s34, s0, 48
	v_mov_b32_e32 v5, 0
	s_addc_u32 s35, s1, 0
	s_mov_b64 s[40:41], 0
	s_mov_b32 s27, s19
	s_mov_b32 s26, s18
	;; [unrolled: 1-line block ×8, first 2 shown]
	v_mov_b32_e32 v18, 0x7f800000
	s_mov_b32 s38, s18
	s_mov_b32 s39, s19
	;; [unrolled: 1-line block ×4, first 2 shown]
.LBB201_8:                              ; =>This Inner Loop Header: Depth=1
	v_lshlrev_b32_e32 v19, 2, v4
	buffer_load_dwordx4 v[6:9], v19, s[24:27], 0 offen
	buffer_load_dwordx4 v[10:13], v19, s[36:39], 0 offen
	;; [unrolled: 1-line block ×8, first 2 shown]
	s_waitcnt vmcnt(6)
	v_pk_add_f32 v[0:1], v[12:13], v[8:9]
	v_pk_add_f32 v[2:3], v[10:11], v[6:7]
	s_waitcnt vmcnt(4)
	v_pk_add_f32 v[8:9], v[14:15], v[20:21]
	v_pk_add_f32 v[6:7], v[16:17], v[22:23]
	v_mul_f32_e32 v20, 0xbfb8aa3b, v8
	v_mul_f32_e32 v21, 0xbfb8aa3b, v9
	s_waitcnt vmcnt(0)
	v_pk_add_f32 v[14:15], v[34:35], v[38:39]
	v_pk_add_f32 v[16:17], v[32:33], v[36:37]
	v_pk_add_f32 v[10:11], v[26:27], v[30:31]
	v_pk_add_f32 v[12:13], v[24:25], v[28:29]
	v_mul_f32_e32 v22, 0xbfb8aa3b, v6
	v_mul_f32_e32 v23, 0xbfb8aa3b, v7
	;; [unrolled: 1-line block ×6, first 2 shown]
	v_fma_f32 v28, v8, s33, -v20
	v_rndne_f32_e32 v29, v20
	v_fma_f32 v30, v9, s33, -v21
	v_rndne_f32_e32 v31, v21
	;; [unrolled: 2-line block ×8, first 2 shown]
	v_fmac_f32_e32 v28, 0xb2a5705f, v8
	v_sub_f32_e32 v20, v20, v29
	v_fmac_f32_e32 v30, 0xb2a5705f, v9
	v_sub_f32_e32 v21, v21, v31
	;; [unrolled: 2-line block ×8, first 2 shown]
	v_add_f32_e32 v20, v20, v28
	v_add_f32_e32 v21, v21, v30
	v_cvt_i32_f32_e32 v29, v29
	v_cvt_i32_f32_e32 v31, v31
	v_add_f32_e32 v22, v22, v32
	v_add_f32_e32 v23, v23, v34
	;; [unrolled: 1-line block ×6, first 2 shown]
	v_exp_f32_e32 v20, v20
	v_exp_f32_e32 v21, v21
	v_cvt_i32_f32_e32 v33, v33
	v_cvt_i32_f32_e32 v35, v35
	;; [unrolled: 1-line block ×6, first 2 shown]
	v_exp_f32_e32 v22, v22
	v_exp_f32_e32 v23, v23
	;; [unrolled: 1-line block ×6, first 2 shown]
	v_ldexp_f32 v20, v20, v29
	v_ldexp_f32 v21, v21, v31
	v_cmp_nlt_f32_e32 vcc, s44, v9
	v_cmp_nlt_f32_e64 s[12:13], s44, v8
	v_ldexp_f32 v22, v22, v33
	v_cmp_nlt_f32_e64 s[0:1], s44, v6
	v_ldexp_f32 v23, v23, v35
	;; [unrolled: 2-line block ×6, first 2 shown]
	v_cmp_nlt_f32_e64 s[10:11], s44, v15
	v_cndmask_b32_e64 v20, 0, v20, s[12:13]
	v_cndmask_b32_e32 v21, 0, v21, vcc
	v_cmp_ngt_f32_e32 vcc, s45, v9
	v_cmp_ngt_f32_e64 s[12:13], s45, v8
	v_cndmask_b32_e64 v22, 0, v22, s[0:1]
	v_cmp_ngt_f32_e64 s[0:1], s45, v6
	v_cndmask_b32_e64 v23, 0, v23, s[2:3]
	;; [unrolled: 2-line block ×7, first 2 shown]
	v_cndmask_b32_e32 v21, v18, v21, vcc
	v_cndmask_b32_e64 v22, v18, v22, s[0:1]
	v_cndmask_b32_e64 v23, v18, v23, s[2:3]
	;; [unrolled: 1-line block ×6, first 2 shown]
	v_add_f32_e32 v20, 1.0, v20
	v_add_f32_e32 v21, 1.0, v21
	;; [unrolled: 1-line block ×8, first 2 shown]
	v_rcp_f32_e32 v20, v20
	v_rcp_f32_e32 v21, v21
	;; [unrolled: 1-line block ×8, first 2 shown]
	v_pk_mul_f32 v[8:9], v[8:9], v[20:21]
	v_pk_mul_f32 v[20:21], v[6:7], v[22:23]
	;; [unrolled: 1-line block ×4, first 2 shown]
	;;#ASMSTART
	v_pk_mul_f32 v[6:7], v[8:9], v[2:3]
	;;#ASMEND
	;;#ASMSTART
	v_pk_mul_f32 v[8:9], v[20:21], v[0:1]
	;;#ASMEND
	;; [unrolled: 3-line block ×3, first 2 shown]
	s_nop 0
	;;#ASMSTART
	v_pk_mul_f32 v[2:3], v[14:15], v[10:11]
	;;#ASMEND
	s_load_dword s0, s[34:35], 0xc
	buffer_store_dwordx4 v[6:9], v19, s[16:19], 0 offen
	buffer_store_dwordx4 v[0:3], v19, s[16:19], 16 offen
	s_waitcnt lgkmcnt(0)
	s_and_b32 s0, s0, 0xffff
	s_lshl_b32 s42, s0, 3
	v_lshl_add_u64 v[4:5], s[42:43], 0, v[4:5]
	v_cmp_le_i64_e32 vcc, s[14:15], v[4:5]
	s_or_b64 s[40:41], vcc, s[40:41]
	s_andn2_b64 exec, exec, s[40:41]
	s_cbranch_execnz .LBB201_8
.LBB201_9:
	s_endpgm
	.section	.rodata,"a",@progbits
	.p2align	6, 0x0
	.amdhsa_kernel _ZN5aiter23act_and_mul_bias_kernelIfflfTnPFfRKT2_EXadL_ZNS_11silu_kernelIfEEfRKT_EELi8EEEvPT0_PS8_PKT1_PS2_il
		.amdhsa_group_segment_fixed_size 0
		.amdhsa_private_segment_fixed_size 0
		.amdhsa_kernarg_size 304
		.amdhsa_user_sgpr_count 2
		.amdhsa_user_sgpr_dispatch_ptr 0
		.amdhsa_user_sgpr_queue_ptr 0
		.amdhsa_user_sgpr_kernarg_segment_ptr 1
		.amdhsa_user_sgpr_dispatch_id 0
		.amdhsa_user_sgpr_kernarg_preload_length 0
		.amdhsa_user_sgpr_kernarg_preload_offset 0
		.amdhsa_user_sgpr_private_segment_size 0
		.amdhsa_uses_dynamic_stack 0
		.amdhsa_enable_private_segment 0
		.amdhsa_system_sgpr_workgroup_id_x 1
		.amdhsa_system_sgpr_workgroup_id_y 0
		.amdhsa_system_sgpr_workgroup_id_z 0
		.amdhsa_system_sgpr_workgroup_info 0
		.amdhsa_system_vgpr_workitem_id 0
		.amdhsa_next_free_vgpr 44
		.amdhsa_next_free_sgpr 46
		.amdhsa_accum_offset 44
		.amdhsa_reserve_vcc 1
		.amdhsa_float_round_mode_32 0
		.amdhsa_float_round_mode_16_64 0
		.amdhsa_float_denorm_mode_32 3
		.amdhsa_float_denorm_mode_16_64 3
		.amdhsa_dx10_clamp 1
		.amdhsa_ieee_mode 1
		.amdhsa_fp16_overflow 0
		.amdhsa_tg_split 0
		.amdhsa_exception_fp_ieee_invalid_op 0
		.amdhsa_exception_fp_denorm_src 0
		.amdhsa_exception_fp_ieee_div_zero 0
		.amdhsa_exception_fp_ieee_overflow 0
		.amdhsa_exception_fp_ieee_underflow 0
		.amdhsa_exception_fp_ieee_inexact 0
		.amdhsa_exception_int_div_zero 0
	.end_amdhsa_kernel
	.section	.text._ZN5aiter23act_and_mul_bias_kernelIfflfTnPFfRKT2_EXadL_ZNS_11silu_kernelIfEEfRKT_EELi8EEEvPT0_PS8_PKT1_PS2_il,"axG",@progbits,_ZN5aiter23act_and_mul_bias_kernelIfflfTnPFfRKT2_EXadL_ZNS_11silu_kernelIfEEfRKT_EELi8EEEvPT0_PS8_PKT1_PS2_il,comdat
.Lfunc_end201:
	.size	_ZN5aiter23act_and_mul_bias_kernelIfflfTnPFfRKT2_EXadL_ZNS_11silu_kernelIfEEfRKT_EELi8EEEvPT0_PS8_PKT1_PS2_il, .Lfunc_end201-_ZN5aiter23act_and_mul_bias_kernelIfflfTnPFfRKT2_EXadL_ZNS_11silu_kernelIfEEfRKT_EELi8EEEvPT0_PS8_PKT1_PS2_il
                                        ; -- End function
	.section	.AMDGPU.csdata,"",@progbits
; Kernel info:
; codeLenInByte = 1536
; NumSgprs: 52
; NumVgprs: 44
; NumAgprs: 0
; TotalNumVgprs: 44
; ScratchSize: 0
; MemoryBound: 0
; FloatMode: 240
; IeeeMode: 1
; LDSByteSize: 0 bytes/workgroup (compile time only)
; SGPRBlocks: 6
; VGPRBlocks: 5
; NumSGPRsForWavesPerEU: 52
; NumVGPRsForWavesPerEU: 44
; AccumOffset: 44
; Occupancy: 8
; WaveLimiterHint : 0
; COMPUTE_PGM_RSRC2:SCRATCH_EN: 0
; COMPUTE_PGM_RSRC2:USER_SGPR: 2
; COMPUTE_PGM_RSRC2:TRAP_HANDLER: 0
; COMPUTE_PGM_RSRC2:TGID_X_EN: 1
; COMPUTE_PGM_RSRC2:TGID_Y_EN: 0
; COMPUTE_PGM_RSRC2:TGID_Z_EN: 0
; COMPUTE_PGM_RSRC2:TIDIG_COMP_CNT: 0
; COMPUTE_PGM_RSRC3_GFX90A:ACCUM_OFFSET: 10
; COMPUTE_PGM_RSRC3_GFX90A:TG_SPLIT: 0
	.section	.text._ZN5aiter23act_and_mul_bias_kernelIfflfTnPFfRKT2_EXadL_ZNS_11silu_kernelIfEEfRKT_EELi4EEEvPT0_PS8_PKT1_PS2_il,"axG",@progbits,_ZN5aiter23act_and_mul_bias_kernelIfflfTnPFfRKT2_EXadL_ZNS_11silu_kernelIfEEfRKT_EELi4EEEvPT0_PS8_PKT1_PS2_il,comdat
	.protected	_ZN5aiter23act_and_mul_bias_kernelIfflfTnPFfRKT2_EXadL_ZNS_11silu_kernelIfEEfRKT_EELi4EEEvPT0_PS8_PKT1_PS2_il ; -- Begin function _ZN5aiter23act_and_mul_bias_kernelIfflfTnPFfRKT2_EXadL_ZNS_11silu_kernelIfEEfRKT_EELi4EEEvPT0_PS8_PKT1_PS2_il
	.globl	_ZN5aiter23act_and_mul_bias_kernelIfflfTnPFfRKT2_EXadL_ZNS_11silu_kernelIfEEfRKT_EELi4EEEvPT0_PS8_PKT1_PS2_il
	.p2align	8
	.type	_ZN5aiter23act_and_mul_bias_kernelIfflfTnPFfRKT2_EXadL_ZNS_11silu_kernelIfEEfRKT_EELi4EEEvPT0_PS8_PKT1_PS2_il,@function
_ZN5aiter23act_and_mul_bias_kernelIfflfTnPFfRKT2_EXadL_ZNS_11silu_kernelIfEEfRKT_EELi4EEEvPT0_PS8_PKT1_PS2_il: ; @_ZN5aiter23act_and_mul_bias_kernelIfflfTnPFfRKT2_EXadL_ZNS_11silu_kernelIfEEfRKT_EELi4EEEvPT0_PS8_PKT1_PS2_il
; %bb.0:
	s_load_dword s6, s[0:1], 0x20
	s_load_dwordx2 s[8:9], s[0:1], 0x0
	s_load_dwordx2 s[4:5], s[0:1], 0x10
	;; [unrolled: 1-line block ×3, first 2 shown]
	s_mov_b32 s3, 0
	s_waitcnt lgkmcnt(0)
	s_ashr_i32 s7, s6, 31
	s_lshl_b64 s[10:11], s[2:3], 3
	s_add_u32 s4, s4, s10
	s_addc_u32 s5, s5, s11
	s_load_dwordx2 s[4:5], s[4:5], 0x0
	s_mul_hi_u32 s3, s6, s2
	s_mul_i32 s11, s7, s2
	s_add_i32 s13, s3, s11
	s_mul_i32 s12, s6, s2
	s_lshl_b32 s10, s6, 2
	s_lshl_b64 s[12:13], s[12:13], 2
	v_mov_b64_e32 v[2:3], s[14:15]
	s_add_u32 s8, s8, s12
	s_waitcnt lgkmcnt(0)
	v_cmp_gt_i64_e64 s[16:17], s[4:5], -1
	v_cmp_lt_i64_e32 vcc, s[4:5], v[2:3]
	s_addc_u32 s3, s9, s13
	s_and_b64 s[14:15], s[16:17], vcc
	s_and_b32 s9, s3, 0xffff
	s_mov_b64 s[12:13], -1
	s_and_b64 vcc, exec, s[14:15]
	v_lshlrev_b32_e32 v4, 2, v0
	s_cbranch_vccnz .LBB202_5
; %bb.1:
	v_cmp_gt_i32_e32 vcc, s6, v4
	s_and_saveexec_b64 s[12:13], vcc
	s_cbranch_execz .LBB202_4
; %bb.2:
	s_load_dword s3, s[0:1], 0x3c
	v_mov_b32_e32 v5, 0
	s_mov_b32 s15, 0
	v_lshlrev_b32_e32 v8, 4, v0
	s_mov_b64 s[16:17], 0
	s_waitcnt lgkmcnt(0)
	s_and_b32 s3, s3, 0xffff
	s_lshl_b32 s14, s3, 2
	s_lshl_b32 s3, s3, 4
	s_mov_b32 s11, 0x20000
	v_mov_b32_e32 v0, v5
	v_mov_b32_e32 v1, v5
	v_mov_b32_e32 v2, v5
	v_mov_b32_e32 v3, v5
	v_mov_b64_e32 v[6:7], v[4:5]
.LBB202_3:                              ; =>This Inner Loop Header: Depth=1
	v_lshl_add_u64 v[6:7], s[14:15], 0, v[6:7]
	v_cmp_le_i64_e32 vcc, s[6:7], v[6:7]
	buffer_store_dwordx4 v[0:3], v8, s[8:11], 0 offen
	s_or_b64 s[16:17], vcc, s[16:17]
	v_add_u32_e32 v8, s3, v8
	s_andn2_b64 exec, exec, s[16:17]
	s_cbranch_execnz .LBB202_3
.LBB202_4:
	s_or_b64 exec, exec, s[12:13]
	s_mov_b64 s[12:13], 0
.LBB202_5:
	s_andn2_b64 vcc, exec, s[12:13]
	s_cbranch_vccnz .LBB202_9
; %bb.6:
	v_cmp_gt_i32_e32 vcc, s6, v4
	s_and_saveexec_b64 s[12:13], vcc
	s_cbranch_execz .LBB202_9
; %bb.7:
	s_load_dwordx2 s[14:15], s[0:1], 0x8
	s_load_dwordx2 s[12:13], s[0:1], 0x18
	s_mul_i32 s3, s6, s5
	s_mul_hi_u32 s5, s6, s4
	s_add_i32 s3, s5, s3
	s_mul_i32 s5, s7, s4
	s_add_i32 s5, s3, s5
	s_mul_i32 s4, s6, s4
	s_lshl_b64 s[4:5], s[4:5], 3
	s_waitcnt lgkmcnt(0)
	s_add_u32 s12, s12, s4
	s_addc_u32 s3, s13, s5
	s_lshl_b64 s[4:5], s[6:7], 2
	s_add_u32 s16, s12, s4
	s_addc_u32 s17, s3, s5
	s_and_b32 s13, s3, 0xffff
	s_mul_i32 s3, s2, s7
	s_mul_hi_u32 s18, s2, s6
	s_add_i32 s3, s18, s3
	s_mul_i32 s2, s2, s6
	s_and_b32 s17, s17, 0xffff
	s_lshl_b64 s[2:3], s[2:3], 3
	s_add_u32 s20, s14, s2
	s_addc_u32 s2, s15, s3
	s_add_u32 s24, s20, s4
	s_addc_u32 s3, s2, s5
	s_and_b32 s21, s2, 0xffff
	s_and_b32 s25, s3, 0xffff
	s_mov_b32 s11, 0x20000
	s_add_u32 s28, s0, 48
	v_mov_b32_e32 v5, 0
	s_addc_u32 s29, s1, 0
	s_mov_b64 s[30:31], 0
	s_mov_b32 s19, s11
	s_mov_b32 s18, s10
	;; [unrolled: 1-line block ×8, first 2 shown]
	v_mov_b32_e32 v0, 0x7f800000
	s_mov_b32 s26, s10
	s_mov_b32 s27, s11
	;; [unrolled: 1-line block ×4, first 2 shown]
.LBB202_8:                              ; =>This Inner Loop Header: Depth=1
	v_lshlrev_b32_e32 v1, 2, v4
	buffer_load_dwordx4 v[6:9], v1, s[20:23], 0 offen
	buffer_load_dwordx4 v[10:13], v1, s[24:27], 0 offen
	;; [unrolled: 1-line block ×4, first 2 shown]
	s_waitcnt vmcnt(1)
	v_pk_add_f32 v[8:9], v[8:9], v[16:17]
	v_pk_add_f32 v[6:7], v[6:7], v[14:15]
	s_waitcnt vmcnt(0)
	v_pk_add_f32 v[2:3], v[12:13], v[20:21]
	v_mul_f32_e32 v12, 0xbfb8aa3b, v6
	v_mul_f32_e32 v13, 0xbfb8aa3b, v7
	v_mul_f32_e32 v14, 0xbfb8aa3b, v8
	v_mul_f32_e32 v15, 0xbfb8aa3b, v9
	v_pk_add_f32 v[10:11], v[10:11], v[18:19]
	v_fma_f32 v16, v6, s33, -v12
	v_rndne_f32_e32 v17, v12
	v_fma_f32 v18, v7, s33, -v13
	v_rndne_f32_e32 v19, v13
	;; [unrolled: 2-line block ×4, first 2 shown]
	v_fmac_f32_e32 v16, 0xb2a5705f, v6
	v_sub_f32_e32 v12, v12, v17
	v_fmac_f32_e32 v18, 0xb2a5705f, v7
	v_sub_f32_e32 v13, v13, v19
	;; [unrolled: 2-line block ×4, first 2 shown]
	v_add_f32_e32 v12, v12, v16
	v_add_f32_e32 v13, v13, v18
	;; [unrolled: 1-line block ×4, first 2 shown]
	v_cvt_i32_f32_e32 v17, v17
	v_cvt_i32_f32_e32 v19, v19
	;; [unrolled: 1-line block ×4, first 2 shown]
	v_exp_f32_e32 v12, v12
	v_exp_f32_e32 v13, v13
	;; [unrolled: 1-line block ×4, first 2 shown]
	v_ldexp_f32 v12, v12, v17
	v_ldexp_f32 v13, v13, v19
	v_cmp_nlt_f32_e32 vcc, s36, v7
	v_ldexp_f32 v14, v14, v21
	v_cmp_nlt_f32_e64 s[0:1], s36, v8
	v_ldexp_f32 v15, v15, v23
	v_cmp_nlt_f32_e64 s[2:3], s36, v9
	v_cmp_nlt_f32_e64 s[4:5], s36, v6
	v_cndmask_b32_e32 v13, 0, v13, vcc
	v_cmp_ngt_f32_e32 vcc, s37, v7
	v_cndmask_b32_e64 v12, 0, v12, s[4:5]
	v_cndmask_b32_e64 v14, 0, v14, s[0:1]
	v_cmp_ngt_f32_e64 s[0:1], s37, v8
	v_cndmask_b32_e64 v15, 0, v15, s[2:3]
	v_cmp_ngt_f32_e64 s[2:3], s37, v9
	v_cmp_ngt_f32_e64 s[4:5], s37, v6
	v_cndmask_b32_e32 v13, v0, v13, vcc
	v_cndmask_b32_e64 v14, v0, v14, s[0:1]
	v_cndmask_b32_e64 v12, v0, v12, s[4:5]
	;; [unrolled: 1-line block ×3, first 2 shown]
	v_add_f32_e32 v12, 1.0, v12
	v_add_f32_e32 v13, 1.0, v13
	;; [unrolled: 1-line block ×4, first 2 shown]
	v_rcp_f32_e32 v12, v12
	v_rcp_f32_e32 v13, v13
	v_rcp_f32_e32 v14, v14
	v_rcp_f32_e32 v15, v15
	v_pk_mul_f32 v[6:7], v[6:7], v[12:13]
	s_nop 0
	;;#ASMSTART
	v_pk_mul_f32 v[6:7], v[6:7], v[10:11]
	;;#ASMEND
	v_pk_mul_f32 v[8:9], v[8:9], v[14:15]
	s_nop 0
	;;#ASMSTART
	v_pk_mul_f32 v[8:9], v[8:9], v[2:3]
	;;#ASMEND
	s_load_dword s0, s[28:29], 0xc
	buffer_store_dwordx4 v[6:9], v1, s[8:11], 0 offen
	s_waitcnt lgkmcnt(0)
	s_and_b32 s0, s0, 0xffff
	s_lshl_b32 s34, s0, 2
	v_lshl_add_u64 v[4:5], s[34:35], 0, v[4:5]
	v_cmp_le_i64_e32 vcc, s[6:7], v[4:5]
	s_or_b64 s[30:31], vcc, s[30:31]
	s_andn2_b64 exec, exec, s[30:31]
	s_cbranch_execnz .LBB202_8
.LBB202_9:
	s_endpgm
	.section	.rodata,"a",@progbits
	.p2align	6, 0x0
	.amdhsa_kernel _ZN5aiter23act_and_mul_bias_kernelIfflfTnPFfRKT2_EXadL_ZNS_11silu_kernelIfEEfRKT_EELi4EEEvPT0_PS8_PKT1_PS2_il
		.amdhsa_group_segment_fixed_size 0
		.amdhsa_private_segment_fixed_size 0
		.amdhsa_kernarg_size 304
		.amdhsa_user_sgpr_count 2
		.amdhsa_user_sgpr_dispatch_ptr 0
		.amdhsa_user_sgpr_queue_ptr 0
		.amdhsa_user_sgpr_kernarg_segment_ptr 1
		.amdhsa_user_sgpr_dispatch_id 0
		.amdhsa_user_sgpr_kernarg_preload_length 0
		.amdhsa_user_sgpr_kernarg_preload_offset 0
		.amdhsa_user_sgpr_private_segment_size 0
		.amdhsa_uses_dynamic_stack 0
		.amdhsa_enable_private_segment 0
		.amdhsa_system_sgpr_workgroup_id_x 1
		.amdhsa_system_sgpr_workgroup_id_y 0
		.amdhsa_system_sgpr_workgroup_id_z 0
		.amdhsa_system_sgpr_workgroup_info 0
		.amdhsa_system_vgpr_workitem_id 0
		.amdhsa_next_free_vgpr 24
		.amdhsa_next_free_sgpr 38
		.amdhsa_accum_offset 24
		.amdhsa_reserve_vcc 1
		.amdhsa_float_round_mode_32 0
		.amdhsa_float_round_mode_16_64 0
		.amdhsa_float_denorm_mode_32 3
		.amdhsa_float_denorm_mode_16_64 3
		.amdhsa_dx10_clamp 1
		.amdhsa_ieee_mode 1
		.amdhsa_fp16_overflow 0
		.amdhsa_tg_split 0
		.amdhsa_exception_fp_ieee_invalid_op 0
		.amdhsa_exception_fp_denorm_src 0
		.amdhsa_exception_fp_ieee_div_zero 0
		.amdhsa_exception_fp_ieee_overflow 0
		.amdhsa_exception_fp_ieee_underflow 0
		.amdhsa_exception_fp_ieee_inexact 0
		.amdhsa_exception_int_div_zero 0
	.end_amdhsa_kernel
	.section	.text._ZN5aiter23act_and_mul_bias_kernelIfflfTnPFfRKT2_EXadL_ZNS_11silu_kernelIfEEfRKT_EELi4EEEvPT0_PS8_PKT1_PS2_il,"axG",@progbits,_ZN5aiter23act_and_mul_bias_kernelIfflfTnPFfRKT2_EXadL_ZNS_11silu_kernelIfEEfRKT_EELi4EEEvPT0_PS8_PKT1_PS2_il,comdat
.Lfunc_end202:
	.size	_ZN5aiter23act_and_mul_bias_kernelIfflfTnPFfRKT2_EXadL_ZNS_11silu_kernelIfEEfRKT_EELi4EEEvPT0_PS8_PKT1_PS2_il, .Lfunc_end202-_ZN5aiter23act_and_mul_bias_kernelIfflfTnPFfRKT2_EXadL_ZNS_11silu_kernelIfEEfRKT_EELi4EEEvPT0_PS8_PKT1_PS2_il
                                        ; -- End function
	.section	.AMDGPU.csdata,"",@progbits
; Kernel info:
; codeLenInByte = 1048
; NumSgprs: 44
; NumVgprs: 24
; NumAgprs: 0
; TotalNumVgprs: 24
; ScratchSize: 0
; MemoryBound: 0
; FloatMode: 240
; IeeeMode: 1
; LDSByteSize: 0 bytes/workgroup (compile time only)
; SGPRBlocks: 5
; VGPRBlocks: 2
; NumSGPRsForWavesPerEU: 44
; NumVGPRsForWavesPerEU: 24
; AccumOffset: 24
; Occupancy: 8
; WaveLimiterHint : 0
; COMPUTE_PGM_RSRC2:SCRATCH_EN: 0
; COMPUTE_PGM_RSRC2:USER_SGPR: 2
; COMPUTE_PGM_RSRC2:TRAP_HANDLER: 0
; COMPUTE_PGM_RSRC2:TGID_X_EN: 1
; COMPUTE_PGM_RSRC2:TGID_Y_EN: 0
; COMPUTE_PGM_RSRC2:TGID_Z_EN: 0
; COMPUTE_PGM_RSRC2:TIDIG_COMP_CNT: 0
; COMPUTE_PGM_RSRC3_GFX90A:ACCUM_OFFSET: 5
; COMPUTE_PGM_RSRC3_GFX90A:TG_SPLIT: 0
	.section	.text._ZN5aiter23act_and_mul_bias_kernelIfflfTnPFfRKT2_EXadL_ZNS_11silu_kernelIfEEfRKT_EELi2EEEvPT0_PS8_PKT1_PS2_il,"axG",@progbits,_ZN5aiter23act_and_mul_bias_kernelIfflfTnPFfRKT2_EXadL_ZNS_11silu_kernelIfEEfRKT_EELi2EEEvPT0_PS8_PKT1_PS2_il,comdat
	.protected	_ZN5aiter23act_and_mul_bias_kernelIfflfTnPFfRKT2_EXadL_ZNS_11silu_kernelIfEEfRKT_EELi2EEEvPT0_PS8_PKT1_PS2_il ; -- Begin function _ZN5aiter23act_and_mul_bias_kernelIfflfTnPFfRKT2_EXadL_ZNS_11silu_kernelIfEEfRKT_EELi2EEEvPT0_PS8_PKT1_PS2_il
	.globl	_ZN5aiter23act_and_mul_bias_kernelIfflfTnPFfRKT2_EXadL_ZNS_11silu_kernelIfEEfRKT_EELi2EEEvPT0_PS8_PKT1_PS2_il
	.p2align	8
	.type	_ZN5aiter23act_and_mul_bias_kernelIfflfTnPFfRKT2_EXadL_ZNS_11silu_kernelIfEEfRKT_EELi2EEEvPT0_PS8_PKT1_PS2_il,@function
_ZN5aiter23act_and_mul_bias_kernelIfflfTnPFfRKT2_EXadL_ZNS_11silu_kernelIfEEfRKT_EELi2EEEvPT0_PS8_PKT1_PS2_il: ; @_ZN5aiter23act_and_mul_bias_kernelIfflfTnPFfRKT2_EXadL_ZNS_11silu_kernelIfEEfRKT_EELi2EEEvPT0_PS8_PKT1_PS2_il
; %bb.0:
	s_load_dword s24, s[0:1], 0x20
	s_load_dwordx2 s[4:5], s[0:1], 0x0
	s_load_dwordx2 s[6:7], s[0:1], 0x10
	;; [unrolled: 1-line block ×3, first 2 shown]
	s_mov_b32 s3, 0
	s_waitcnt lgkmcnt(0)
	s_ashr_i32 s25, s24, 31
	s_lshl_b64 s[8:9], s[2:3], 3
	s_add_u32 s6, s6, s8
	s_addc_u32 s7, s7, s9
	s_load_dwordx2 s[8:9], s[6:7], 0x0
	s_mul_hi_u32 s3, s24, s2
	s_mul_i32 s7, s25, s2
	s_add_i32 s11, s3, s7
	s_mul_i32 s10, s24, s2
	s_lshl_b32 s6, s24, 2
	s_lshl_b64 s[10:11], s[10:11], 2
	v_mov_b64_e32 v[2:3], s[12:13]
	s_add_u32 s4, s4, s10
	s_waitcnt lgkmcnt(0)
	v_cmp_gt_i64_e64 s[14:15], s[8:9], -1
	v_cmp_lt_i64_e32 vcc, s[8:9], v[2:3]
	s_addc_u32 s3, s5, s11
	s_and_b64 s[12:13], s[14:15], vcc
	s_and_b32 s5, s3, 0xffff
	s_mov_b64 s[10:11], -1
	s_and_b64 vcc, exec, s[12:13]
	v_lshlrev_b32_e32 v2, 1, v0
	s_cbranch_vccnz .LBB203_5
; %bb.1:
	v_cmp_gt_i32_e32 vcc, s24, v2
	s_and_saveexec_b64 s[10:11], vcc
	s_cbranch_execz .LBB203_4
; %bb.2:
	s_load_dword s3, s[0:1], 0x3c
	v_mov_b32_e32 v3, 0
	s_mov_b32 s13, 0
	v_lshlrev_b32_e32 v6, 3, v0
	s_mov_b64 s[14:15], 0
	s_waitcnt lgkmcnt(0)
	s_and_b32 s3, s3, 0xffff
	s_lshl_b32 s12, s3, 1
	s_lshl_b32 s3, s3, 3
	s_mov_b32 s7, 0x20000
	v_mov_b32_e32 v0, v3
	v_mov_b32_e32 v1, v3
	v_mov_b64_e32 v[4:5], v[2:3]
.LBB203_3:                              ; =>This Inner Loop Header: Depth=1
	v_lshl_add_u64 v[4:5], s[12:13], 0, v[4:5]
	v_cmp_le_i64_e32 vcc, s[24:25], v[4:5]
	buffer_store_dwordx2 v[0:1], v6, s[4:7], 0 offen
	s_or_b64 s[14:15], vcc, s[14:15]
	v_add_u32_e32 v6, s3, v6
	s_andn2_b64 exec, exec, s[14:15]
	s_cbranch_execnz .LBB203_3
.LBB203_4:
	s_or_b64 exec, exec, s[10:11]
	s_mov_b64 s[10:11], 0
.LBB203_5:
	s_andn2_b64 vcc, exec, s[10:11]
	s_cbranch_vccnz .LBB203_9
; %bb.6:
	v_cmp_gt_i32_e32 vcc, s24, v2
	s_and_saveexec_b64 s[10:11], vcc
	s_cbranch_execz .LBB203_9
; %bb.7:
	s_load_dwordx2 s[10:11], s[0:1], 0x8
	s_load_dwordx2 s[12:13], s[0:1], 0x18
	s_mul_i32 s3, s24, s9
	s_mul_hi_u32 s7, s24, s8
	s_add_i32 s3, s7, s3
	s_mul_i32 s7, s25, s8
	s_add_i32 s9, s3, s7
	s_mul_i32 s8, s24, s8
	s_lshl_b64 s[8:9], s[8:9], 3
	s_waitcnt lgkmcnt(0)
	s_add_u32 s8, s12, s8
	s_addc_u32 s3, s13, s9
	s_lshl_b64 s[14:15], s[24:25], 2
	s_add_u32 s12, s8, s14
	s_addc_u32 s13, s3, s15
	s_and_b32 s9, s3, 0xffff
	s_mul_i32 s3, s2, s25
	s_mul_hi_u32 s16, s2, s24
	s_add_i32 s3, s16, s3
	s_mul_i32 s2, s2, s24
	s_and_b32 s13, s13, 0xffff
	s_lshl_b64 s[2:3], s[2:3], 3
	s_add_u32 s16, s10, s2
	s_addc_u32 s2, s11, s3
	s_add_u32 s20, s16, s14
	s_addc_u32 s3, s2, s15
	s_and_b32 s17, s2, 0xffff
	s_and_b32 s21, s3, 0xffff
	s_mov_b32 s7, 0x20000
	s_add_u32 s2, s0, 48
	v_mov_b32_e32 v3, 0
	s_addc_u32 s3, s1, 0
	s_mov_b64 s[26:27], 0
	s_mov_b32 s15, s7
	s_mov_b32 s14, s6
	;; [unrolled: 1-line block ×8, first 2 shown]
	v_mov_b32_e32 v0, 0x7f800000
	s_mov_b32 s22, s6
	s_mov_b32 s23, s7
	;; [unrolled: 1-line block ×4, first 2 shown]
.LBB203_8:                              ; =>This Inner Loop Header: Depth=1
	v_lshlrev_b32_e32 v1, 2, v2
	buffer_load_dwordx2 v[4:5], v1, s[8:11], 0 offen
	buffer_load_dwordx2 v[6:7], v1, s[16:19], 0 offen
	;; [unrolled: 1-line block ×4, first 2 shown]
	s_waitcnt vmcnt(2)
	v_pk_add_f32 v[4:5], v[6:7], v[4:5]
	s_nop 0
	v_mul_f32_e32 v6, 0xbfb8aa3b, v5
	v_mul_f32_e32 v7, 0xbfb8aa3b, v4
	v_fma_f32 v12, v5, s30, -v6
	v_rndne_f32_e32 v13, v6
	v_fma_f32 v14, v4, s30, -v7
	v_rndne_f32_e32 v15, v7
	v_fmac_f32_e32 v12, 0xb2a5705f, v5
	v_sub_f32_e32 v6, v6, v13
	v_fmac_f32_e32 v14, 0xb2a5705f, v4
	v_sub_f32_e32 v7, v7, v15
	v_add_f32_e32 v6, v6, v12
	v_add_f32_e32 v7, v7, v14
	v_cvt_i32_f32_e32 v13, v13
	v_cvt_i32_f32_e32 v15, v15
	v_exp_f32_e32 v6, v6
	v_exp_f32_e32 v7, v7
	v_cmp_nlt_f32_e32 vcc, s31, v4
	v_cmp_nlt_f32_e64 s[0:1], s31, v5
	v_ldexp_f32 v6, v6, v13
	v_ldexp_f32 v7, v7, v15
	v_cndmask_b32_e64 v6, 0, v6, s[0:1]
	v_cndmask_b32_e32 v7, 0, v7, vcc
	v_cmp_ngt_f32_e32 vcc, s33, v4
	v_cmp_ngt_f32_e64 s[0:1], s33, v5
	s_waitcnt vmcnt(0)
	v_pk_add_f32 v[8:9], v[8:9], v[10:11]
	v_cndmask_b32_e32 v7, v0, v7, vcc
	v_cndmask_b32_e64 v6, v0, v6, s[0:1]
	v_add_f32_e32 v6, 1.0, v6
	v_add_f32_e32 v12, 1.0, v7
	v_rcp_f32_e32 v7, v6
	v_rcp_f32_e32 v6, v12
	s_nop 0
	v_pk_mul_f32 v[4:5], v[4:5], v[6:7]
	s_nop 0
	;;#ASMSTART
	v_pk_mul_f32 v[4:5], v[4:5], v[8:9]
	;;#ASMEND
	s_load_dword s0, s[2:3], 0xc
	buffer_store_dwordx2 v[4:5], v1, s[4:7], 0 offen
	s_waitcnt lgkmcnt(0)
	s_and_b32 s0, s0, 0xffff
	s_lshl_b32 s28, s0, 1
	v_lshl_add_u64 v[2:3], s[28:29], 0, v[2:3]
	v_cmp_le_i64_e32 vcc, s[24:25], v[2:3]
	s_or_b64 s[26:27], vcc, s[26:27]
	s_andn2_b64 exec, exec, s[26:27]
	s_cbranch_execnz .LBB203_8
.LBB203_9:
	s_endpgm
	.section	.rodata,"a",@progbits
	.p2align	6, 0x0
	.amdhsa_kernel _ZN5aiter23act_and_mul_bias_kernelIfflfTnPFfRKT2_EXadL_ZNS_11silu_kernelIfEEfRKT_EELi2EEEvPT0_PS8_PKT1_PS2_il
		.amdhsa_group_segment_fixed_size 0
		.amdhsa_private_segment_fixed_size 0
		.amdhsa_kernarg_size 304
		.amdhsa_user_sgpr_count 2
		.amdhsa_user_sgpr_dispatch_ptr 0
		.amdhsa_user_sgpr_queue_ptr 0
		.amdhsa_user_sgpr_kernarg_segment_ptr 1
		.amdhsa_user_sgpr_dispatch_id 0
		.amdhsa_user_sgpr_kernarg_preload_length 0
		.amdhsa_user_sgpr_kernarg_preload_offset 0
		.amdhsa_user_sgpr_private_segment_size 0
		.amdhsa_uses_dynamic_stack 0
		.amdhsa_enable_private_segment 0
		.amdhsa_system_sgpr_workgroup_id_x 1
		.amdhsa_system_sgpr_workgroup_id_y 0
		.amdhsa_system_sgpr_workgroup_id_z 0
		.amdhsa_system_sgpr_workgroup_info 0
		.amdhsa_system_vgpr_workitem_id 0
		.amdhsa_next_free_vgpr 16
		.amdhsa_next_free_sgpr 34
		.amdhsa_accum_offset 16
		.amdhsa_reserve_vcc 1
		.amdhsa_float_round_mode_32 0
		.amdhsa_float_round_mode_16_64 0
		.amdhsa_float_denorm_mode_32 3
		.amdhsa_float_denorm_mode_16_64 3
		.amdhsa_dx10_clamp 1
		.amdhsa_ieee_mode 1
		.amdhsa_fp16_overflow 0
		.amdhsa_tg_split 0
		.amdhsa_exception_fp_ieee_invalid_op 0
		.amdhsa_exception_fp_denorm_src 0
		.amdhsa_exception_fp_ieee_div_zero 0
		.amdhsa_exception_fp_ieee_overflow 0
		.amdhsa_exception_fp_ieee_underflow 0
		.amdhsa_exception_fp_ieee_inexact 0
		.amdhsa_exception_int_div_zero 0
	.end_amdhsa_kernel
	.section	.text._ZN5aiter23act_and_mul_bias_kernelIfflfTnPFfRKT2_EXadL_ZNS_11silu_kernelIfEEfRKT_EELi2EEEvPT0_PS8_PKT1_PS2_il,"axG",@progbits,_ZN5aiter23act_and_mul_bias_kernelIfflfTnPFfRKT2_EXadL_ZNS_11silu_kernelIfEEfRKT_EELi2EEEvPT0_PS8_PKT1_PS2_il,comdat
.Lfunc_end203:
	.size	_ZN5aiter23act_and_mul_bias_kernelIfflfTnPFfRKT2_EXadL_ZNS_11silu_kernelIfEEfRKT_EELi2EEEvPT0_PS8_PKT1_PS2_il, .Lfunc_end203-_ZN5aiter23act_and_mul_bias_kernelIfflfTnPFfRKT2_EXadL_ZNS_11silu_kernelIfEEfRKT_EELi2EEEvPT0_PS8_PKT1_PS2_il
                                        ; -- End function
	.section	.AMDGPU.csdata,"",@progbits
; Kernel info:
; codeLenInByte = 828
; NumSgprs: 40
; NumVgprs: 16
; NumAgprs: 0
; TotalNumVgprs: 16
; ScratchSize: 0
; MemoryBound: 0
; FloatMode: 240
; IeeeMode: 1
; LDSByteSize: 0 bytes/workgroup (compile time only)
; SGPRBlocks: 4
; VGPRBlocks: 1
; NumSGPRsForWavesPerEU: 40
; NumVGPRsForWavesPerEU: 16
; AccumOffset: 16
; Occupancy: 8
; WaveLimiterHint : 0
; COMPUTE_PGM_RSRC2:SCRATCH_EN: 0
; COMPUTE_PGM_RSRC2:USER_SGPR: 2
; COMPUTE_PGM_RSRC2:TRAP_HANDLER: 0
; COMPUTE_PGM_RSRC2:TGID_X_EN: 1
; COMPUTE_PGM_RSRC2:TGID_Y_EN: 0
; COMPUTE_PGM_RSRC2:TGID_Z_EN: 0
; COMPUTE_PGM_RSRC2:TIDIG_COMP_CNT: 0
; COMPUTE_PGM_RSRC3_GFX90A:ACCUM_OFFSET: 3
; COMPUTE_PGM_RSRC3_GFX90A:TG_SPLIT: 0
	.section	.text._ZN5aiter23act_and_mul_bias_kernelIfflfTnPFfRKT2_EXadL_ZNS_11silu_kernelIfEEfRKT_EELi1EEEvPT0_PS8_PKT1_PS2_il,"axG",@progbits,_ZN5aiter23act_and_mul_bias_kernelIfflfTnPFfRKT2_EXadL_ZNS_11silu_kernelIfEEfRKT_EELi1EEEvPT0_PS8_PKT1_PS2_il,comdat
	.protected	_ZN5aiter23act_and_mul_bias_kernelIfflfTnPFfRKT2_EXadL_ZNS_11silu_kernelIfEEfRKT_EELi1EEEvPT0_PS8_PKT1_PS2_il ; -- Begin function _ZN5aiter23act_and_mul_bias_kernelIfflfTnPFfRKT2_EXadL_ZNS_11silu_kernelIfEEfRKT_EELi1EEEvPT0_PS8_PKT1_PS2_il
	.globl	_ZN5aiter23act_and_mul_bias_kernelIfflfTnPFfRKT2_EXadL_ZNS_11silu_kernelIfEEfRKT_EELi1EEEvPT0_PS8_PKT1_PS2_il
	.p2align	8
	.type	_ZN5aiter23act_and_mul_bias_kernelIfflfTnPFfRKT2_EXadL_ZNS_11silu_kernelIfEEfRKT_EELi1EEEvPT0_PS8_PKT1_PS2_il,@function
_ZN5aiter23act_and_mul_bias_kernelIfflfTnPFfRKT2_EXadL_ZNS_11silu_kernelIfEEfRKT_EELi1EEEvPT0_PS8_PKT1_PS2_il: ; @_ZN5aiter23act_and_mul_bias_kernelIfflfTnPFfRKT2_EXadL_ZNS_11silu_kernelIfEEfRKT_EELi1EEEvPT0_PS8_PKT1_PS2_il
; %bb.0:
	s_load_dword s20, s[0:1], 0x20
	s_load_dwordx2 s[4:5], s[0:1], 0x0
	s_load_dwordx2 s[6:7], s[0:1], 0x10
	;; [unrolled: 1-line block ×3, first 2 shown]
	s_mov_b32 s3, 0
	s_waitcnt lgkmcnt(0)
	s_ashr_i32 s21, s20, 31
	s_lshl_b64 s[8:9], s[2:3], 3
	s_add_u32 s6, s6, s8
	s_addc_u32 s7, s7, s9
	s_load_dwordx2 s[6:7], s[6:7], 0x0
	s_mul_hi_u32 s3, s20, s2
	s_mul_i32 s8, s21, s2
	s_add_i32 s9, s3, s8
	s_mul_i32 s8, s20, s2
	s_lshl_b32 s10, s20, 2
	s_lshl_b64 s[8:9], s[8:9], 2
	s_add_u32 s8, s4, s8
	v_mov_b64_e32 v[2:3], s[14:15]
	s_addc_u32 s3, s5, s9
	s_waitcnt lgkmcnt(0)
	v_cmp_gt_i64_e64 s[4:5], s[6:7], -1
	v_cmp_lt_i64_e32 vcc, s[6:7], v[2:3]
	s_and_b64 s[4:5], s[4:5], vcc
	s_and_b32 s9, s3, 0xffff
	s_mov_b64 s[12:13], -1
	s_and_b64 vcc, exec, s[4:5]
	v_cmp_gt_i32_e64 s[4:5], s20, v0
	s_cbranch_vccnz .LBB204_5
; %bb.1:
	s_and_saveexec_b64 s[12:13], s[4:5]
	s_cbranch_execz .LBB204_4
; %bb.2:
	s_load_dword s3, s[0:1], 0x3c
	v_mov_b32_e32 v1, 0
	s_mov_b32 s5, 0
	v_lshlrev_b32_e32 v4, 2, v0
	s_mov_b64 s[14:15], 0
	s_waitcnt lgkmcnt(0)
	s_and_b32 s4, s3, 0xffff
	s_lshl_b32 s3, s4, 2
	s_mov_b32 s11, 0x20000
	v_mov_b64_e32 v[2:3], v[0:1]
.LBB204_3:                              ; =>This Inner Loop Header: Depth=1
	v_lshl_add_u64 v[2:3], v[2:3], 0, s[4:5]
	v_cmp_le_i64_e32 vcc, s[20:21], v[2:3]
	buffer_store_dword v1, v4, s[8:11], 0 offen
	s_or_b64 s[14:15], vcc, s[14:15]
	v_add_u32_e32 v4, s3, v4
	s_andn2_b64 exec, exec, s[14:15]
	s_cbranch_execnz .LBB204_3
.LBB204_4:
	s_or_b64 exec, exec, s[12:13]
	s_mov_b64 s[12:13], 0
.LBB204_5:
	s_andn2_b64 vcc, exec, s[12:13]
	s_cbranch_vccnz .LBB204_9
; %bb.6:
	v_cmp_gt_i32_e32 vcc, s20, v0
	s_and_saveexec_b64 s[4:5], vcc
	s_cbranch_execz .LBB204_9
; %bb.7:
	s_mul_i32 s3, s20, s7
	s_mul_hi_u32 s4, s20, s6
	s_add_i32 s3, s4, s3
	s_load_dwordx2 s[12:13], s[0:1], 0x8
	s_load_dwordx2 s[4:5], s[0:1], 0x18
	s_mul_i32 s7, s21, s6
	s_add_i32 s7, s3, s7
	s_mul_i32 s6, s20, s6
	s_lshl_b64 s[6:7], s[6:7], 3
	s_load_dword s14, s[0:1], 0x3c
	s_waitcnt lgkmcnt(0)
	s_add_u32 s0, s4, s6
	s_addc_u32 s1, s5, s7
	s_lshl_b64 s[6:7], s[20:21], 2
	s_add_u32 s4, s0, s6
	s_addc_u32 s3, s1, s7
	s_and_b32 s5, s3, 0xffff
	s_mul_i32 s3, s2, s21
	s_mul_hi_u32 s15, s2, s20
	s_add_i32 s3, s15, s3
	s_mul_i32 s2, s2, s20
	s_and_b32 s1, s1, 0xffff
	s_lshl_b64 s[2:3], s[2:3], 3
	s_add_u32 s12, s12, s2
	s_addc_u32 s2, s13, s3
	s_add_u32 s16, s12, s6
	s_mov_b32 s11, 0x20000
	s_addc_u32 s3, s2, s7
	s_and_b32 s22, s14, 0xffff
	s_and_b32 s13, s2, 0xffff
	;; [unrolled: 1-line block ×3, first 2 shown]
	s_mov_b32 s23, 0
	v_mov_b32_e32 v1, 0
	v_lshlrev_b32_e32 v2, 2, v0
	s_lshl_b32 s26, s22, 2
	s_mov_b64 s[24:25], 0
	s_mov_b32 s7, s11
	s_mov_b32 s6, s10
	;; [unrolled: 1-line block ×7, first 2 shown]
	v_mov_b32_e32 v3, 0x7f800000
	s_mov_b32 s18, s10
	s_mov_b32 s19, s11
	;; [unrolled: 1-line block ×4, first 2 shown]
.LBB204_8:                              ; =>This Inner Loop Header: Depth=1
	buffer_load_dword v5, v2, s[12:15], 0 offen
	buffer_load_dword v4, v2, s[16:19], 0 offen
	;; [unrolled: 1-line block ×4, first 2 shown]
	v_lshl_add_u64 v[0:1], v[0:1], 0, s[22:23]
	s_waitcnt vmcnt(0)
	v_pk_add_f32 v[4:5], v[4:5], v[6:7]
	s_nop 0
	v_mul_f32_e32 v6, 0xbfb8aa3b, v5
	v_fma_f32 v7, v5, s27, -v6
	v_rndne_f32_e32 v8, v6
	v_fmac_f32_e32 v7, 0xb2a5705f, v5
	v_sub_f32_e32 v6, v6, v8
	v_add_f32_e32 v6, v6, v7
	v_cvt_i32_f32_e32 v8, v8
	v_exp_f32_e32 v6, v6
	v_cmp_nlt_f32_e32 vcc, s28, v5
	v_ldexp_f32 v6, v6, v8
	s_nop 0
	v_cndmask_b32_e32 v6, 0, v6, vcc
	v_cmp_ngt_f32_e32 vcc, s29, v5
	s_nop 1
	v_cndmask_b32_e32 v6, v3, v6, vcc
	v_add_f32_e32 v6, 1.0, v6
	v_rcp_f32_e32 v6, v6
	v_cmp_le_i64_e32 vcc, s[20:21], v[0:1]
	s_or_b64 s[24:25], vcc, s[24:25]
	v_mul_f32_e32 v5, v5, v6
	v_mul_f32_e32 v4, v4, v5
	buffer_store_dword v4, v2, s[8:11], 0 offen
	v_add_u32_e32 v2, s26, v2
	s_andn2_b64 exec, exec, s[24:25]
	s_cbranch_execnz .LBB204_8
.LBB204_9:
	s_endpgm
	.section	.rodata,"a",@progbits
	.p2align	6, 0x0
	.amdhsa_kernel _ZN5aiter23act_and_mul_bias_kernelIfflfTnPFfRKT2_EXadL_ZNS_11silu_kernelIfEEfRKT_EELi1EEEvPT0_PS8_PKT1_PS2_il
		.amdhsa_group_segment_fixed_size 0
		.amdhsa_private_segment_fixed_size 0
		.amdhsa_kernarg_size 304
		.amdhsa_user_sgpr_count 2
		.amdhsa_user_sgpr_dispatch_ptr 0
		.amdhsa_user_sgpr_queue_ptr 0
		.amdhsa_user_sgpr_kernarg_segment_ptr 1
		.amdhsa_user_sgpr_dispatch_id 0
		.amdhsa_user_sgpr_kernarg_preload_length 0
		.amdhsa_user_sgpr_kernarg_preload_offset 0
		.amdhsa_user_sgpr_private_segment_size 0
		.amdhsa_uses_dynamic_stack 0
		.amdhsa_enable_private_segment 0
		.amdhsa_system_sgpr_workgroup_id_x 1
		.amdhsa_system_sgpr_workgroup_id_y 0
		.amdhsa_system_sgpr_workgroup_id_z 0
		.amdhsa_system_sgpr_workgroup_info 0
		.amdhsa_system_vgpr_workitem_id 0
		.amdhsa_next_free_vgpr 9
		.amdhsa_next_free_sgpr 30
		.amdhsa_accum_offset 12
		.amdhsa_reserve_vcc 1
		.amdhsa_float_round_mode_32 0
		.amdhsa_float_round_mode_16_64 0
		.amdhsa_float_denorm_mode_32 3
		.amdhsa_float_denorm_mode_16_64 3
		.amdhsa_dx10_clamp 1
		.amdhsa_ieee_mode 1
		.amdhsa_fp16_overflow 0
		.amdhsa_tg_split 0
		.amdhsa_exception_fp_ieee_invalid_op 0
		.amdhsa_exception_fp_denorm_src 0
		.amdhsa_exception_fp_ieee_div_zero 0
		.amdhsa_exception_fp_ieee_overflow 0
		.amdhsa_exception_fp_ieee_underflow 0
		.amdhsa_exception_fp_ieee_inexact 0
		.amdhsa_exception_int_div_zero 0
	.end_amdhsa_kernel
	.section	.text._ZN5aiter23act_and_mul_bias_kernelIfflfTnPFfRKT2_EXadL_ZNS_11silu_kernelIfEEfRKT_EELi1EEEvPT0_PS8_PKT1_PS2_il,"axG",@progbits,_ZN5aiter23act_and_mul_bias_kernelIfflfTnPFfRKT2_EXadL_ZNS_11silu_kernelIfEEfRKT_EELi1EEEvPT0_PS8_PKT1_PS2_il,comdat
.Lfunc_end204:
	.size	_ZN5aiter23act_and_mul_bias_kernelIfflfTnPFfRKT2_EXadL_ZNS_11silu_kernelIfEEfRKT_EELi1EEEvPT0_PS8_PKT1_PS2_il, .Lfunc_end204-_ZN5aiter23act_and_mul_bias_kernelIfflfTnPFfRKT2_EXadL_ZNS_11silu_kernelIfEEfRKT_EELi1EEEvPT0_PS8_PKT1_PS2_il
                                        ; -- End function
	.section	.AMDGPU.csdata,"",@progbits
; Kernel info:
; codeLenInByte = 696
; NumSgprs: 36
; NumVgprs: 9
; NumAgprs: 0
; TotalNumVgprs: 9
; ScratchSize: 0
; MemoryBound: 0
; FloatMode: 240
; IeeeMode: 1
; LDSByteSize: 0 bytes/workgroup (compile time only)
; SGPRBlocks: 4
; VGPRBlocks: 1
; NumSGPRsForWavesPerEU: 36
; NumVGPRsForWavesPerEU: 9
; AccumOffset: 12
; Occupancy: 8
; WaveLimiterHint : 0
; COMPUTE_PGM_RSRC2:SCRATCH_EN: 0
; COMPUTE_PGM_RSRC2:USER_SGPR: 2
; COMPUTE_PGM_RSRC2:TRAP_HANDLER: 0
; COMPUTE_PGM_RSRC2:TGID_X_EN: 1
; COMPUTE_PGM_RSRC2:TGID_Y_EN: 0
; COMPUTE_PGM_RSRC2:TGID_Z_EN: 0
; COMPUTE_PGM_RSRC2:TIDIG_COMP_CNT: 0
; COMPUTE_PGM_RSRC3_GFX90A:ACCUM_OFFSET: 2
; COMPUTE_PGM_RSRC3_GFX90A:TG_SPLIT: 0
	.section	.text._ZN5aiter23act_and_mul_bias_kernelIDF16_DF16_lfTnPFfRKT2_EXadL_ZNS_11silu_kernelIfEEfRKT_EELi32EEEvPT0_PS8_PKT1_PS2_il,"axG",@progbits,_ZN5aiter23act_and_mul_bias_kernelIDF16_DF16_lfTnPFfRKT2_EXadL_ZNS_11silu_kernelIfEEfRKT_EELi32EEEvPT0_PS8_PKT1_PS2_il,comdat
	.protected	_ZN5aiter23act_and_mul_bias_kernelIDF16_DF16_lfTnPFfRKT2_EXadL_ZNS_11silu_kernelIfEEfRKT_EELi32EEEvPT0_PS8_PKT1_PS2_il ; -- Begin function _ZN5aiter23act_and_mul_bias_kernelIDF16_DF16_lfTnPFfRKT2_EXadL_ZNS_11silu_kernelIfEEfRKT_EELi32EEEvPT0_PS8_PKT1_PS2_il
	.globl	_ZN5aiter23act_and_mul_bias_kernelIDF16_DF16_lfTnPFfRKT2_EXadL_ZNS_11silu_kernelIfEEfRKT_EELi32EEEvPT0_PS8_PKT1_PS2_il
	.p2align	8
	.type	_ZN5aiter23act_and_mul_bias_kernelIDF16_DF16_lfTnPFfRKT2_EXadL_ZNS_11silu_kernelIfEEfRKT_EELi32EEEvPT0_PS8_PKT1_PS2_il,@function
_ZN5aiter23act_and_mul_bias_kernelIDF16_DF16_lfTnPFfRKT2_EXadL_ZNS_11silu_kernelIfEEfRKT_EELi32EEEvPT0_PS8_PKT1_PS2_il: ; @_ZN5aiter23act_and_mul_bias_kernelIDF16_DF16_lfTnPFfRKT2_EXadL_ZNS_11silu_kernelIfEEfRKT_EELi32EEEvPT0_PS8_PKT1_PS2_il
; %bb.0:
	s_load_dword s6, s[0:1], 0x20
	s_load_dwordx2 s[8:9], s[0:1], 0x0
	s_load_dwordx2 s[4:5], s[0:1], 0x10
	;; [unrolled: 1-line block ×3, first 2 shown]
	s_mov_b32 s3, 0
	s_waitcnt lgkmcnt(0)
	s_ashr_i32 s7, s6, 31
	s_lshl_b64 s[10:11], s[2:3], 3
	s_add_u32 s4, s4, s10
	s_addc_u32 s5, s5, s11
	s_add_i32 s3, s6, 1
	s_lshr_b32 s10, s3, 31
	s_load_dwordx2 s[4:5], s[4:5], 0x0
	s_add_i32 s3, s3, s10
	s_lshl_b32 s3, s3, 1
	s_and_b32 s10, s3, -4
	s_mul_hi_u32 s3, s6, s2
	s_mul_i32 s11, s7, s2
	s_add_i32 s13, s3, s11
	s_mul_i32 s12, s6, s2
	s_lshl_b64 s[12:13], s[12:13], 1
	v_mov_b64_e32 v[2:3], s[14:15]
	s_add_u32 s8, s8, s12
	s_waitcnt lgkmcnt(0)
	v_cmp_gt_i64_e64 s[16:17], s[4:5], -1
	v_cmp_lt_i64_e32 vcc, s[4:5], v[2:3]
	s_addc_u32 s3, s9, s13
	s_and_b64 s[14:15], s[16:17], vcc
	s_and_b32 s9, s3, 0xffff
	s_mov_b64 s[12:13], -1
	s_and_b64 vcc, exec, s[14:15]
	v_lshlrev_b32_e32 v4, 5, v0
	s_cbranch_vccnz .LBB205_5
; %bb.1:
	v_cmp_gt_i32_e32 vcc, s6, v4
	s_and_saveexec_b64 s[12:13], vcc
	s_cbranch_execz .LBB205_4
; %bb.2:
	s_load_dword s3, s[0:1], 0x3c
	s_mov_b32 s15, 0
	s_mov_b32 s20, s15
	;; [unrolled: 1-line block ×3, first 2 shown]
	v_mov_b32_e32 v5, 0
	v_lshlrev_b32_e32 v8, 6, v0
	s_waitcnt lgkmcnt(0)
	s_and_b32 s3, s3, 0xffff
	s_mov_b32 s22, s15
	s_mov_b32 s23, s15
	v_mov_b64_e32 v[0:1], s[20:21]
	s_lshl_b32 s14, s3, 5
	s_lshl_b32 s3, s3, 6
	s_mov_b64 s[16:17], 0
	s_mov_b32 s11, 0x20000
	v_mov_b64_e32 v[2:3], s[22:23]
	v_mov_b64_e32 v[6:7], v[4:5]
.LBB205_3:                              ; =>This Inner Loop Header: Depth=1
	v_lshl_add_u64 v[6:7], s[14:15], 0, v[6:7]
	v_cmp_le_i64_e32 vcc, s[6:7], v[6:7]
	buffer_store_dwordx4 v[0:3], v8, s[8:11], 0 offen
	buffer_store_dwordx4 v[0:3], v8, s[8:11], 16 offen
	buffer_store_dwordx4 v[0:3], v8, s[8:11], 32 offen
	buffer_store_dwordx4 v[0:3], v8, s[8:11], 48 offen
	s_or_b64 s[16:17], vcc, s[16:17]
	v_add_u32_e32 v8, s3, v8
	s_andn2_b64 exec, exec, s[16:17]
	s_cbranch_execnz .LBB205_3
.LBB205_4:
	s_or_b64 exec, exec, s[12:13]
	s_mov_b64 s[12:13], 0
.LBB205_5:
	s_andn2_b64 vcc, exec, s[12:13]
	s_cbranch_vccnz .LBB205_9
; %bb.6:
	v_cmp_gt_i32_e32 vcc, s6, v4
	s_and_saveexec_b64 s[12:13], vcc
	s_cbranch_execz .LBB205_9
; %bb.7:
	s_load_dwordx2 s[18:19], s[0:1], 0x8
	s_load_dwordx2 s[12:13], s[0:1], 0x18
	s_mul_i32 s3, s6, s5
	s_mul_hi_u32 s5, s6, s4
	s_add_i32 s3, s5, s3
	s_mul_i32 s5, s7, s4
	s_add_i32 s5, s3, s5
	s_mul_i32 s4, s6, s4
	s_lshl_b64 s[4:5], s[4:5], 3
	s_waitcnt lgkmcnt(0)
	s_add_u32 s12, s12, s4
	s_addc_u32 s3, s13, s5
	s_lshl_b64 s[4:5], s[6:7], 2
	s_add_u32 s16, s12, s4
	s_addc_u32 s4, s3, s5
	s_and_b32 s13, s3, 0xffff
	s_and_b32 s17, s4, 0xffff
	s_mul_i32 s3, s2, s7
	s_mul_hi_u32 s4, s2, s6
	s_add_i32 s3, s4, s3
	s_mul_i32 s2, s2, s6
	s_lshl_b32 s14, s6, 2
	s_lshl_b64 s[2:3], s[2:3], 2
	s_add_u32 s20, s18, s2
	s_addc_u32 s4, s19, s3
	s_lshl_b64 s[2:3], s[6:7], 1
	s_add_u32 s24, s20, s2
	s_addc_u32 s2, s4, s3
	s_and_b32 s21, s4, 0xffff
	s_and_b32 s25, s2, 0xffff
	s_mov_b32 s11, 0x20000
	s_add_u32 s28, s0, 48
	s_mov_b32 s15, s11
	v_mov_b32_e32 v5, 0
	s_addc_u32 s29, s1, 0
	s_mov_b64 s[30:31], 0
	s_mov_b32 s35, 0
	s_movk_i32 s33, 0x50
	s_movk_i32 s36, 0x60
	;; [unrolled: 1-line block ×3, first 2 shown]
	s_mov_b32 s38, 0xbfb8aa3b
	s_mov_b32 s39, 0x42ce8ed0
	;; [unrolled: 1-line block ×3, first 2 shown]
	v_mov_b32_e32 v76, 0x7f800000
	s_mov_b32 s22, s10
	s_mov_b32 s23, s11
	;; [unrolled: 1-line block ×4, first 2 shown]
.LBB205_8:                              ; =>This Inner Loop Header: Depth=1
	v_lshlrev_b32_e32 v77, 1, v4
	buffer_load_dwordx4 v[6:9], v77, s[24:27], 0 offen
	buffer_load_dwordx4 v[10:13], v77, s[20:23], 0 offen
	;; [unrolled: 1-line block ×8, first 2 shown]
	s_mov_b32 s18, s14
	s_mov_b32 s19, s15
	v_lshlrev_b32_e32 v82, 2, v4
	buffer_load_dwordx4 v[78:81], v82, s[16:19], 64 offen
	s_waitcnt vmcnt(8)
	v_cvt_f32_f16_e32 v0, v6
	v_cvt_f32_f16_sdwa v1, v6 dst_sel:DWORD dst_unused:UNUSED_PAD src0_sel:WORD_1
	v_cvt_f32_f16_e32 v2, v7
	v_cvt_f32_f16_sdwa v3, v7 dst_sel:DWORD dst_unused:UNUSED_PAD src0_sel:WORD_1
	s_waitcnt vmcnt(7)
	v_cvt_f32_f16_e32 v62, v10
	v_cvt_f32_f16_sdwa v63, v10 dst_sel:DWORD dst_unused:UNUSED_PAD src0_sel:WORD_1
	v_cvt_f32_f16_e32 v64, v11
	s_waitcnt vmcnt(1)
	v_cvt_f32_f16_e32 v42, v66
	v_cvt_f32_f16_sdwa v43, v66 dst_sel:DWORD dst_unused:UNUSED_PAD src0_sel:WORD_1
	v_cvt_f32_f16_e32 v44, v67
	v_cvt_f32_f16_sdwa v45, v67 dst_sel:DWORD dst_unused:UNUSED_PAD src0_sel:WORD_1
	;; [unrolled: 2-line block ×4, first 2 shown]
	buffer_load_dwordx4 v[66:69], v82, s[16:19], 0 offen
	v_cvt_f32_f16_sdwa v65, v11 dst_sel:DWORD dst_unused:UNUSED_PAD src0_sel:WORD_1
	v_cvt_f32_f16_e32 v6, v8
	v_cvt_f32_f16_sdwa v7, v8 dst_sel:DWORD dst_unused:UNUSED_PAD src0_sel:WORD_1
	v_cvt_f32_f16_e32 v8, v9
	;; [unrolled: 2-line block ×24, first 2 shown]
	v_cvt_f32_f16_sdwa v33, v33 dst_sel:DWORD dst_unused:UNUSED_PAD src0_sel:WORD_1
	s_waitcnt vmcnt(0)
	v_pk_add_f32 v[0:1], v[66:67], v[0:1]
	v_pk_add_f32 v[2:3], v[68:69], v[2:3]
	buffer_load_dwordx4 v[66:69], v82, s[12:15], 0 offen
	s_waitcnt vmcnt(0)
	v_pk_add_f32 v[74:75], v[66:67], v[62:63]
	v_pk_add_f32 v[72:73], v[68:69], v[64:65]
	buffer_load_dwordx4 v[62:65], v82, s[16:19], 16 offen
	v_cmp_nlt_f32_e32 vcc, s39, v75
	v_cmp_nlt_f32_e64 s[0:1], s39, v74
	v_cmp_ngt_f32_e64 s[2:3], s40, v75
	v_cmp_ngt_f32_e64 s[4:5], s40, v74
	s_waitcnt vmcnt(0)
	v_pk_add_f32 v[6:7], v[62:63], v[6:7]
	v_pk_add_f32 v[8:9], v[64:65], v[8:9]
	buffer_load_dwordx4 v[62:65], v82, s[12:15], 16 offen
	s_waitcnt vmcnt(0)
	v_pk_add_f32 v[70:71], v[62:63], v[10:11]
	v_pk_add_f32 v[68:69], v[64:65], v[56:57]
	buffer_load_dwordx4 v[62:65], v82, s[16:19], 32 offen
	;; [unrolled: 4-line block ×4, first 2 shown]
	s_waitcnt vmcnt(0)
	v_pk_add_f32 v[16:17], v[58:59], v[16:17]
	buffer_load_dwordx4 v[58:61], v82, s[12:15], 48 offen
	v_pk_add_f32 v[14:15], v[56:57], v[14:15]
	s_waitcnt vmcnt(0)
	v_pk_add_f32 v[58:59], v[58:59], v[18:19]
	v_pk_add_f32 v[62:63], v[60:61], v[46:47]
	v_pk_add_f32 v[18:19], v[78:79], v[20:21]
	v_pk_add_f32 v[20:21], v[80:81], v[48:49]
	buffer_load_dwordx4 v[46:49], v82, s[12:15], 64 offen
	s_waitcnt vmcnt(0)
	v_pk_add_f32 v[64:65], v[46:47], v[50:51]
	v_pk_add_f32 v[60:61], v[48:49], v[52:53]
	buffer_load_dwordx4 v[46:49], v82, s[16:19], s33 offen
	s_waitcnt vmcnt(0)
	v_pk_add_f32 v[22:23], v[46:47], v[22:23]
	v_pk_add_f32 v[24:25], v[48:49], v[24:25]
	;; [unrolled: 4-line block ×5, first 2 shown]
	buffer_load_dwordx4 v[38:41], v82, s[16:19], s37 offen
	buffer_load_dwordx4 v[44:47], v82, s[12:15], s37 offen
	s_waitcnt vmcnt(1)
	v_pk_add_f32 v[32:33], v[40:41], v[32:33]
	s_waitcnt vmcnt(0)
	v_pk_add_f32 v[40:41], v[44:45], v[36:37]
	v_mul_f32_e32 v36, 0xbfb8aa3b, v74
	v_pk_add_f32 v[30:31], v[38:39], v[30:31]
	v_fma_f32 v37, v74, s38, -v36
	v_rndne_f32_e32 v38, v36
	v_fmac_f32_e32 v37, 0xb2a5705f, v74
	v_sub_f32_e32 v36, v36, v38
	v_add_f32_e32 v36, v36, v37
	v_mul_f32_e32 v37, 0xbfb8aa3b, v75
	v_cvt_i32_f32_e32 v38, v38
	v_exp_f32_e32 v36, v36
	v_fma_f32 v39, v75, s38, -v37
	v_rndne_f32_e32 v44, v37
	v_fmac_f32_e32 v39, 0xb2a5705f, v75
	v_sub_f32_e32 v37, v37, v44
	v_add_f32_e32 v37, v37, v39
	v_ldexp_f32 v36, v36, v38
	v_cvt_i32_f32_e32 v38, v44
	v_exp_f32_e32 v37, v37
	v_pk_add_f32 v[34:35], v[46:47], v[34:35]
	v_cndmask_b32_e64 v36, 0, v36, s[0:1]
	v_cmp_nlt_f32_e64 s[0:1], s39, v72
	v_ldexp_f32 v37, v37, v38
	v_mul_f32_e32 v38, 0xbfb8aa3b, v72
	v_fma_f32 v39, v72, s38, -v38
	v_rndne_f32_e32 v44, v38
	v_fmac_f32_e32 v39, 0xb2a5705f, v72
	v_sub_f32_e32 v38, v38, v44
	v_add_f32_e32 v38, v38, v39
	v_mul_f32_e32 v39, 0xbfb8aa3b, v73
	v_cvt_i32_f32_e32 v44, v44
	v_exp_f32_e32 v38, v38
	v_fma_f32 v45, v73, s38, -v39
	v_rndne_f32_e32 v46, v39
	v_fmac_f32_e32 v45, 0xb2a5705f, v73
	v_sub_f32_e32 v39, v39, v46
	v_add_f32_e32 v39, v39, v45
	v_ldexp_f32 v38, v38, v44
	v_cvt_i32_f32_e32 v44, v46
	v_exp_f32_e32 v39, v39
	v_cndmask_b32_e32 v37, 0, v37, vcc
	v_cmp_nlt_f32_e32 vcc, s39, v73
	v_cndmask_b32_e64 v36, v76, v36, s[4:5]
	v_ldexp_f32 v39, v39, v44
	v_mul_f32_e32 v44, 0xbfb8aa3b, v70
	v_fma_f32 v45, v70, s38, -v44
	v_rndne_f32_e32 v46, v44
	v_fmac_f32_e32 v45, 0xb2a5705f, v70
	v_sub_f32_e32 v44, v44, v46
	v_add_f32_e32 v44, v44, v45
	v_mul_f32_e32 v45, 0xbfb8aa3b, v71
	v_cvt_i32_f32_e32 v46, v46
	v_exp_f32_e32 v44, v44
	v_fma_f32 v47, v71, s38, -v45
	v_rndne_f32_e32 v50, v45
	v_fmac_f32_e32 v47, 0xb2a5705f, v71
	v_sub_f32_e32 v45, v45, v50
	v_add_f32_e32 v45, v45, v47
	v_ldexp_f32 v44, v44, v46
	v_cvt_i32_f32_e32 v46, v50
	v_exp_f32_e32 v45, v45
	v_cndmask_b32_e64 v37, v76, v37, s[2:3]
	v_cmp_ngt_f32_e64 s[2:3], s40, v73
	v_cmp_ngt_f32_e64 s[4:5], s40, v72
	v_cndmask_b32_e64 v38, 0, v38, s[0:1]
	v_cndmask_b32_e32 v39, 0, v39, vcc
	v_ldexp_f32 v45, v45, v46
	v_cmp_nlt_f32_e32 vcc, s39, v71
	v_cmp_nlt_f32_e64 s[0:1], s39, v70
	v_cndmask_b32_e64 v38, v76, v38, s[4:5]
	v_cndmask_b32_e64 v39, v76, v39, s[2:3]
	v_cmp_ngt_f32_e64 s[2:3], s40, v71
	v_cmp_ngt_f32_e64 s[4:5], s40, v70
	v_cndmask_b32_e64 v44, 0, v44, s[0:1]
	v_cndmask_b32_e32 v45, 0, v45, vcc
	v_cndmask_b32_e64 v44, v76, v44, s[4:5]
	v_cndmask_b32_e64 v45, v76, v45, s[2:3]
	v_add_f32_e32 v44, 1.0, v44
	v_add_f32_e32 v45, 1.0, v45
	v_mul_f32_e32 v46, 0xbfb8aa3b, v68
	v_rcp_f32_e32 v44, v44
	v_rcp_f32_e32 v45, v45
	v_fma_f32 v47, v68, s38, -v46
	v_rndne_f32_e32 v50, v46
	v_fmac_f32_e32 v47, 0xb2a5705f, v68
	v_sub_f32_e32 v46, v46, v50
	v_add_f32_e32 v46, v46, v47
	v_mul_f32_e32 v47, 0xbfb8aa3b, v69
	v_cvt_i32_f32_e32 v50, v50
	v_exp_f32_e32 v46, v46
	v_pk_mul_f32 v[44:45], v[70:71], v[44:45]
	v_fma_f32 v51, v69, s38, -v47
	v_rndne_f32_e32 v70, v47
	v_fmac_f32_e32 v51, 0xb2a5705f, v69
	v_sub_f32_e32 v47, v47, v70
	v_add_f32_e32 v47, v47, v51
	v_ldexp_f32 v46, v46, v50
	v_cvt_i32_f32_e32 v50, v70
	v_exp_f32_e32 v47, v47
	v_cmp_nlt_f32_e32 vcc, s39, v69
	v_cmp_nlt_f32_e64 s[0:1], s39, v68
	v_cmp_ngt_f32_e64 s[2:3], s40, v69
	v_ldexp_f32 v47, v47, v50
	v_cmp_ngt_f32_e64 s[4:5], s40, v68
	v_cndmask_b32_e64 v46, 0, v46, s[0:1]
	v_cndmask_b32_e32 v47, 0, v47, vcc
	v_cndmask_b32_e64 v46, v76, v46, s[4:5]
	v_cndmask_b32_e64 v47, v76, v47, s[2:3]
	v_add_f32_e32 v46, 1.0, v46
	v_add_f32_e32 v47, 1.0, v47
	v_rcp_f32_e32 v46, v46
	v_rcp_f32_e32 v47, v47
	v_mul_f32_e32 v50, 0xbfb8aa3b, v66
	v_fma_f32 v51, v66, s38, -v50
	v_fmac_f32_e32 v51, 0xb2a5705f, v66
	v_pk_mul_f32 v[46:47], v[68:69], v[46:47]
	v_rndne_f32_e32 v68, v50
	v_sub_f32_e32 v50, v50, v68
	v_add_f32_e32 v50, v50, v51
	v_mul_f32_e32 v51, 0xbfb8aa3b, v67
	v_cvt_i32_f32_e32 v68, v68
	v_exp_f32_e32 v50, v50
	v_fma_f32 v69, v67, s38, -v51
	v_rndne_f32_e32 v70, v51
	v_fmac_f32_e32 v69, 0xb2a5705f, v67
	v_sub_f32_e32 v51, v51, v70
	v_add_f32_e32 v51, v51, v69
	v_ldexp_f32 v50, v50, v68
	v_cvt_i32_f32_e32 v68, v70
	v_exp_f32_e32 v51, v51
	v_cmp_nlt_f32_e32 vcc, s39, v67
	v_cmp_nlt_f32_e64 s[0:1], s39, v66
	v_cmp_ngt_f32_e64 s[2:3], s40, v67
	v_ldexp_f32 v51, v51, v68
	v_cmp_ngt_f32_e64 s[4:5], s40, v66
	v_cndmask_b32_e64 v50, 0, v50, s[0:1]
	v_cndmask_b32_e32 v51, 0, v51, vcc
	v_cndmask_b32_e64 v50, v76, v50, s[4:5]
	v_cndmask_b32_e64 v51, v76, v51, s[2:3]
	v_add_f32_e32 v50, 1.0, v50
	v_add_f32_e32 v51, 1.0, v51
	v_rcp_f32_e32 v50, v50
	v_rcp_f32_e32 v51, v51
	v_cmp_nlt_f32_e32 vcc, s39, v55
	v_cmp_nlt_f32_e64 s[0:1], s39, v54
	v_cmp_ngt_f32_e64 s[2:3], s40, v55
	v_pk_mul_f32 v[50:51], v[66:67], v[50:51]
	v_mul_f32_e32 v66, 0xbfb8aa3b, v54
	v_fma_f32 v67, v54, s38, -v66
	v_rndne_f32_e32 v68, v66
	v_fmac_f32_e32 v67, 0xb2a5705f, v54
	v_sub_f32_e32 v66, v66, v68
	v_add_f32_e32 v66, v66, v67
	v_mul_f32_e32 v67, 0xbfb8aa3b, v55
	v_cvt_i32_f32_e32 v68, v68
	v_exp_f32_e32 v66, v66
	v_fma_f32 v69, v55, s38, -v67
	v_rndne_f32_e32 v70, v67
	v_fmac_f32_e32 v69, 0xb2a5705f, v55
	v_sub_f32_e32 v67, v67, v70
	v_add_f32_e32 v67, v67, v69
	v_ldexp_f32 v66, v66, v68
	v_cvt_i32_f32_e32 v68, v70
	v_exp_f32_e32 v67, v67
	v_cmp_ngt_f32_e64 s[4:5], s40, v54
	v_cndmask_b32_e64 v66, 0, v66, s[0:1]
	v_cmp_nlt_f32_e64 s[0:1], s39, v58
	v_ldexp_f32 v67, v67, v68
	v_cndmask_b32_e32 v67, 0, v67, vcc
	v_cndmask_b32_e64 v66, v76, v66, s[4:5]
	v_cndmask_b32_e64 v67, v76, v67, s[2:3]
	v_add_f32_e32 v66, 1.0, v66
	v_add_f32_e32 v67, 1.0, v67
	v_rcp_f32_e32 v66, v66
	v_rcp_f32_e32 v67, v67
	v_cmp_nlt_f32_e32 vcc, s39, v59
	v_cmp_ngt_f32_e64 s[2:3], s40, v59
	v_cmp_ngt_f32_e64 s[4:5], s40, v58
	v_pk_mul_f32 v[54:55], v[54:55], v[66:67]
	v_mul_f32_e32 v66, 0xbfb8aa3b, v58
	v_fma_f32 v67, v58, s38, -v66
	v_rndne_f32_e32 v68, v66
	v_fmac_f32_e32 v67, 0xb2a5705f, v58
	v_sub_f32_e32 v66, v66, v68
	v_add_f32_e32 v66, v66, v67
	v_mul_f32_e32 v67, 0xbfb8aa3b, v59
	v_cvt_i32_f32_e32 v68, v68
	v_exp_f32_e32 v66, v66
	v_fma_f32 v69, v59, s38, -v67
	v_rndne_f32_e32 v70, v67
	v_fmac_f32_e32 v69, 0xb2a5705f, v59
	v_sub_f32_e32 v67, v67, v70
	v_add_f32_e32 v67, v67, v69
	v_ldexp_f32 v66, v66, v68
	v_cvt_i32_f32_e32 v68, v70
	v_exp_f32_e32 v67, v67
	v_cndmask_b32_e64 v66, 0, v66, s[0:1]
	v_cndmask_b32_e64 v66, v76, v66, s[4:5]
	v_add_f32_e32 v66, 1.0, v66
	v_ldexp_f32 v67, v67, v68
	v_cndmask_b32_e32 v67, 0, v67, vcc
	v_cndmask_b32_e64 v67, v76, v67, s[2:3]
	v_add_f32_e32 v67, 1.0, v67
	v_rcp_f32_e32 v66, v66
	v_rcp_f32_e32 v67, v67
	v_cmp_nlt_f32_e32 vcc, s39, v63
	v_cmp_nlt_f32_e64 s[0:1], s39, v62
	v_cmp_ngt_f32_e64 s[2:3], s40, v63
	v_pk_mul_f32 v[58:59], v[58:59], v[66:67]
	v_mul_f32_e32 v66, 0xbfb8aa3b, v62
	v_fma_f32 v67, v62, s38, -v66
	v_rndne_f32_e32 v68, v66
	v_fmac_f32_e32 v67, 0xb2a5705f, v62
	v_sub_f32_e32 v66, v66, v68
	v_add_f32_e32 v66, v66, v67
	v_mul_f32_e32 v67, 0xbfb8aa3b, v63
	v_cvt_i32_f32_e32 v68, v68
	v_exp_f32_e32 v66, v66
	v_fma_f32 v69, v63, s38, -v67
	v_rndne_f32_e32 v70, v67
	v_fmac_f32_e32 v69, 0xb2a5705f, v63
	v_sub_f32_e32 v67, v67, v70
	v_add_f32_e32 v67, v67, v69
	v_ldexp_f32 v66, v66, v68
	v_cvt_i32_f32_e32 v68, v70
	v_exp_f32_e32 v67, v67
	v_cmp_ngt_f32_e64 s[4:5], s40, v62
	v_cndmask_b32_e64 v66, 0, v66, s[0:1]
	v_cmp_nlt_f32_e64 s[0:1], s39, v64
	v_ldexp_f32 v67, v67, v68
	v_cndmask_b32_e32 v67, 0, v67, vcc
	v_cndmask_b32_e64 v66, v76, v66, s[4:5]
	v_cndmask_b32_e64 v67, v76, v67, s[2:3]
	v_add_f32_e32 v66, 1.0, v66
	v_add_f32_e32 v67, 1.0, v67
	v_rcp_f32_e32 v66, v66
	v_rcp_f32_e32 v67, v67
	v_cmp_nlt_f32_e32 vcc, s39, v65
	v_cmp_ngt_f32_e64 s[2:3], s40, v65
	v_cmp_ngt_f32_e64 s[4:5], s40, v64
	v_pk_mul_f32 v[62:63], v[62:63], v[66:67]
	v_mul_f32_e32 v66, 0xbfb8aa3b, v64
	v_fma_f32 v67, v64, s38, -v66
	v_rndne_f32_e32 v68, v66
	v_fmac_f32_e32 v67, 0xb2a5705f, v64
	v_sub_f32_e32 v66, v66, v68
	v_add_f32_e32 v66, v66, v67
	v_mul_f32_e32 v67, 0xbfb8aa3b, v65
	v_cvt_i32_f32_e32 v68, v68
	v_exp_f32_e32 v66, v66
	v_fma_f32 v69, v65, s38, -v67
	v_rndne_f32_e32 v70, v67
	v_fmac_f32_e32 v69, 0xb2a5705f, v65
	v_sub_f32_e32 v67, v67, v70
	v_add_f32_e32 v67, v67, v69
	v_ldexp_f32 v66, v66, v68
	v_cvt_i32_f32_e32 v68, v70
	v_exp_f32_e32 v67, v67
	v_cndmask_b32_e64 v66, 0, v66, s[0:1]
	v_cndmask_b32_e64 v66, v76, v66, s[4:5]
	v_add_f32_e32 v66, 1.0, v66
	v_ldexp_f32 v67, v67, v68
	v_cndmask_b32_e32 v67, 0, v67, vcc
	v_cndmask_b32_e64 v67, v76, v67, s[2:3]
	;; [unrolled: 62-line block ×5, first 2 shown]
	v_add_f32_e32 v67, 1.0, v67
	v_rcp_f32_e32 v66, v66
	v_rcp_f32_e32 v67, v67
	v_cmp_nlt_f32_e32 vcc, s39, v35
	v_cmp_nlt_f32_e64 s[0:1], s39, v34
	v_cmp_ngt_f32_e64 s[2:3], s40, v35
	v_pk_mul_f32 v[40:41], v[40:41], v[66:67]
	v_mul_f32_e32 v66, 0xbfb8aa3b, v34
	v_fma_f32 v67, v34, s38, -v66
	v_rndne_f32_e32 v68, v66
	v_fmac_f32_e32 v67, 0xb2a5705f, v34
	v_sub_f32_e32 v66, v66, v68
	v_add_f32_e32 v66, v66, v67
	v_mul_f32_e32 v67, 0xbfb8aa3b, v35
	v_cvt_i32_f32_e32 v68, v68
	v_exp_f32_e32 v66, v66
	v_fma_f32 v69, v35, s38, -v67
	v_rndne_f32_e32 v70, v67
	v_fmac_f32_e32 v69, 0xb2a5705f, v35
	v_sub_f32_e32 v67, v67, v70
	v_add_f32_e32 v67, v67, v69
	v_ldexp_f32 v66, v66, v68
	v_cvt_i32_f32_e32 v68, v70
	v_exp_f32_e32 v67, v67
	v_cmp_ngt_f32_e64 s[4:5], s40, v34
	v_cndmask_b32_e64 v66, 0, v66, s[0:1]
	v_add_f32_e32 v36, 1.0, v36
	v_ldexp_f32 v67, v67, v68
	v_cndmask_b32_e32 v67, 0, v67, vcc
	v_cndmask_b32_e64 v66, v76, v66, s[4:5]
	v_cndmask_b32_e64 v67, v76, v67, s[2:3]
	v_add_f32_e32 v37, 1.0, v37
	v_add_f32_e32 v38, 1.0, v38
	;; [unrolled: 1-line block ×5, first 2 shown]
	v_rcp_f32_e32 v36, v36
	v_rcp_f32_e32 v37, v37
	;; [unrolled: 1-line block ×6, first 2 shown]
	v_pk_mul_f32 v[36:37], v[74:75], v[36:37]
	v_pk_mul_f32 v[38:39], v[72:73], v[38:39]
	;;#ASMSTART
	v_pk_mul_f32 v[0:1], v[36:37], v[0:1]
	;;#ASMEND
	v_pk_mul_f32 v[34:35], v[34:35], v[66:67]
	;;#ASMSTART
	v_pk_mul_f32 v[2:3], v[38:39], v[2:3]
	;;#ASMEND
	;;#ASMSTART
	v_pk_mul_f32 v[6:7], v[44:45], v[6:7]
	;;#ASMEND
	;; [unrolled: 3-line block ×14, first 2 shown]
	s_nop 0
	;;#ASMSTART
	v_pk_mul_f32 v[32:33], v[34:35], v[32:33]
	;;#ASMEND
	s_load_dword s0, s[28:29], 0xc
	v_cvt_f16_f32_e32 v0, v0
	v_cvt_f16_f32_e32 v34, v1
	;; [unrolled: 1-line block ×32, first 2 shown]
	s_waitcnt lgkmcnt(0)
	s_and_b32 s0, s0, 0xffff
	s_lshl_b32 s34, s0, 5
	v_lshl_add_u64 v[4:5], s[34:35], 0, v[4:5]
	v_cmp_le_i64_e32 vcc, s[6:7], v[4:5]
	v_pack_b32_f16 v1, v1, v2
	v_pack_b32_f16 v3, v3, v8
	;; [unrolled: 1-line block ×13, first 2 shown]
	s_or_b64 s[30:31], vcc, s[30:31]
	v_pack_b32_f16 v11, v19, v20
	v_pack_b32_f16 v13, v23, v24
	;; [unrolled: 1-line block ×3, first 2 shown]
	buffer_store_dwordx4 v[0:3], v77, s[8:11], 0 offen
	buffer_store_dwordx4 v[6:9], v77, s[8:11], 16 offen
	;; [unrolled: 1-line block ×4, first 2 shown]
	s_andn2_b64 exec, exec, s[30:31]
	s_cbranch_execnz .LBB205_8
.LBB205_9:
	s_endpgm
	.section	.rodata,"a",@progbits
	.p2align	6, 0x0
	.amdhsa_kernel _ZN5aiter23act_and_mul_bias_kernelIDF16_DF16_lfTnPFfRKT2_EXadL_ZNS_11silu_kernelIfEEfRKT_EELi32EEEvPT0_PS8_PKT1_PS2_il
		.amdhsa_group_segment_fixed_size 0
		.amdhsa_private_segment_fixed_size 0
		.amdhsa_kernarg_size 304
		.amdhsa_user_sgpr_count 2
		.amdhsa_user_sgpr_dispatch_ptr 0
		.amdhsa_user_sgpr_queue_ptr 0
		.amdhsa_user_sgpr_kernarg_segment_ptr 1
		.amdhsa_user_sgpr_dispatch_id 0
		.amdhsa_user_sgpr_kernarg_preload_length 0
		.amdhsa_user_sgpr_kernarg_preload_offset 0
		.amdhsa_user_sgpr_private_segment_size 0
		.amdhsa_uses_dynamic_stack 0
		.amdhsa_enable_private_segment 0
		.amdhsa_system_sgpr_workgroup_id_x 1
		.amdhsa_system_sgpr_workgroup_id_y 0
		.amdhsa_system_sgpr_workgroup_id_z 0
		.amdhsa_system_sgpr_workgroup_info 0
		.amdhsa_system_vgpr_workitem_id 0
		.amdhsa_next_free_vgpr 83
		.amdhsa_next_free_sgpr 41
		.amdhsa_accum_offset 84
		.amdhsa_reserve_vcc 1
		.amdhsa_float_round_mode_32 0
		.amdhsa_float_round_mode_16_64 0
		.amdhsa_float_denorm_mode_32 3
		.amdhsa_float_denorm_mode_16_64 3
		.amdhsa_dx10_clamp 1
		.amdhsa_ieee_mode 1
		.amdhsa_fp16_overflow 0
		.amdhsa_tg_split 0
		.amdhsa_exception_fp_ieee_invalid_op 0
		.amdhsa_exception_fp_denorm_src 0
		.amdhsa_exception_fp_ieee_div_zero 0
		.amdhsa_exception_fp_ieee_overflow 0
		.amdhsa_exception_fp_ieee_underflow 0
		.amdhsa_exception_fp_ieee_inexact 0
		.amdhsa_exception_int_div_zero 0
	.end_amdhsa_kernel
	.section	.text._ZN5aiter23act_and_mul_bias_kernelIDF16_DF16_lfTnPFfRKT2_EXadL_ZNS_11silu_kernelIfEEfRKT_EELi32EEEvPT0_PS8_PKT1_PS2_il,"axG",@progbits,_ZN5aiter23act_and_mul_bias_kernelIDF16_DF16_lfTnPFfRKT2_EXadL_ZNS_11silu_kernelIfEEfRKT_EELi32EEEvPT0_PS8_PKT1_PS2_il,comdat
.Lfunc_end205:
	.size	_ZN5aiter23act_and_mul_bias_kernelIDF16_DF16_lfTnPFfRKT2_EXadL_ZNS_11silu_kernelIfEEfRKT_EELi32EEEvPT0_PS8_PKT1_PS2_il, .Lfunc_end205-_ZN5aiter23act_and_mul_bias_kernelIDF16_DF16_lfTnPFfRKT2_EXadL_ZNS_11silu_kernelIfEEfRKT_EELi32EEEvPT0_PS8_PKT1_PS2_il
                                        ; -- End function
	.section	.AMDGPU.csdata,"",@progbits
; Kernel info:
; codeLenInByte = 4912
; NumSgprs: 47
; NumVgprs: 83
; NumAgprs: 0
; TotalNumVgprs: 83
; ScratchSize: 0
; MemoryBound: 0
; FloatMode: 240
; IeeeMode: 1
; LDSByteSize: 0 bytes/workgroup (compile time only)
; SGPRBlocks: 5
; VGPRBlocks: 10
; NumSGPRsForWavesPerEU: 47
; NumVGPRsForWavesPerEU: 83
; AccumOffset: 84
; Occupancy: 5
; WaveLimiterHint : 0
; COMPUTE_PGM_RSRC2:SCRATCH_EN: 0
; COMPUTE_PGM_RSRC2:USER_SGPR: 2
; COMPUTE_PGM_RSRC2:TRAP_HANDLER: 0
; COMPUTE_PGM_RSRC2:TGID_X_EN: 1
; COMPUTE_PGM_RSRC2:TGID_Y_EN: 0
; COMPUTE_PGM_RSRC2:TGID_Z_EN: 0
; COMPUTE_PGM_RSRC2:TIDIG_COMP_CNT: 0
; COMPUTE_PGM_RSRC3_GFX90A:ACCUM_OFFSET: 20
; COMPUTE_PGM_RSRC3_GFX90A:TG_SPLIT: 0
	.section	.text._ZN5aiter23act_and_mul_bias_kernelIDF16_DF16_lfTnPFfRKT2_EXadL_ZNS_11silu_kernelIfEEfRKT_EELi16EEEvPT0_PS8_PKT1_PS2_il,"axG",@progbits,_ZN5aiter23act_and_mul_bias_kernelIDF16_DF16_lfTnPFfRKT2_EXadL_ZNS_11silu_kernelIfEEfRKT_EELi16EEEvPT0_PS8_PKT1_PS2_il,comdat
	.protected	_ZN5aiter23act_and_mul_bias_kernelIDF16_DF16_lfTnPFfRKT2_EXadL_ZNS_11silu_kernelIfEEfRKT_EELi16EEEvPT0_PS8_PKT1_PS2_il ; -- Begin function _ZN5aiter23act_and_mul_bias_kernelIDF16_DF16_lfTnPFfRKT2_EXadL_ZNS_11silu_kernelIfEEfRKT_EELi16EEEvPT0_PS8_PKT1_PS2_il
	.globl	_ZN5aiter23act_and_mul_bias_kernelIDF16_DF16_lfTnPFfRKT2_EXadL_ZNS_11silu_kernelIfEEfRKT_EELi16EEEvPT0_PS8_PKT1_PS2_il
	.p2align	8
	.type	_ZN5aiter23act_and_mul_bias_kernelIDF16_DF16_lfTnPFfRKT2_EXadL_ZNS_11silu_kernelIfEEfRKT_EELi16EEEvPT0_PS8_PKT1_PS2_il,@function
_ZN5aiter23act_and_mul_bias_kernelIDF16_DF16_lfTnPFfRKT2_EXadL_ZNS_11silu_kernelIfEEfRKT_EELi16EEEvPT0_PS8_PKT1_PS2_il: ; @_ZN5aiter23act_and_mul_bias_kernelIDF16_DF16_lfTnPFfRKT2_EXadL_ZNS_11silu_kernelIfEEfRKT_EELi16EEEvPT0_PS8_PKT1_PS2_il
; %bb.0:
	s_load_dword s24, s[0:1], 0x20
	s_load_dwordx2 s[4:5], s[0:1], 0x0
	s_load_dwordx2 s[6:7], s[0:1], 0x10
	s_load_dwordx2 s[12:13], s[0:1], 0x28
	s_mov_b32 s3, 0
	s_waitcnt lgkmcnt(0)
	s_ashr_i32 s25, s24, 31
	s_lshl_b64 s[8:9], s[2:3], 3
	s_add_u32 s6, s6, s8
	s_addc_u32 s7, s7, s9
	s_add_i32 s3, s24, 1
	s_load_dwordx2 s[8:9], s[6:7], 0x0
	s_lshr_b32 s6, s3, 31
	s_add_i32 s3, s3, s6
	s_lshl_b32 s3, s3, 1
	s_and_b32 s6, s3, -4
	s_mul_hi_u32 s3, s24, s2
	s_mul_i32 s7, s25, s2
	s_add_i32 s11, s3, s7
	s_mul_i32 s10, s24, s2
	s_lshl_b64 s[10:11], s[10:11], 1
	v_mov_b64_e32 v[2:3], s[12:13]
	s_add_u32 s4, s4, s10
	s_waitcnt lgkmcnt(0)
	v_cmp_gt_i64_e64 s[14:15], s[8:9], -1
	v_cmp_lt_i64_e32 vcc, s[8:9], v[2:3]
	s_addc_u32 s3, s5, s11
	s_and_b64 s[12:13], s[14:15], vcc
	s_and_b32 s5, s3, 0xffff
	s_mov_b64 s[10:11], -1
	s_and_b64 vcc, exec, s[12:13]
	v_lshlrev_b32_e32 v44, 4, v0
	s_cbranch_vccnz .LBB206_5
; %bb.1:
	v_cmp_gt_i32_e32 vcc, s24, v44
	s_and_saveexec_b64 s[10:11], vcc
	s_cbranch_execz .LBB206_4
; %bb.2:
	s_load_dword s3, s[0:1], 0x3c
	s_mov_b32 s13, 0
	s_mov_b32 s16, s13
	;; [unrolled: 1-line block ×3, first 2 shown]
	v_mov_b32_e32 v45, 0
	v_lshlrev_b32_e32 v6, 5, v0
	s_waitcnt lgkmcnt(0)
	s_and_b32 s3, s3, 0xffff
	s_mov_b32 s18, s13
	s_mov_b32 s19, s13
	v_mov_b64_e32 v[0:1], s[16:17]
	s_lshl_b32 s12, s3, 4
	s_lshl_b32 s3, s3, 5
	s_mov_b64 s[14:15], 0
	s_mov_b32 s7, 0x20000
	v_mov_b64_e32 v[2:3], s[18:19]
	v_mov_b64_e32 v[4:5], v[44:45]
.LBB206_3:                              ; =>This Inner Loop Header: Depth=1
	v_lshl_add_u64 v[4:5], s[12:13], 0, v[4:5]
	v_cmp_le_i64_e32 vcc, s[24:25], v[4:5]
	buffer_store_dwordx4 v[0:3], v6, s[4:7], 0 offen
	buffer_store_dwordx4 v[0:3], v6, s[4:7], 16 offen
	s_or_b64 s[14:15], vcc, s[14:15]
	v_add_u32_e32 v6, s3, v6
	s_andn2_b64 exec, exec, s[14:15]
	s_cbranch_execnz .LBB206_3
.LBB206_4:
	s_or_b64 exec, exec, s[10:11]
	s_mov_b64 s[10:11], 0
.LBB206_5:
	s_andn2_b64 vcc, exec, s[10:11]
	s_cbranch_vccnz .LBB206_9
; %bb.6:
	v_cmp_gt_i32_e32 vcc, s24, v44
	s_and_saveexec_b64 s[10:11], vcc
	s_cbranch_execz .LBB206_9
; %bb.7:
	s_load_dwordx2 s[14:15], s[0:1], 0x8
	s_load_dwordx2 s[10:11], s[0:1], 0x18
	s_mul_i32 s3, s24, s9
	s_mul_hi_u32 s7, s24, s8
	s_add_i32 s3, s7, s3
	s_mul_i32 s7, s25, s8
	s_add_i32 s9, s3, s7
	s_mul_i32 s8, s24, s8
	s_lshl_b64 s[8:9], s[8:9], 3
	s_waitcnt lgkmcnt(0)
	s_add_u32 s8, s10, s8
	s_addc_u32 s3, s11, s9
	s_lshl_b64 s[10:11], s[24:25], 2
	s_add_u32 s12, s8, s10
	s_addc_u32 s13, s3, s11
	s_and_b32 s9, s3, 0xffff
	s_mul_i32 s3, s2, s25
	s_mul_hi_u32 s16, s2, s24
	s_add_i32 s3, s16, s3
	s_mul_i32 s2, s2, s24
	s_lshl_b32 s10, s24, 2
	s_and_b32 s13, s13, 0xffff
	s_lshl_b64 s[2:3], s[2:3], 2
	s_add_u32 s16, s14, s2
	s_addc_u32 s14, s15, s3
	s_lshl_b64 s[2:3], s[24:25], 1
	s_add_u32 s20, s16, s2
	s_addc_u32 s2, s14, s3
	s_and_b32 s17, s14, 0xffff
	s_and_b32 s21, s2, 0xffff
	s_mov_b32 s7, 0x20000
	s_add_u32 s0, s0, 48
	s_mov_b32 s11, s7
	v_mov_b32_e32 v45, 0
	s_addc_u32 s1, s1, 0
	s_mov_b64 s[2:3], 0
	s_mov_b32 s27, 0
	s_mov_b32 s28, 0xbfb8aa3b
	;; [unrolled: 1-line block ×4, first 2 shown]
	v_mov_b32_e32 v46, 0x7f800000
	s_mov_b32 s18, s6
	s_mov_b32 s19, s7
	;; [unrolled: 1-line block ×4, first 2 shown]
.LBB206_8:                              ; =>This Inner Loop Header: Depth=1
	v_lshlrev_b32_e32 v47, 1, v44
	buffer_load_dwordx4 v[24:27], v47, s[16:19], 0 offen
	buffer_load_dwordx4 v[4:7], v47, s[16:19], 16 offen
	;; [unrolled: 1-line block ×4, first 2 shown]
	v_lshlrev_b32_e32 v52, 2, v44
	s_mov_b32 s14, s10
	s_mov_b32 s15, s11
	buffer_load_dwordx4 v[40:43], v52, s[8:11], 0 offen
	buffer_load_dwordx4 v[28:31], v52, s[8:11], 16 offen
	;; [unrolled: 1-line block ×8, first 2 shown]
	s_waitcnt vmcnt(9)
	v_cvt_f32_f16_e32 v52, v32
	v_cvt_f32_f16_sdwa v53, v32 dst_sel:DWORD dst_unused:UNUSED_PAD src0_sel:WORD_1
	s_waitcnt vmcnt(3)
	v_pk_add_f32 v[48:49], v[48:49], v[52:53]
	v_cvt_f32_f16_e32 v52, v24
	v_cvt_f32_f16_sdwa v53, v24 dst_sel:DWORD dst_unused:UNUSED_PAD src0_sel:WORD_1
	v_pk_add_f32 v[40:41], v[40:41], v[52:53]
	s_nop 0
	v_mul_f32_e32 v24, 0xbfb8aa3b, v40
	v_fma_f32 v32, v40, s28, -v24
	v_rndne_f32_e32 v52, v24
	v_fmac_f32_e32 v32, 0xb2a5705f, v40
	v_sub_f32_e32 v24, v24, v52
	v_add_f32_e32 v24, v24, v32
	v_exp_f32_e32 v24, v24
	v_cvt_i32_f32_e32 v32, v52
	v_cmp_nlt_f32_e32 vcc, s29, v40
	v_ldexp_f32 v24, v24, v32
	s_nop 0
	v_cndmask_b32_e32 v24, 0, v24, vcc
	v_cmp_ngt_f32_e32 vcc, s30, v40
	s_nop 1
	v_cndmask_b32_e32 v24, v46, v24, vcc
	v_add_f32_e32 v24, 1.0, v24
	v_rcp_f32_e32 v52, v24
	v_mul_f32_e32 v24, 0xbfb8aa3b, v41
	v_fma_f32 v32, v41, s28, -v24
	v_rndne_f32_e32 v53, v24
	v_fmac_f32_e32 v32, 0xb2a5705f, v41
	v_sub_f32_e32 v24, v24, v53
	v_add_f32_e32 v24, v24, v32
	v_exp_f32_e32 v24, v24
	v_cvt_i32_f32_e32 v32, v53
	v_cmp_nlt_f32_e32 vcc, s29, v41
	v_ldexp_f32 v24, v24, v32
	s_nop 0
	v_cndmask_b32_e32 v24, 0, v24, vcc
	v_cmp_ngt_f32_e32 vcc, s30, v41
	s_nop 1
	v_cndmask_b32_e32 v24, v46, v24, vcc
	v_add_f32_e32 v24, 1.0, v24
	v_rcp_f32_e32 v53, v24
	s_nop 0
	v_pk_mul_f32 v[40:41], v[40:41], v[52:53]
	s_nop 0
	;;#ASMSTART
	v_pk_mul_f32 v[40:41], v[40:41], v[48:49]
	;;#ASMEND
	v_cvt_f32_f16_e32 v48, v25
	v_cvt_f32_f16_sdwa v49, v25 dst_sel:DWORD dst_unused:UNUSED_PAD src0_sel:WORD_1
	v_cvt_f16_f32_e32 v24, v40
	v_cvt_f16_f32_e32 v32, v41
	v_cvt_f32_f16_e32 v40, v33
	v_pk_add_f32 v[42:43], v[42:43], v[48:49]
	v_cvt_f32_f16_sdwa v41, v33 dst_sel:DWORD dst_unused:UNUSED_PAD src0_sel:WORD_1
	v_mul_f32_e32 v25, 0xbfb8aa3b, v42
	v_fma_f32 v33, v42, s28, -v25
	v_rndne_f32_e32 v48, v25
	v_fmac_f32_e32 v33, 0xb2a5705f, v42
	v_sub_f32_e32 v25, v25, v48
	v_add_f32_e32 v25, v25, v33
	v_exp_f32_e32 v25, v25
	v_cvt_i32_f32_e32 v33, v48
	v_cmp_nlt_f32_e32 vcc, s29, v42
	v_pk_add_f32 v[40:41], v[50:51], v[40:41]
	v_ldexp_f32 v25, v25, v33
	v_cndmask_b32_e32 v25, 0, v25, vcc
	v_cmp_ngt_f32_e32 vcc, s30, v42
	s_nop 1
	v_cndmask_b32_e32 v25, v46, v25, vcc
	v_add_f32_e32 v25, 1.0, v25
	v_rcp_f32_e32 v48, v25
	v_mul_f32_e32 v25, 0xbfb8aa3b, v43
	v_fma_f32 v33, v43, s28, -v25
	v_rndne_f32_e32 v49, v25
	v_fmac_f32_e32 v33, 0xb2a5705f, v43
	v_sub_f32_e32 v25, v25, v49
	v_add_f32_e32 v25, v25, v33
	v_exp_f32_e32 v25, v25
	v_cvt_i32_f32_e32 v33, v49
	v_cmp_nlt_f32_e32 vcc, s29, v43
	v_ldexp_f32 v25, v25, v33
	s_nop 0
	v_cndmask_b32_e32 v25, 0, v25, vcc
	v_cmp_ngt_f32_e32 vcc, s30, v43
	s_nop 1
	v_cndmask_b32_e32 v25, v46, v25, vcc
	v_add_f32_e32 v25, 1.0, v25
	v_rcp_f32_e32 v49, v25
	s_nop 0
	v_pk_mul_f32 v[42:43], v[42:43], v[48:49]
	s_nop 0
	;;#ASMSTART
	v_pk_mul_f32 v[40:41], v[42:43], v[40:41]
	;;#ASMEND
	s_nop 0
	v_cvt_f16_f32_e32 v25, v40
	v_cvt_f16_f32_e32 v33, v41
	v_cvt_f32_f16_e32 v40, v34
	v_cvt_f32_f16_sdwa v41, v34 dst_sel:DWORD dst_unused:UNUSED_PAD src0_sel:WORD_1
	s_waitcnt vmcnt(2)
	v_pk_add_f32 v[36:37], v[36:37], v[40:41]
	v_cvt_f32_f16_e32 v40, v26
	v_cvt_f32_f16_sdwa v41, v26 dst_sel:DWORD dst_unused:UNUSED_PAD src0_sel:WORD_1
	v_pk_add_f32 v[28:29], v[28:29], v[40:41]
	s_nop 0
	v_mul_f32_e32 v26, 0xbfb8aa3b, v28
	v_fma_f32 v34, v28, s28, -v26
	v_rndne_f32_e32 v40, v26
	v_fmac_f32_e32 v34, 0xb2a5705f, v28
	v_sub_f32_e32 v26, v26, v40
	v_add_f32_e32 v26, v26, v34
	v_exp_f32_e32 v26, v26
	v_cvt_i32_f32_e32 v34, v40
	v_cmp_nlt_f32_e32 vcc, s29, v28
	v_ldexp_f32 v26, v26, v34
	s_nop 0
	v_cndmask_b32_e32 v26, 0, v26, vcc
	v_cmp_ngt_f32_e32 vcc, s30, v28
	s_nop 1
	v_cndmask_b32_e32 v26, v46, v26, vcc
	v_add_f32_e32 v26, 1.0, v26
	v_rcp_f32_e32 v40, v26
	v_mul_f32_e32 v26, 0xbfb8aa3b, v29
	v_fma_f32 v34, v29, s28, -v26
	v_rndne_f32_e32 v41, v26
	v_fmac_f32_e32 v34, 0xb2a5705f, v29
	v_sub_f32_e32 v26, v26, v41
	v_add_f32_e32 v26, v26, v34
	v_exp_f32_e32 v26, v26
	v_cvt_i32_f32_e32 v34, v41
	v_cmp_nlt_f32_e32 vcc, s29, v29
	v_ldexp_f32 v26, v26, v34
	s_nop 0
	v_cndmask_b32_e32 v26, 0, v26, vcc
	v_cmp_ngt_f32_e32 vcc, s30, v29
	v_cvt_f32_f16_e32 v34, v35
	v_cvt_f32_f16_sdwa v35, v35 dst_sel:DWORD dst_unused:UNUSED_PAD src0_sel:WORD_1
	v_cndmask_b32_e32 v26, v46, v26, vcc
	v_add_f32_e32 v26, 1.0, v26
	v_rcp_f32_e32 v41, v26
	v_pk_add_f32 v[34:35], v[38:39], v[34:35]
	v_pk_mul_f32 v[28:29], v[28:29], v[40:41]
	s_nop 0
	;;#ASMSTART
	v_pk_mul_f32 v[28:29], v[28:29], v[36:37]
	;;#ASMEND
	v_cvt_f32_f16_e32 v36, v27
	v_cvt_f32_f16_sdwa v37, v27 dst_sel:DWORD dst_unused:UNUSED_PAD src0_sel:WORD_1
	v_cvt_f16_f32_e32 v26, v28
	v_cvt_f16_f32_e32 v28, v29
	v_pk_add_f32 v[30:31], v[30:31], v[36:37]
	s_nop 0
	v_mul_f32_e32 v27, 0xbfb8aa3b, v30
	v_fma_f32 v29, v30, s28, -v27
	v_rndne_f32_e32 v36, v27
	v_fmac_f32_e32 v29, 0xb2a5705f, v30
	v_sub_f32_e32 v27, v27, v36
	v_add_f32_e32 v27, v27, v29
	v_exp_f32_e32 v27, v27
	v_cvt_i32_f32_e32 v29, v36
	v_cmp_nlt_f32_e32 vcc, s29, v30
	v_ldexp_f32 v27, v27, v29
	s_nop 0
	v_cndmask_b32_e32 v27, 0, v27, vcc
	v_cmp_ngt_f32_e32 vcc, s30, v30
	s_nop 1
	v_cndmask_b32_e32 v27, v46, v27, vcc
	v_add_f32_e32 v27, 1.0, v27
	v_rcp_f32_e32 v36, v27
	v_mul_f32_e32 v27, 0xbfb8aa3b, v31
	v_fma_f32 v29, v31, s28, -v27
	v_rndne_f32_e32 v37, v27
	v_fmac_f32_e32 v29, 0xb2a5705f, v31
	v_sub_f32_e32 v27, v27, v37
	v_add_f32_e32 v27, v27, v29
	v_exp_f32_e32 v27, v27
	v_cvt_i32_f32_e32 v29, v37
	v_cmp_nlt_f32_e32 vcc, s29, v31
	v_ldexp_f32 v27, v27, v29
	s_nop 0
	v_cndmask_b32_e32 v27, 0, v27, vcc
	v_cmp_ngt_f32_e32 vcc, s30, v31
	s_nop 1
	v_cndmask_b32_e32 v27, v46, v27, vcc
	v_add_f32_e32 v27, 1.0, v27
	v_rcp_f32_e32 v37, v27
	s_nop 0
	v_pk_mul_f32 v[30:31], v[30:31], v[36:37]
	s_nop 0
	;;#ASMSTART
	v_pk_mul_f32 v[30:31], v[30:31], v[34:35]
	;;#ASMEND
	s_nop 0
	v_cvt_f16_f32_e32 v27, v30
	v_cvt_f16_f32_e32 v29, v31
	v_cvt_f32_f16_e32 v30, v8
	v_cvt_f32_f16_sdwa v31, v8 dst_sel:DWORD dst_unused:UNUSED_PAD src0_sel:WORD_1
	s_waitcnt vmcnt(1)
	v_pk_add_f32 v[20:21], v[20:21], v[30:31]
	v_cvt_f32_f16_e32 v30, v4
	v_cvt_f32_f16_sdwa v31, v4 dst_sel:DWORD dst_unused:UNUSED_PAD src0_sel:WORD_1
	v_pk_add_f32 v[16:17], v[16:17], v[30:31]
	s_nop 0
	v_mul_f32_e32 v4, 0xbfb8aa3b, v16
	v_fma_f32 v8, v16, s28, -v4
	v_rndne_f32_e32 v30, v4
	v_fmac_f32_e32 v8, 0xb2a5705f, v16
	v_sub_f32_e32 v4, v4, v30
	v_add_f32_e32 v4, v4, v8
	v_exp_f32_e32 v4, v4
	v_cvt_i32_f32_e32 v8, v30
	v_cmp_nlt_f32_e32 vcc, s29, v16
	v_ldexp_f32 v4, v4, v8
	s_nop 0
	v_cndmask_b32_e32 v4, 0, v4, vcc
	v_cmp_ngt_f32_e32 vcc, s30, v16
	s_nop 1
	v_cndmask_b32_e32 v4, v46, v4, vcc
	v_add_f32_e32 v4, 1.0, v4
	v_rcp_f32_e32 v30, v4
	v_mul_f32_e32 v4, 0xbfb8aa3b, v17
	v_fma_f32 v8, v17, s28, -v4
	v_rndne_f32_e32 v31, v4
	v_fmac_f32_e32 v8, 0xb2a5705f, v17
	v_sub_f32_e32 v4, v4, v31
	v_add_f32_e32 v4, v4, v8
	v_exp_f32_e32 v4, v4
	v_cvt_i32_f32_e32 v8, v31
	v_cmp_nlt_f32_e32 vcc, s29, v17
	v_ldexp_f32 v4, v4, v8
	s_nop 0
	v_cndmask_b32_e32 v4, 0, v4, vcc
	v_cmp_ngt_f32_e32 vcc, s30, v17
	s_nop 1
	v_cndmask_b32_e32 v4, v46, v4, vcc
	v_add_f32_e32 v4, 1.0, v4
	v_rcp_f32_e32 v31, v4
	v_cvt_f32_f16_e32 v4, v5
	v_cvt_f32_f16_sdwa v5, v5 dst_sel:DWORD dst_unused:UNUSED_PAD src0_sel:WORD_1
	v_pk_mul_f32 v[16:17], v[16:17], v[30:31]
	s_nop 0
	;;#ASMSTART
	v_pk_mul_f32 v[16:17], v[16:17], v[20:21]
	;;#ASMEND
	v_pk_add_f32 v[4:5], v[18:19], v[4:5]
	v_cvt_f32_f16_e32 v20, v9
	v_cvt_f32_f16_sdwa v21, v9 dst_sel:DWORD dst_unused:UNUSED_PAD src0_sel:WORD_1
	v_mul_f32_e32 v9, 0xbfb8aa3b, v4
	v_cvt_f16_f32_e32 v8, v16
	v_cvt_f16_f32_e32 v16, v17
	v_fma_f32 v17, v4, s28, -v9
	v_rndne_f32_e32 v18, v9
	v_fmac_f32_e32 v17, 0xb2a5705f, v4
	v_sub_f32_e32 v9, v9, v18
	v_add_f32_e32 v9, v9, v17
	v_exp_f32_e32 v9, v9
	v_cvt_i32_f32_e32 v17, v18
	v_cmp_nlt_f32_e32 vcc, s29, v4
	v_pk_add_f32 v[20:21], v[22:23], v[20:21]
	v_ldexp_f32 v9, v9, v17
	v_cndmask_b32_e32 v9, 0, v9, vcc
	v_cmp_ngt_f32_e32 vcc, s30, v4
	s_nop 1
	v_cndmask_b32_e32 v9, v46, v9, vcc
	v_add_f32_e32 v9, 1.0, v9
	v_rcp_f32_e32 v18, v9
	v_mul_f32_e32 v9, 0xbfb8aa3b, v5
	v_fma_f32 v17, v5, s28, -v9
	v_rndne_f32_e32 v19, v9
	v_fmac_f32_e32 v17, 0xb2a5705f, v5
	v_sub_f32_e32 v9, v9, v19
	v_add_f32_e32 v9, v9, v17
	v_exp_f32_e32 v9, v9
	v_cvt_i32_f32_e32 v17, v19
	v_cmp_nlt_f32_e32 vcc, s29, v5
	v_ldexp_f32 v9, v9, v17
	s_nop 0
	v_cndmask_b32_e32 v9, 0, v9, vcc
	v_cmp_ngt_f32_e32 vcc, s30, v5
	s_nop 1
	v_cndmask_b32_e32 v9, v46, v9, vcc
	v_add_f32_e32 v9, 1.0, v9
	v_rcp_f32_e32 v19, v9
	s_nop 0
	v_pk_mul_f32 v[4:5], v[4:5], v[18:19]
	s_nop 0
	;;#ASMSTART
	v_pk_mul_f32 v[4:5], v[4:5], v[20:21]
	;;#ASMEND
	s_nop 0
	v_cvt_f16_f32_e32 v9, v4
	v_cvt_f16_f32_e32 v17, v5
	v_cvt_f32_f16_e32 v4, v10
	v_cvt_f32_f16_sdwa v5, v10 dst_sel:DWORD dst_unused:UNUSED_PAD src0_sel:WORD_1
	s_waitcnt vmcnt(0)
	v_pk_add_f32 v[4:5], v[12:13], v[4:5]
	v_cvt_f32_f16_e32 v12, v6
	v_cvt_f32_f16_sdwa v13, v6 dst_sel:DWORD dst_unused:UNUSED_PAD src0_sel:WORD_1
	v_pk_add_f32 v[0:1], v[0:1], v[12:13]
	s_nop 0
	v_mul_f32_e32 v6, 0xbfb8aa3b, v0
	v_fma_f32 v10, v0, s28, -v6
	v_rndne_f32_e32 v12, v6
	v_fmac_f32_e32 v10, 0xb2a5705f, v0
	v_sub_f32_e32 v6, v6, v12
	v_add_f32_e32 v6, v6, v10
	v_exp_f32_e32 v6, v6
	v_cvt_i32_f32_e32 v10, v12
	v_cmp_nlt_f32_e32 vcc, s29, v0
	v_ldexp_f32 v6, v6, v10
	s_nop 0
	v_cndmask_b32_e32 v6, 0, v6, vcc
	v_cmp_ngt_f32_e32 vcc, s30, v0
	s_nop 1
	v_cndmask_b32_e32 v6, v46, v6, vcc
	v_add_f32_e32 v6, 1.0, v6
	v_rcp_f32_e32 v12, v6
	v_mul_f32_e32 v6, 0xbfb8aa3b, v1
	v_fma_f32 v10, v1, s28, -v6
	v_rndne_f32_e32 v13, v6
	v_fmac_f32_e32 v10, 0xb2a5705f, v1
	v_sub_f32_e32 v6, v6, v13
	v_add_f32_e32 v6, v6, v10
	v_exp_f32_e32 v6, v6
	v_cvt_i32_f32_e32 v10, v13
	v_cmp_nlt_f32_e32 vcc, s29, v1
	v_ldexp_f32 v6, v6, v10
	s_nop 0
	v_cndmask_b32_e32 v6, 0, v6, vcc
	v_cmp_ngt_f32_e32 vcc, s30, v1
	s_nop 1
	v_cndmask_b32_e32 v6, v46, v6, vcc
	v_add_f32_e32 v6, 1.0, v6
	v_rcp_f32_e32 v13, v6
	s_nop 0
	v_pk_mul_f32 v[0:1], v[0:1], v[12:13]
	s_nop 0
	;;#ASMSTART
	v_pk_mul_f32 v[0:1], v[0:1], v[4:5]
	;;#ASMEND
	v_cvt_f32_f16_e32 v4, v7
	v_cvt_f32_f16_sdwa v5, v7 dst_sel:DWORD dst_unused:UNUSED_PAD src0_sel:WORD_1
	v_cvt_f16_f32_e32 v6, v0
	v_cvt_f16_f32_e32 v10, v1
	v_cvt_f32_f16_e32 v0, v11
	v_pk_add_f32 v[2:3], v[2:3], v[4:5]
	v_cvt_f32_f16_sdwa v1, v11 dst_sel:DWORD dst_unused:UNUSED_PAD src0_sel:WORD_1
	v_mul_f32_e32 v4, 0xbfb8aa3b, v2
	v_fma_f32 v5, v2, s28, -v4
	v_rndne_f32_e32 v7, v4
	v_fmac_f32_e32 v5, 0xb2a5705f, v2
	v_sub_f32_e32 v4, v4, v7
	v_add_f32_e32 v4, v4, v5
	v_exp_f32_e32 v4, v4
	v_cvt_i32_f32_e32 v5, v7
	v_cmp_nlt_f32_e32 vcc, s29, v2
	v_pk_add_f32 v[0:1], v[14:15], v[0:1]
	v_ldexp_f32 v4, v4, v5
	v_mul_f32_e32 v5, 0xbfb8aa3b, v3
	v_fma_f32 v7, v3, s28, -v5
	v_rndne_f32_e32 v11, v5
	v_fmac_f32_e32 v7, 0xb2a5705f, v3
	v_sub_f32_e32 v5, v5, v11
	v_add_f32_e32 v5, v5, v7
	v_exp_f32_e32 v5, v5
	v_cvt_i32_f32_e32 v7, v11
	v_cndmask_b32_e32 v4, 0, v4, vcc
	v_cmp_ngt_f32_e32 vcc, s30, v2
	v_ldexp_f32 v5, v5, v7
	s_nop 0
	v_cndmask_b32_e32 v4, v46, v4, vcc
	v_cmp_nlt_f32_e32 vcc, s29, v3
	v_add_f32_e32 v4, 1.0, v4
	v_rcp_f32_e32 v4, v4
	v_cndmask_b32_e32 v5, 0, v5, vcc
	v_cmp_ngt_f32_e32 vcc, s30, v3
	s_nop 1
	v_cndmask_b32_e32 v5, v46, v5, vcc
	v_add_f32_e32 v5, 1.0, v5
	v_rcp_f32_e32 v5, v5
	s_nop 0
	v_pk_mul_f32 v[2:3], v[2:3], v[4:5]
	s_nop 0
	;;#ASMSTART
	v_pk_mul_f32 v[0:1], v[2:3], v[0:1]
	;;#ASMEND
	s_load_dword s14, s[0:1], 0xc
	v_cvt_f16_f32_e32 v4, v0
	v_cvt_f16_f32_e32 v5, v1
	v_pack_b32_f16 v1, v25, v33
	v_pack_b32_f16 v3, v27, v29
	s_waitcnt lgkmcnt(0)
	s_and_b32 s14, s14, 0xffff
	s_lshl_b32 s26, s14, 4
	v_lshl_add_u64 v[44:45], s[26:27], 0, v[44:45]
	v_pack_b32_f16 v0, v24, v32
	v_pack_b32_f16 v2, v26, v28
	v_cmp_le_i64_e32 vcc, s[24:25], v[44:45]
	buffer_store_dwordx4 v[0:3], v47, s[4:7], 0 offen
	s_or_b64 s[2:3], vcc, s[2:3]
	s_nop 0
	v_pack_b32_f16 v1, v9, v17
	v_pack_b32_f16 v3, v4, v5
	;; [unrolled: 1-line block ×4, first 2 shown]
	buffer_store_dwordx4 v[0:3], v47, s[4:7], 16 offen
	s_andn2_b64 exec, exec, s[2:3]
	s_cbranch_execnz .LBB206_8
.LBB206_9:
	s_endpgm
	.section	.rodata,"a",@progbits
	.p2align	6, 0x0
	.amdhsa_kernel _ZN5aiter23act_and_mul_bias_kernelIDF16_DF16_lfTnPFfRKT2_EXadL_ZNS_11silu_kernelIfEEfRKT_EELi16EEEvPT0_PS8_PKT1_PS2_il
		.amdhsa_group_segment_fixed_size 0
		.amdhsa_private_segment_fixed_size 0
		.amdhsa_kernarg_size 304
		.amdhsa_user_sgpr_count 2
		.amdhsa_user_sgpr_dispatch_ptr 0
		.amdhsa_user_sgpr_queue_ptr 0
		.amdhsa_user_sgpr_kernarg_segment_ptr 1
		.amdhsa_user_sgpr_dispatch_id 0
		.amdhsa_user_sgpr_kernarg_preload_length 0
		.amdhsa_user_sgpr_kernarg_preload_offset 0
		.amdhsa_user_sgpr_private_segment_size 0
		.amdhsa_uses_dynamic_stack 0
		.amdhsa_enable_private_segment 0
		.amdhsa_system_sgpr_workgroup_id_x 1
		.amdhsa_system_sgpr_workgroup_id_y 0
		.amdhsa_system_sgpr_workgroup_id_z 0
		.amdhsa_system_sgpr_workgroup_info 0
		.amdhsa_system_vgpr_workitem_id 0
		.amdhsa_next_free_vgpr 54
		.amdhsa_next_free_sgpr 31
		.amdhsa_accum_offset 56
		.amdhsa_reserve_vcc 1
		.amdhsa_float_round_mode_32 0
		.amdhsa_float_round_mode_16_64 0
		.amdhsa_float_denorm_mode_32 3
		.amdhsa_float_denorm_mode_16_64 3
		.amdhsa_dx10_clamp 1
		.amdhsa_ieee_mode 1
		.amdhsa_fp16_overflow 0
		.amdhsa_tg_split 0
		.amdhsa_exception_fp_ieee_invalid_op 0
		.amdhsa_exception_fp_denorm_src 0
		.amdhsa_exception_fp_ieee_div_zero 0
		.amdhsa_exception_fp_ieee_overflow 0
		.amdhsa_exception_fp_ieee_underflow 0
		.amdhsa_exception_fp_ieee_inexact 0
		.amdhsa_exception_int_div_zero 0
	.end_amdhsa_kernel
	.section	.text._ZN5aiter23act_and_mul_bias_kernelIDF16_DF16_lfTnPFfRKT2_EXadL_ZNS_11silu_kernelIfEEfRKT_EELi16EEEvPT0_PS8_PKT1_PS2_il,"axG",@progbits,_ZN5aiter23act_and_mul_bias_kernelIDF16_DF16_lfTnPFfRKT2_EXadL_ZNS_11silu_kernelIfEEfRKT_EELi16EEEvPT0_PS8_PKT1_PS2_il,comdat
.Lfunc_end206:
	.size	_ZN5aiter23act_and_mul_bias_kernelIDF16_DF16_lfTnPFfRKT2_EXadL_ZNS_11silu_kernelIfEEfRKT_EELi16EEEvPT0_PS8_PKT1_PS2_il, .Lfunc_end206-_ZN5aiter23act_and_mul_bias_kernelIDF16_DF16_lfTnPFfRKT2_EXadL_ZNS_11silu_kernelIfEEfRKT_EELi16EEEvPT0_PS8_PKT1_PS2_il
                                        ; -- End function
	.section	.AMDGPU.csdata,"",@progbits
; Kernel info:
; codeLenInByte = 2740
; NumSgprs: 37
; NumVgprs: 54
; NumAgprs: 0
; TotalNumVgprs: 54
; ScratchSize: 0
; MemoryBound: 0
; FloatMode: 240
; IeeeMode: 1
; LDSByteSize: 0 bytes/workgroup (compile time only)
; SGPRBlocks: 4
; VGPRBlocks: 6
; NumSGPRsForWavesPerEU: 37
; NumVGPRsForWavesPerEU: 54
; AccumOffset: 56
; Occupancy: 8
; WaveLimiterHint : 0
; COMPUTE_PGM_RSRC2:SCRATCH_EN: 0
; COMPUTE_PGM_RSRC2:USER_SGPR: 2
; COMPUTE_PGM_RSRC2:TRAP_HANDLER: 0
; COMPUTE_PGM_RSRC2:TGID_X_EN: 1
; COMPUTE_PGM_RSRC2:TGID_Y_EN: 0
; COMPUTE_PGM_RSRC2:TGID_Z_EN: 0
; COMPUTE_PGM_RSRC2:TIDIG_COMP_CNT: 0
; COMPUTE_PGM_RSRC3_GFX90A:ACCUM_OFFSET: 13
; COMPUTE_PGM_RSRC3_GFX90A:TG_SPLIT: 0
	.section	.text._ZN5aiter23act_and_mul_bias_kernelIDF16_DF16_lfTnPFfRKT2_EXadL_ZNS_11silu_kernelIfEEfRKT_EELi8EEEvPT0_PS8_PKT1_PS2_il,"axG",@progbits,_ZN5aiter23act_and_mul_bias_kernelIDF16_DF16_lfTnPFfRKT2_EXadL_ZNS_11silu_kernelIfEEfRKT_EELi8EEEvPT0_PS8_PKT1_PS2_il,comdat
	.protected	_ZN5aiter23act_and_mul_bias_kernelIDF16_DF16_lfTnPFfRKT2_EXadL_ZNS_11silu_kernelIfEEfRKT_EELi8EEEvPT0_PS8_PKT1_PS2_il ; -- Begin function _ZN5aiter23act_and_mul_bias_kernelIDF16_DF16_lfTnPFfRKT2_EXadL_ZNS_11silu_kernelIfEEfRKT_EELi8EEEvPT0_PS8_PKT1_PS2_il
	.globl	_ZN5aiter23act_and_mul_bias_kernelIDF16_DF16_lfTnPFfRKT2_EXadL_ZNS_11silu_kernelIfEEfRKT_EELi8EEEvPT0_PS8_PKT1_PS2_il
	.p2align	8
	.type	_ZN5aiter23act_and_mul_bias_kernelIDF16_DF16_lfTnPFfRKT2_EXadL_ZNS_11silu_kernelIfEEfRKT_EELi8EEEvPT0_PS8_PKT1_PS2_il,@function
_ZN5aiter23act_and_mul_bias_kernelIDF16_DF16_lfTnPFfRKT2_EXadL_ZNS_11silu_kernelIfEEfRKT_EELi8EEEvPT0_PS8_PKT1_PS2_il: ; @_ZN5aiter23act_and_mul_bias_kernelIDF16_DF16_lfTnPFfRKT2_EXadL_ZNS_11silu_kernelIfEEfRKT_EELi8EEEvPT0_PS8_PKT1_PS2_il
; %bb.0:
	s_load_dword s14, s[0:1], 0x20
	s_load_dwordx2 s[6:7], s[0:1], 0x0
	s_load_dwordx2 s[4:5], s[0:1], 0x10
	s_load_dwordx2 s[8:9], s[0:1], 0x28
	s_mov_b32 s3, 0
	s_waitcnt lgkmcnt(0)
	s_ashr_i32 s15, s14, 31
	s_lshl_b64 s[10:11], s[2:3], 3
	s_add_u32 s4, s4, s10
	s_addc_u32 s5, s5, s11
	s_add_i32 s3, s14, 1
	s_lshr_b32 s10, s3, 31
	s_add_i32 s3, s3, s10
	s_load_dwordx2 s[4:5], s[4:5], 0x0
	s_lshl_b32 s3, s3, 1
	s_and_b32 s18, s3, -4
	s_mul_hi_u32 s3, s14, s2
	s_mul_i32 s10, s15, s2
	s_add_i32 s11, s3, s10
	s_mul_i32 s10, s14, s2
	s_lshl_b64 s[10:11], s[10:11], 1
	s_add_u32 s16, s6, s10
	v_mov_b64_e32 v[2:3], s[8:9]
	s_addc_u32 s3, s7, s11
	s_waitcnt lgkmcnt(0)
	v_cmp_gt_i64_e64 s[10:11], s[4:5], -1
	v_cmp_lt_i64_e32 vcc, s[4:5], v[2:3]
	s_and_b64 s[8:9], s[10:11], vcc
	s_and_b32 s17, s3, 0xffff
	s_mov_b64 s[6:7], -1
	s_and_b64 vcc, exec, s[8:9]
	v_lshlrev_b32_e32 v24, 3, v0
	s_cbranch_vccnz .LBB207_5
; %bb.1:
	v_cmp_gt_i32_e32 vcc, s14, v24
	s_and_saveexec_b64 s[6:7], vcc
	s_cbranch_execz .LBB207_4
; %bb.2:
	s_load_dword s3, s[0:1], 0x3c
	v_mov_b32_e32 v25, 0
	s_mov_b32 s9, 0
	v_lshlrev_b32_e32 v6, 4, v0
	s_mov_b64 s[10:11], 0
	s_waitcnt lgkmcnt(0)
	s_and_b32 s3, s3, 0xffff
	s_lshl_b32 s8, s3, 3
	s_lshl_b32 s3, s3, 4
	s_mov_b32 s19, 0x20000
	v_mov_b32_e32 v0, v25
	v_mov_b32_e32 v1, v25
	;; [unrolled: 1-line block ×4, first 2 shown]
	v_mov_b64_e32 v[4:5], v[24:25]
.LBB207_3:                              ; =>This Inner Loop Header: Depth=1
	v_lshl_add_u64 v[4:5], s[8:9], 0, v[4:5]
	v_cmp_le_i64_e32 vcc, s[14:15], v[4:5]
	buffer_store_dwordx4 v[0:3], v6, s[16:19], 0 offen
	s_or_b64 s[10:11], vcc, s[10:11]
	v_add_u32_e32 v6, s3, v6
	s_andn2_b64 exec, exec, s[10:11]
	s_cbranch_execnz .LBB207_3
.LBB207_4:
	s_or_b64 exec, exec, s[6:7]
	s_mov_b64 s[6:7], 0
.LBB207_5:
	s_andn2_b64 vcc, exec, s[6:7]
	s_cbranch_vccnz .LBB207_9
; %bb.6:
	v_cmp_gt_i32_e32 vcc, s14, v24
	s_and_saveexec_b64 s[6:7], vcc
	s_cbranch_execz .LBB207_9
; %bb.7:
	s_load_dwordx2 s[6:7], s[0:1], 0x8
	s_load_dwordx2 s[8:9], s[0:1], 0x18
	s_mul_i32 s3, s14, s5
	s_mul_hi_u32 s5, s14, s4
	s_add_i32 s3, s5, s3
	s_mul_i32 s5, s15, s4
	s_add_i32 s5, s3, s5
	s_mul_i32 s4, s14, s4
	s_lshl_b64 s[4:5], s[4:5], 3
	s_waitcnt lgkmcnt(0)
	s_add_u32 s20, s8, s4
	s_addc_u32 s3, s9, s5
	s_lshl_b64 s[4:5], s[14:15], 2
	s_add_u32 s24, s20, s4
	s_addc_u32 s4, s3, s5
	s_and_b32 s21, s3, 0xffff
	s_and_b32 s25, s4, 0xffff
	s_mul_i32 s3, s2, s15
	s_mul_hi_u32 s4, s2, s14
	s_add_i32 s3, s4, s3
	s_mul_i32 s2, s2, s14
	s_lshl_b32 s22, s14, 2
	s_lshl_b64 s[2:3], s[2:3], 2
	s_add_u32 s28, s6, s2
	s_addc_u32 s4, s7, s3
	s_lshl_b64 s[2:3], s[14:15], 1
	s_add_u32 s36, s28, s2
	s_addc_u32 s2, s4, s3
	s_and_b32 s29, s4, 0xffff
	s_and_b32 s37, s2, 0xffff
	s_mov_b32 s19, 0x20000
	s_add_u32 s34, s0, 48
	s_mov_b32 s23, s19
	v_mov_b32_e32 v25, 0
	s_addc_u32 s35, s1, 0
	s_mov_b64 s[40:41], 0
	s_mov_b32 s43, 0
	s_mov_b32 s33, 0xbfb8aa3b
	;; [unrolled: 1-line block ×4, first 2 shown]
	v_mov_b32_e32 v30, 0x7f800000
	s_mov_b32 s30, s18
	s_mov_b32 s31, s19
	;; [unrolled: 1-line block ×4, first 2 shown]
.LBB207_8:                              ; =>This Inner Loop Header: Depth=1
	v_lshlrev_b32_e32 v31, 1, v24
	v_lshlrev_b32_e32 v26, 2, v24
	s_mov_b32 s26, s22
	s_mov_b32 s27, s23
	buffer_load_dwordx4 v[20:23], v31, s[36:39], 0 offen
	buffer_load_dwordx4 v[16:19], v31, s[28:31], 0 offen
	;; [unrolled: 1-line block ×6, first 2 shown]
	s_waitcnt vmcnt(5)
	v_cvt_f32_f16_e32 v26, v20
	v_cvt_f32_f16_sdwa v27, v20 dst_sel:DWORD dst_unused:UNUSED_PAD src0_sel:WORD_1
	s_waitcnt vmcnt(4)
	v_cvt_f32_f16_e32 v28, v16
	v_cvt_f32_f16_sdwa v29, v16 dst_sel:DWORD dst_unused:UNUSED_PAD src0_sel:WORD_1
	v_cvt_f32_f16_e32 v20, v21
	v_cvt_f32_f16_sdwa v21, v21 dst_sel:DWORD dst_unused:UNUSED_PAD src0_sel:WORD_1
	;; [unrolled: 2-line block ×7, first 2 shown]
	s_waitcnt vmcnt(2)
	v_pk_add_f32 v[16:17], v[4:5], v[28:29]
	v_pk_add_f32 v[4:5], v[10:11], v[20:21]
	;; [unrolled: 1-line block ×3, first 2 shown]
	s_waitcnt vmcnt(1)
	v_pk_add_f32 v[6:7], v[12:13], v[34:35]
	s_waitcnt vmcnt(0)
	v_pk_add_f32 v[12:13], v[0:1], v[36:37]
	v_pk_add_f32 v[2:3], v[2:3], v[18:19]
	;; [unrolled: 1-line block ×3, first 2 shown]
	v_mul_f32_e32 v14, 0xbfb8aa3b, v16
	v_mul_f32_e32 v15, 0xbfb8aa3b, v17
	;; [unrolled: 1-line block ×8, first 2 shown]
	v_pk_add_f32 v[8:9], v[8:9], v[26:27]
	v_fma_f32 v26, v16, s33, -v14
	v_rndne_f32_e32 v27, v14
	v_fma_f32 v28, v17, s33, -v15
	v_rndne_f32_e32 v29, v15
	v_fma_f32 v32, v10, s33, -v18
	v_rndne_f32_e32 v33, v18
	v_fma_f32 v34, v11, s33, -v19
	v_rndne_f32_e32 v35, v19
	v_fma_f32 v36, v12, s33, -v20
	v_rndne_f32_e32 v37, v20
	v_fma_f32 v38, v13, s33, -v21
	v_rndne_f32_e32 v39, v21
	v_fma_f32 v40, v2, s33, -v22
	v_rndne_f32_e32 v41, v22
	v_fma_f32 v42, v3, s33, -v23
	v_rndne_f32_e32 v43, v23
	v_fmac_f32_e32 v26, 0xb2a5705f, v16
	v_sub_f32_e32 v14, v14, v27
	v_fmac_f32_e32 v28, 0xb2a5705f, v17
	v_sub_f32_e32 v15, v15, v29
	;; [unrolled: 2-line block ×8, first 2 shown]
	v_add_f32_e32 v14, v14, v26
	v_add_f32_e32 v15, v15, v28
	;; [unrolled: 1-line block ×8, first 2 shown]
	v_cvt_i32_f32_e32 v27, v27
	v_cvt_i32_f32_e32 v29, v29
	;; [unrolled: 1-line block ×8, first 2 shown]
	v_exp_f32_e32 v14, v14
	v_exp_f32_e32 v15, v15
	;; [unrolled: 1-line block ×8, first 2 shown]
	v_ldexp_f32 v14, v14, v27
	v_ldexp_f32 v15, v15, v29
	v_cmp_nlt_f32_e32 vcc, s44, v17
	v_ldexp_f32 v18, v18, v33
	v_cmp_nlt_f32_e64 s[0:1], s44, v10
	v_ldexp_f32 v19, v19, v35
	v_cmp_nlt_f32_e64 s[2:3], s44, v11
	;; [unrolled: 2-line block ×6, first 2 shown]
	v_cmp_nlt_f32_e64 s[12:13], s44, v16
	v_cndmask_b32_e32 v15, 0, v15, vcc
	v_cmp_ngt_f32_e32 vcc, s45, v17
	v_cndmask_b32_e64 v14, 0, v14, s[12:13]
	v_cndmask_b32_e64 v18, 0, v18, s[0:1]
	v_cmp_ngt_f32_e64 s[0:1], s45, v10
	v_cndmask_b32_e64 v19, 0, v19, s[2:3]
	v_cmp_ngt_f32_e64 s[2:3], s45, v11
	;; [unrolled: 2-line block ×6, first 2 shown]
	v_cmp_ngt_f32_e64 s[12:13], s45, v16
	v_cndmask_b32_e32 v15, v30, v15, vcc
	v_cndmask_b32_e64 v18, v30, v18, s[0:1]
	v_cndmask_b32_e64 v14, v30, v14, s[12:13]
	;; [unrolled: 1-line block ×7, first 2 shown]
	v_add_f32_e32 v14, 1.0, v14
	v_add_f32_e32 v15, 1.0, v15
	;; [unrolled: 1-line block ×8, first 2 shown]
	v_rcp_f32_e32 v14, v14
	v_rcp_f32_e32 v15, v15
	;; [unrolled: 1-line block ×8, first 2 shown]
	v_pk_mul_f32 v[14:15], v[16:17], v[14:15]
	v_pk_mul_f32 v[10:11], v[10:11], v[18:19]
	v_pk_mul_f32 v[12:13], v[12:13], v[20:21]
	v_pk_mul_f32 v[2:3], v[2:3], v[22:23]
	;;#ASMSTART
	v_pk_mul_f32 v[8:9], v[14:15], v[8:9]
	;;#ASMEND
	;;#ASMSTART
	v_pk_mul_f32 v[4:5], v[10:11], v[4:5]
	;;#ASMEND
	;; [unrolled: 3-line block ×3, first 2 shown]
	s_nop 0
	;;#ASMSTART
	v_pk_mul_f32 v[0:1], v[2:3], v[0:1]
	;;#ASMEND
	s_load_dword s0, s[34:35], 0xc
	v_cvt_f16_f32_e32 v2, v8
	v_cvt_f16_f32_e32 v8, v9
	;; [unrolled: 1-line block ×8, first 2 shown]
	s_waitcnt lgkmcnt(0)
	s_and_b32 s0, s0, 0xffff
	s_lshl_b32 s42, s0, 3
	v_lshl_add_u64 v[24:25], s[42:43], 0, v[24:25]
	v_cmp_le_i64_e32 vcc, s[14:15], v[24:25]
	v_pack_b32_f16 v1, v3, v4
	v_pack_b32_f16 v3, v0, v5
	;; [unrolled: 1-line block ×4, first 2 shown]
	s_or_b64 s[40:41], vcc, s[40:41]
	buffer_store_dwordx4 v[0:3], v31, s[16:19], 0 offen
	s_andn2_b64 exec, exec, s[40:41]
	s_cbranch_execnz .LBB207_8
.LBB207_9:
	s_endpgm
	.section	.rodata,"a",@progbits
	.p2align	6, 0x0
	.amdhsa_kernel _ZN5aiter23act_and_mul_bias_kernelIDF16_DF16_lfTnPFfRKT2_EXadL_ZNS_11silu_kernelIfEEfRKT_EELi8EEEvPT0_PS8_PKT1_PS2_il
		.amdhsa_group_segment_fixed_size 0
		.amdhsa_private_segment_fixed_size 0
		.amdhsa_kernarg_size 304
		.amdhsa_user_sgpr_count 2
		.amdhsa_user_sgpr_dispatch_ptr 0
		.amdhsa_user_sgpr_queue_ptr 0
		.amdhsa_user_sgpr_kernarg_segment_ptr 1
		.amdhsa_user_sgpr_dispatch_id 0
		.amdhsa_user_sgpr_kernarg_preload_length 0
		.amdhsa_user_sgpr_kernarg_preload_offset 0
		.amdhsa_user_sgpr_private_segment_size 0
		.amdhsa_uses_dynamic_stack 0
		.amdhsa_enable_private_segment 0
		.amdhsa_system_sgpr_workgroup_id_x 1
		.amdhsa_system_sgpr_workgroup_id_y 0
		.amdhsa_system_sgpr_workgroup_id_z 0
		.amdhsa_system_sgpr_workgroup_info 0
		.amdhsa_system_vgpr_workitem_id 0
		.amdhsa_next_free_vgpr 44
		.amdhsa_next_free_sgpr 46
		.amdhsa_accum_offset 44
		.amdhsa_reserve_vcc 1
		.amdhsa_float_round_mode_32 0
		.amdhsa_float_round_mode_16_64 0
		.amdhsa_float_denorm_mode_32 3
		.amdhsa_float_denorm_mode_16_64 3
		.amdhsa_dx10_clamp 1
		.amdhsa_ieee_mode 1
		.amdhsa_fp16_overflow 0
		.amdhsa_tg_split 0
		.amdhsa_exception_fp_ieee_invalid_op 0
		.amdhsa_exception_fp_denorm_src 0
		.amdhsa_exception_fp_ieee_div_zero 0
		.amdhsa_exception_fp_ieee_overflow 0
		.amdhsa_exception_fp_ieee_underflow 0
		.amdhsa_exception_fp_ieee_inexact 0
		.amdhsa_exception_int_div_zero 0
	.end_amdhsa_kernel
	.section	.text._ZN5aiter23act_and_mul_bias_kernelIDF16_DF16_lfTnPFfRKT2_EXadL_ZNS_11silu_kernelIfEEfRKT_EELi8EEEvPT0_PS8_PKT1_PS2_il,"axG",@progbits,_ZN5aiter23act_and_mul_bias_kernelIDF16_DF16_lfTnPFfRKT2_EXadL_ZNS_11silu_kernelIfEEfRKT_EELi8EEEvPT0_PS8_PKT1_PS2_il,comdat
.Lfunc_end207:
	.size	_ZN5aiter23act_and_mul_bias_kernelIDF16_DF16_lfTnPFfRKT2_EXadL_ZNS_11silu_kernelIfEEfRKT_EELi8EEEvPT0_PS8_PKT1_PS2_il, .Lfunc_end207-_ZN5aiter23act_and_mul_bias_kernelIDF16_DF16_lfTnPFfRKT2_EXadL_ZNS_11silu_kernelIfEEfRKT_EELi8EEEvPT0_PS8_PKT1_PS2_il
                                        ; -- End function
	.section	.AMDGPU.csdata,"",@progbits
; Kernel info:
; codeLenInByte = 1688
; NumSgprs: 52
; NumVgprs: 44
; NumAgprs: 0
; TotalNumVgprs: 44
; ScratchSize: 0
; MemoryBound: 0
; FloatMode: 240
; IeeeMode: 1
; LDSByteSize: 0 bytes/workgroup (compile time only)
; SGPRBlocks: 6
; VGPRBlocks: 5
; NumSGPRsForWavesPerEU: 52
; NumVGPRsForWavesPerEU: 44
; AccumOffset: 44
; Occupancy: 8
; WaveLimiterHint : 0
; COMPUTE_PGM_RSRC2:SCRATCH_EN: 0
; COMPUTE_PGM_RSRC2:USER_SGPR: 2
; COMPUTE_PGM_RSRC2:TRAP_HANDLER: 0
; COMPUTE_PGM_RSRC2:TGID_X_EN: 1
; COMPUTE_PGM_RSRC2:TGID_Y_EN: 0
; COMPUTE_PGM_RSRC2:TGID_Z_EN: 0
; COMPUTE_PGM_RSRC2:TIDIG_COMP_CNT: 0
; COMPUTE_PGM_RSRC3_GFX90A:ACCUM_OFFSET: 10
; COMPUTE_PGM_RSRC3_GFX90A:TG_SPLIT: 0
	.section	.text._ZN5aiter23act_and_mul_bias_kernelIDF16_DF16_lfTnPFfRKT2_EXadL_ZNS_11silu_kernelIfEEfRKT_EELi4EEEvPT0_PS8_PKT1_PS2_il,"axG",@progbits,_ZN5aiter23act_and_mul_bias_kernelIDF16_DF16_lfTnPFfRKT2_EXadL_ZNS_11silu_kernelIfEEfRKT_EELi4EEEvPT0_PS8_PKT1_PS2_il,comdat
	.protected	_ZN5aiter23act_and_mul_bias_kernelIDF16_DF16_lfTnPFfRKT2_EXadL_ZNS_11silu_kernelIfEEfRKT_EELi4EEEvPT0_PS8_PKT1_PS2_il ; -- Begin function _ZN5aiter23act_and_mul_bias_kernelIDF16_DF16_lfTnPFfRKT2_EXadL_ZNS_11silu_kernelIfEEfRKT_EELi4EEEvPT0_PS8_PKT1_PS2_il
	.globl	_ZN5aiter23act_and_mul_bias_kernelIDF16_DF16_lfTnPFfRKT2_EXadL_ZNS_11silu_kernelIfEEfRKT_EELi4EEEvPT0_PS8_PKT1_PS2_il
	.p2align	8
	.type	_ZN5aiter23act_and_mul_bias_kernelIDF16_DF16_lfTnPFfRKT2_EXadL_ZNS_11silu_kernelIfEEfRKT_EELi4EEEvPT0_PS8_PKT1_PS2_il,@function
_ZN5aiter23act_and_mul_bias_kernelIDF16_DF16_lfTnPFfRKT2_EXadL_ZNS_11silu_kernelIfEEfRKT_EELi4EEEvPT0_PS8_PKT1_PS2_il: ; @_ZN5aiter23act_and_mul_bias_kernelIDF16_DF16_lfTnPFfRKT2_EXadL_ZNS_11silu_kernelIfEEfRKT_EELi4EEEvPT0_PS8_PKT1_PS2_il
; %bb.0:
	s_load_dword s6, s[0:1], 0x20
	s_load_dwordx2 s[8:9], s[0:1], 0x0
	s_load_dwordx2 s[4:5], s[0:1], 0x10
	;; [unrolled: 1-line block ×3, first 2 shown]
	s_mov_b32 s3, 0
	s_waitcnt lgkmcnt(0)
	s_ashr_i32 s7, s6, 31
	s_lshl_b64 s[10:11], s[2:3], 3
	s_add_u32 s4, s4, s10
	s_addc_u32 s5, s5, s11
	s_add_i32 s3, s6, 1
	s_lshr_b32 s10, s3, 31
	s_load_dwordx2 s[4:5], s[4:5], 0x0
	s_add_i32 s3, s3, s10
	s_lshl_b32 s3, s3, 1
	s_and_b32 s10, s3, -4
	s_mul_hi_u32 s3, s6, s2
	s_mul_i32 s11, s7, s2
	s_add_i32 s13, s3, s11
	s_mul_i32 s12, s6, s2
	s_lshl_b64 s[12:13], s[12:13], 1
	v_mov_b64_e32 v[2:3], s[14:15]
	s_add_u32 s8, s8, s12
	s_waitcnt lgkmcnt(0)
	v_cmp_gt_i64_e64 s[16:17], s[4:5], -1
	v_cmp_lt_i64_e32 vcc, s[4:5], v[2:3]
	s_addc_u32 s3, s9, s13
	s_and_b64 s[14:15], s[16:17], vcc
	s_and_b32 s9, s3, 0xffff
	s_mov_b64 s[12:13], -1
	s_and_b64 vcc, exec, s[14:15]
	v_lshlrev_b32_e32 v2, 2, v0
	s_cbranch_vccnz .LBB208_5
; %bb.1:
	v_cmp_gt_i32_e32 vcc, s6, v2
	s_and_saveexec_b64 s[12:13], vcc
	s_cbranch_execz .LBB208_4
; %bb.2:
	s_load_dword s3, s[0:1], 0x3c
	v_mov_b32_e32 v3, 0
	s_mov_b32 s15, 0
	v_lshlrev_b32_e32 v6, 3, v0
	s_mov_b64 s[16:17], 0
	s_waitcnt lgkmcnt(0)
	s_and_b32 s3, s3, 0xffff
	s_lshl_b32 s14, s3, 2
	s_lshl_b32 s3, s3, 3
	s_mov_b32 s11, 0x20000
	v_mov_b32_e32 v0, v3
	v_mov_b32_e32 v1, v3
	v_mov_b64_e32 v[4:5], v[2:3]
.LBB208_3:                              ; =>This Inner Loop Header: Depth=1
	v_lshl_add_u64 v[4:5], s[14:15], 0, v[4:5]
	v_cmp_le_i64_e32 vcc, s[6:7], v[4:5]
	buffer_store_dwordx2 v[0:1], v6, s[8:11], 0 offen
	s_or_b64 s[16:17], vcc, s[16:17]
	v_add_u32_e32 v6, s3, v6
	s_andn2_b64 exec, exec, s[16:17]
	s_cbranch_execnz .LBB208_3
.LBB208_4:
	s_or_b64 exec, exec, s[12:13]
	s_mov_b64 s[12:13], 0
.LBB208_5:
	s_andn2_b64 vcc, exec, s[12:13]
	s_cbranch_vccnz .LBB208_9
; %bb.6:
	v_cmp_gt_i32_e32 vcc, s6, v2
	s_and_saveexec_b64 s[12:13], vcc
	s_cbranch_execz .LBB208_9
; %bb.7:
	s_load_dwordx2 s[18:19], s[0:1], 0x8
	s_load_dwordx2 s[12:13], s[0:1], 0x18
	s_mul_i32 s3, s6, s5
	s_mul_hi_u32 s5, s6, s4
	s_add_i32 s3, s5, s3
	s_mul_i32 s5, s7, s4
	s_add_i32 s5, s3, s5
	s_mul_i32 s4, s6, s4
	s_lshl_b64 s[4:5], s[4:5], 3
	s_waitcnt lgkmcnt(0)
	s_add_u32 s12, s12, s4
	s_addc_u32 s3, s13, s5
	s_lshl_b64 s[4:5], s[6:7], 2
	s_add_u32 s16, s12, s4
	s_addc_u32 s4, s3, s5
	s_and_b32 s13, s3, 0xffff
	s_and_b32 s17, s4, 0xffff
	s_mul_i32 s3, s2, s7
	s_mul_hi_u32 s4, s2, s6
	s_add_i32 s3, s4, s3
	s_mul_i32 s2, s2, s6
	s_lshl_b32 s14, s6, 2
	s_lshl_b64 s[2:3], s[2:3], 2
	s_add_u32 s20, s18, s2
	s_addc_u32 s4, s19, s3
	s_lshl_b64 s[2:3], s[6:7], 1
	s_add_u32 s24, s20, s2
	s_addc_u32 s2, s4, s3
	s_and_b32 s21, s4, 0xffff
	s_and_b32 s25, s2, 0xffff
	s_mov_b32 s11, 0x20000
	s_add_u32 s28, s0, 48
	s_mov_b32 s15, s11
	v_mov_b32_e32 v3, 0
	s_addc_u32 s29, s1, 0
	s_mov_b64 s[30:31], 0
	s_mov_b32 s35, 0
	s_mov_b32 s33, 0xbfb8aa3b
	;; [unrolled: 1-line block ×4, first 2 shown]
	v_mov_b32_e32 v0, 0x7f800000
	s_mov_b32 s22, s10
	s_mov_b32 s23, s11
	;; [unrolled: 1-line block ×4, first 2 shown]
.LBB208_8:                              ; =>This Inner Loop Header: Depth=1
	v_lshlrev_b32_e32 v1, 1, v2
	v_lshlrev_b32_e32 v16, 2, v2
	s_mov_b32 s18, s14
	s_mov_b32 s19, s15
	buffer_load_dwordx2 v[12:13], v1, s[24:27], 0 offen
	buffer_load_dwordx2 v[14:15], v1, s[20:23], 0 offen
	buffer_load_dwordx4 v[4:7], v16, s[12:15], 0 offen
	buffer_load_dwordx4 v[8:11], v16, s[16:19], 0 offen
	s_waitcnt vmcnt(3)
	v_cvt_f32_f16_e32 v16, v12
	s_waitcnt vmcnt(2)
	v_cvt_f32_f16_e32 v18, v14
	v_cvt_f32_f16_sdwa v19, v14 dst_sel:DWORD dst_unused:UNUSED_PAD src0_sel:WORD_1
	v_cvt_f32_f16_e32 v14, v15
	v_cvt_f32_f16_sdwa v15, v15 dst_sel:DWORD dst_unused:UNUSED_PAD src0_sel:WORD_1
	v_cvt_f32_f16_sdwa v17, v12 dst_sel:DWORD dst_unused:UNUSED_PAD src0_sel:WORD_1
	v_cvt_f32_f16_e32 v12, v13
	v_cvt_f32_f16_sdwa v13, v13 dst_sel:DWORD dst_unused:UNUSED_PAD src0_sel:WORD_1
	s_waitcnt vmcnt(1)
	v_pk_add_f32 v[4:5], v[4:5], v[18:19]
	v_pk_add_f32 v[6:7], v[6:7], v[14:15]
	s_waitcnt vmcnt(0)
	v_pk_add_f32 v[8:9], v[8:9], v[16:17]
	v_pk_add_f32 v[10:11], v[10:11], v[12:13]
	v_mul_f32_e32 v12, 0xbfb8aa3b, v4
	v_mul_f32_e32 v13, 0xbfb8aa3b, v5
	;; [unrolled: 1-line block ×4, first 2 shown]
	v_fma_f32 v16, v4, s33, -v12
	v_rndne_f32_e32 v17, v12
	v_fma_f32 v18, v5, s33, -v13
	v_rndne_f32_e32 v19, v13
	;; [unrolled: 2-line block ×4, first 2 shown]
	v_fmac_f32_e32 v16, 0xb2a5705f, v4
	v_sub_f32_e32 v12, v12, v17
	v_fmac_f32_e32 v18, 0xb2a5705f, v5
	v_sub_f32_e32 v13, v13, v19
	;; [unrolled: 2-line block ×4, first 2 shown]
	v_add_f32_e32 v12, v12, v16
	v_add_f32_e32 v13, v13, v18
	;; [unrolled: 1-line block ×4, first 2 shown]
	v_cvt_i32_f32_e32 v17, v17
	v_cvt_i32_f32_e32 v19, v19
	;; [unrolled: 1-line block ×4, first 2 shown]
	v_exp_f32_e32 v12, v12
	v_exp_f32_e32 v13, v13
	;; [unrolled: 1-line block ×4, first 2 shown]
	v_ldexp_f32 v12, v12, v17
	v_ldexp_f32 v13, v13, v19
	v_cmp_nlt_f32_e32 vcc, s36, v5
	v_ldexp_f32 v14, v14, v21
	v_cmp_nlt_f32_e64 s[0:1], s36, v6
	v_ldexp_f32 v15, v15, v23
	v_cmp_nlt_f32_e64 s[2:3], s36, v7
	v_cmp_nlt_f32_e64 s[4:5], s36, v4
	v_cndmask_b32_e32 v13, 0, v13, vcc
	v_cmp_ngt_f32_e32 vcc, s37, v5
	v_cndmask_b32_e64 v12, 0, v12, s[4:5]
	v_cndmask_b32_e64 v14, 0, v14, s[0:1]
	v_cmp_ngt_f32_e64 s[0:1], s37, v6
	v_cndmask_b32_e64 v15, 0, v15, s[2:3]
	v_cmp_ngt_f32_e64 s[2:3], s37, v7
	v_cmp_ngt_f32_e64 s[4:5], s37, v4
	v_cndmask_b32_e32 v13, v0, v13, vcc
	v_cndmask_b32_e64 v14, v0, v14, s[0:1]
	v_cndmask_b32_e64 v12, v0, v12, s[4:5]
	;; [unrolled: 1-line block ×3, first 2 shown]
	v_add_f32_e32 v12, 1.0, v12
	v_add_f32_e32 v13, 1.0, v13
	;; [unrolled: 1-line block ×4, first 2 shown]
	v_rcp_f32_e32 v12, v12
	v_rcp_f32_e32 v13, v13
	;; [unrolled: 1-line block ×4, first 2 shown]
	v_pk_mul_f32 v[4:5], v[4:5], v[12:13]
	s_nop 0
	;;#ASMSTART
	v_pk_mul_f32 v[4:5], v[4:5], v[8:9]
	;;#ASMEND
	v_pk_mul_f32 v[6:7], v[6:7], v[14:15]
	v_cvt_f16_f32_e32 v4, v4
	;;#ASMSTART
	v_pk_mul_f32 v[6:7], v[6:7], v[10:11]
	;;#ASMEND
	s_load_dword s0, s[28:29], 0xc
	v_cvt_f16_f32_e32 v6, v6
	v_cvt_f16_f32_e32 v7, v7
	;; [unrolled: 1-line block ×3, first 2 shown]
	s_waitcnt lgkmcnt(0)
	s_and_b32 s0, s0, 0xffff
	s_lshl_b32 s34, s0, 2
	v_lshl_add_u64 v[2:3], s[34:35], 0, v[2:3]
	v_cmp_le_i64_e32 vcc, s[6:7], v[2:3]
	v_pack_b32_f16 v5, v6, v7
	v_pack_b32_f16 v4, v4, v8
	s_or_b64 s[30:31], vcc, s[30:31]
	buffer_store_dwordx2 v[4:5], v1, s[8:11], 0 offen
	s_andn2_b64 exec, exec, s[30:31]
	s_cbranch_execnz .LBB208_8
.LBB208_9:
	s_endpgm
	.section	.rodata,"a",@progbits
	.p2align	6, 0x0
	.amdhsa_kernel _ZN5aiter23act_and_mul_bias_kernelIDF16_DF16_lfTnPFfRKT2_EXadL_ZNS_11silu_kernelIfEEfRKT_EELi4EEEvPT0_PS8_PKT1_PS2_il
		.amdhsa_group_segment_fixed_size 0
		.amdhsa_private_segment_fixed_size 0
		.amdhsa_kernarg_size 304
		.amdhsa_user_sgpr_count 2
		.amdhsa_user_sgpr_dispatch_ptr 0
		.amdhsa_user_sgpr_queue_ptr 0
		.amdhsa_user_sgpr_kernarg_segment_ptr 1
		.amdhsa_user_sgpr_dispatch_id 0
		.amdhsa_user_sgpr_kernarg_preload_length 0
		.amdhsa_user_sgpr_kernarg_preload_offset 0
		.amdhsa_user_sgpr_private_segment_size 0
		.amdhsa_uses_dynamic_stack 0
		.amdhsa_enable_private_segment 0
		.amdhsa_system_sgpr_workgroup_id_x 1
		.amdhsa_system_sgpr_workgroup_id_y 0
		.amdhsa_system_sgpr_workgroup_id_z 0
		.amdhsa_system_sgpr_workgroup_info 0
		.amdhsa_system_vgpr_workitem_id 0
		.amdhsa_next_free_vgpr 24
		.amdhsa_next_free_sgpr 38
		.amdhsa_accum_offset 24
		.amdhsa_reserve_vcc 1
		.amdhsa_float_round_mode_32 0
		.amdhsa_float_round_mode_16_64 0
		.amdhsa_float_denorm_mode_32 3
		.amdhsa_float_denorm_mode_16_64 3
		.amdhsa_dx10_clamp 1
		.amdhsa_ieee_mode 1
		.amdhsa_fp16_overflow 0
		.amdhsa_tg_split 0
		.amdhsa_exception_fp_ieee_invalid_op 0
		.amdhsa_exception_fp_denorm_src 0
		.amdhsa_exception_fp_ieee_div_zero 0
		.amdhsa_exception_fp_ieee_overflow 0
		.amdhsa_exception_fp_ieee_underflow 0
		.amdhsa_exception_fp_ieee_inexact 0
		.amdhsa_exception_int_div_zero 0
	.end_amdhsa_kernel
	.section	.text._ZN5aiter23act_and_mul_bias_kernelIDF16_DF16_lfTnPFfRKT2_EXadL_ZNS_11silu_kernelIfEEfRKT_EELi4EEEvPT0_PS8_PKT1_PS2_il,"axG",@progbits,_ZN5aiter23act_and_mul_bias_kernelIDF16_DF16_lfTnPFfRKT2_EXadL_ZNS_11silu_kernelIfEEfRKT_EELi4EEEvPT0_PS8_PKT1_PS2_il,comdat
.Lfunc_end208:
	.size	_ZN5aiter23act_and_mul_bias_kernelIDF16_DF16_lfTnPFfRKT2_EXadL_ZNS_11silu_kernelIfEEfRKT_EELi4EEEvPT0_PS8_PKT1_PS2_il, .Lfunc_end208-_ZN5aiter23act_and_mul_bias_kernelIDF16_DF16_lfTnPFfRKT2_EXadL_ZNS_11silu_kernelIfEEfRKT_EELi4EEEvPT0_PS8_PKT1_PS2_il
                                        ; -- End function
	.section	.AMDGPU.csdata,"",@progbits
; Kernel info:
; codeLenInByte = 1148
; NumSgprs: 44
; NumVgprs: 24
; NumAgprs: 0
; TotalNumVgprs: 24
; ScratchSize: 0
; MemoryBound: 0
; FloatMode: 240
; IeeeMode: 1
; LDSByteSize: 0 bytes/workgroup (compile time only)
; SGPRBlocks: 5
; VGPRBlocks: 2
; NumSGPRsForWavesPerEU: 44
; NumVGPRsForWavesPerEU: 24
; AccumOffset: 24
; Occupancy: 8
; WaveLimiterHint : 0
; COMPUTE_PGM_RSRC2:SCRATCH_EN: 0
; COMPUTE_PGM_RSRC2:USER_SGPR: 2
; COMPUTE_PGM_RSRC2:TRAP_HANDLER: 0
; COMPUTE_PGM_RSRC2:TGID_X_EN: 1
; COMPUTE_PGM_RSRC2:TGID_Y_EN: 0
; COMPUTE_PGM_RSRC2:TGID_Z_EN: 0
; COMPUTE_PGM_RSRC2:TIDIG_COMP_CNT: 0
; COMPUTE_PGM_RSRC3_GFX90A:ACCUM_OFFSET: 5
; COMPUTE_PGM_RSRC3_GFX90A:TG_SPLIT: 0
	.section	.text._ZN5aiter23act_and_mul_bias_kernelIDF16_DF16_lfTnPFfRKT2_EXadL_ZNS_11silu_kernelIfEEfRKT_EELi2EEEvPT0_PS8_PKT1_PS2_il,"axG",@progbits,_ZN5aiter23act_and_mul_bias_kernelIDF16_DF16_lfTnPFfRKT2_EXadL_ZNS_11silu_kernelIfEEfRKT_EELi2EEEvPT0_PS8_PKT1_PS2_il,comdat
	.protected	_ZN5aiter23act_and_mul_bias_kernelIDF16_DF16_lfTnPFfRKT2_EXadL_ZNS_11silu_kernelIfEEfRKT_EELi2EEEvPT0_PS8_PKT1_PS2_il ; -- Begin function _ZN5aiter23act_and_mul_bias_kernelIDF16_DF16_lfTnPFfRKT2_EXadL_ZNS_11silu_kernelIfEEfRKT_EELi2EEEvPT0_PS8_PKT1_PS2_il
	.globl	_ZN5aiter23act_and_mul_bias_kernelIDF16_DF16_lfTnPFfRKT2_EXadL_ZNS_11silu_kernelIfEEfRKT_EELi2EEEvPT0_PS8_PKT1_PS2_il
	.p2align	8
	.type	_ZN5aiter23act_and_mul_bias_kernelIDF16_DF16_lfTnPFfRKT2_EXadL_ZNS_11silu_kernelIfEEfRKT_EELi2EEEvPT0_PS8_PKT1_PS2_il,@function
_ZN5aiter23act_and_mul_bias_kernelIDF16_DF16_lfTnPFfRKT2_EXadL_ZNS_11silu_kernelIfEEfRKT_EELi2EEEvPT0_PS8_PKT1_PS2_il: ; @_ZN5aiter23act_and_mul_bias_kernelIDF16_DF16_lfTnPFfRKT2_EXadL_ZNS_11silu_kernelIfEEfRKT_EELi2EEEvPT0_PS8_PKT1_PS2_il
; %bb.0:
	s_load_dword s24, s[0:1], 0x20
	s_load_dwordx2 s[4:5], s[0:1], 0x0
	s_load_dwordx2 s[6:7], s[0:1], 0x10
	;; [unrolled: 1-line block ×3, first 2 shown]
	s_mov_b32 s3, 0
	s_waitcnt lgkmcnt(0)
	s_ashr_i32 s25, s24, 31
	s_lshl_b64 s[8:9], s[2:3], 3
	s_add_u32 s6, s6, s8
	s_addc_u32 s7, s7, s9
	s_add_i32 s3, s24, 1
	s_load_dwordx2 s[8:9], s[6:7], 0x0
	s_lshr_b32 s6, s3, 31
	s_add_i32 s3, s3, s6
	s_lshl_b32 s3, s3, 1
	s_and_b32 s6, s3, -4
	s_mul_hi_u32 s3, s24, s2
	s_mul_i32 s7, s25, s2
	s_add_i32 s11, s3, s7
	s_mul_i32 s10, s24, s2
	s_lshl_b64 s[10:11], s[10:11], 1
	v_mov_b64_e32 v[2:3], s[12:13]
	s_add_u32 s4, s4, s10
	s_waitcnt lgkmcnt(0)
	v_cmp_gt_i64_e64 s[14:15], s[8:9], -1
	v_cmp_lt_i64_e32 vcc, s[8:9], v[2:3]
	s_addc_u32 s3, s5, s11
	s_and_b64 s[12:13], s[14:15], vcc
	s_and_b32 s5, s3, 0xffff
	s_mov_b64 s[10:11], -1
	s_and_b64 vcc, exec, s[12:13]
	v_lshlrev_b32_e32 v2, 1, v0
	s_cbranch_vccnz .LBB209_5
; %bb.1:
	v_cmp_gt_i32_e32 vcc, s24, v2
	s_and_saveexec_b64 s[10:11], vcc
	s_cbranch_execz .LBB209_4
; %bb.2:
	s_load_dword s3, s[0:1], 0x3c
	v_mov_b32_e32 v3, 0
	s_mov_b32 s13, 0
	v_lshlrev_b32_e32 v4, 2, v0
	s_mov_b64 s[14:15], 0
	s_waitcnt lgkmcnt(0)
	s_and_b32 s3, s3, 0xffff
	s_lshl_b32 s12, s3, 1
	s_lshl_b32 s3, s3, 2
	s_mov_b32 s7, 0x20000
	v_mov_b64_e32 v[0:1], v[2:3]
.LBB209_3:                              ; =>This Inner Loop Header: Depth=1
	v_lshl_add_u64 v[0:1], s[12:13], 0, v[0:1]
	v_cmp_le_i64_e32 vcc, s[24:25], v[0:1]
	buffer_store_dword v3, v4, s[4:7], 0 offen
	s_or_b64 s[14:15], vcc, s[14:15]
	v_add_u32_e32 v4, s3, v4
	s_andn2_b64 exec, exec, s[14:15]
	s_cbranch_execnz .LBB209_3
.LBB209_4:
	s_or_b64 exec, exec, s[10:11]
	s_mov_b64 s[10:11], 0
.LBB209_5:
	s_andn2_b64 vcc, exec, s[10:11]
	s_cbranch_vccnz .LBB209_9
; %bb.6:
	v_cmp_gt_i32_e32 vcc, s24, v2
	s_and_saveexec_b64 s[10:11], vcc
	s_cbranch_execz .LBB209_9
; %bb.7:
	s_load_dwordx2 s[14:15], s[0:1], 0x8
	s_load_dwordx2 s[10:11], s[0:1], 0x18
	s_mul_i32 s3, s24, s9
	s_mul_hi_u32 s7, s24, s8
	s_add_i32 s3, s7, s3
	s_mul_i32 s7, s25, s8
	s_add_i32 s9, s3, s7
	s_mul_i32 s8, s24, s8
	s_lshl_b64 s[8:9], s[8:9], 3
	s_waitcnt lgkmcnt(0)
	s_add_u32 s8, s10, s8
	s_addc_u32 s3, s11, s9
	s_lshl_b64 s[10:11], s[24:25], 2
	s_add_u32 s12, s8, s10
	s_addc_u32 s13, s3, s11
	s_and_b32 s9, s3, 0xffff
	s_mul_i32 s3, s2, s25
	s_mul_hi_u32 s16, s2, s24
	s_add_i32 s3, s16, s3
	s_mul_i32 s2, s2, s24
	s_lshl_b32 s10, s24, 2
	s_and_b32 s13, s13, 0xffff
	s_lshl_b64 s[2:3], s[2:3], 2
	s_add_u32 s16, s14, s2
	s_addc_u32 s14, s15, s3
	s_lshl_b64 s[2:3], s[24:25], 1
	s_add_u32 s20, s16, s2
	s_addc_u32 s2, s14, s3
	s_and_b32 s17, s14, 0xffff
	s_and_b32 s21, s2, 0xffff
	s_mov_b32 s7, 0x20000
	s_add_u32 s2, s0, 48
	s_mov_b32 s11, s7
	v_mov_b32_e32 v3, 0
	s_addc_u32 s3, s1, 0
	s_mov_b64 s[26:27], 0
	s_mov_b32 s29, 0
	s_mov_b32 s30, 0xbfb8aa3b
	;; [unrolled: 1-line block ×4, first 2 shown]
	v_mov_b32_e32 v0, 0x7f800000
	s_mov_b32 s18, s6
	s_mov_b32 s19, s7
	;; [unrolled: 1-line block ×4, first 2 shown]
.LBB209_8:                              ; =>This Inner Loop Header: Depth=1
	v_lshlrev_b32_e32 v1, 1, v2
	v_lshlrev_b32_e32 v8, 2, v2
	s_mov_b32 s14, s10
	s_mov_b32 s15, s11
	buffer_load_dword v9, v1, s[20:23], 0 offen
	buffer_load_dword v11, v1, s[16:19], 0 offen
	buffer_load_dwordx2 v[4:5], v8, s[8:11], 0 offen
	buffer_load_dwordx2 v[6:7], v8, s[12:15], 0 offen
	s_waitcnt vmcnt(3)
	v_cvt_f32_f16_e32 v8, v9
	s_waitcnt vmcnt(2)
	v_cvt_f32_f16_e32 v10, v11
	v_cvt_f32_f16_sdwa v11, v11 dst_sel:DWORD dst_unused:UNUSED_PAD src0_sel:WORD_1
	v_cvt_f32_f16_sdwa v9, v9 dst_sel:DWORD dst_unused:UNUSED_PAD src0_sel:WORD_1
	s_waitcnt vmcnt(1)
	v_pk_add_f32 v[4:5], v[4:5], v[10:11]
	s_waitcnt vmcnt(0)
	v_pk_add_f32 v[6:7], v[6:7], v[8:9]
	v_mul_f32_e32 v8, 0xbfb8aa3b, v5
	v_mul_f32_e32 v9, 0xbfb8aa3b, v4
	v_fma_f32 v10, v5, s30, -v8
	v_rndne_f32_e32 v11, v8
	v_fma_f32 v12, v4, s30, -v9
	v_rndne_f32_e32 v13, v9
	v_fmac_f32_e32 v10, 0xb2a5705f, v5
	v_sub_f32_e32 v8, v8, v11
	v_fmac_f32_e32 v12, 0xb2a5705f, v4
	v_sub_f32_e32 v9, v9, v13
	v_add_f32_e32 v8, v8, v10
	v_add_f32_e32 v9, v9, v12
	v_cvt_i32_f32_e32 v11, v11
	v_cvt_i32_f32_e32 v13, v13
	v_exp_f32_e32 v8, v8
	v_exp_f32_e32 v9, v9
	v_cmp_nlt_f32_e32 vcc, s31, v4
	v_cmp_nlt_f32_e64 s[0:1], s31, v5
	v_ldexp_f32 v8, v8, v11
	v_ldexp_f32 v9, v9, v13
	v_cndmask_b32_e64 v8, 0, v8, s[0:1]
	v_cndmask_b32_e32 v9, 0, v9, vcc
	v_cmp_ngt_f32_e32 vcc, s33, v4
	v_cmp_ngt_f32_e64 s[0:1], s33, v5
	s_nop 0
	v_cndmask_b32_e32 v9, v0, v9, vcc
	v_cndmask_b32_e64 v8, v0, v8, s[0:1]
	v_add_f32_e32 v8, 1.0, v8
	v_add_f32_e32 v10, 1.0, v9
	v_rcp_f32_e32 v9, v8
	v_rcp_f32_e32 v8, v10
	s_nop 0
	v_pk_mul_f32 v[4:5], v[4:5], v[8:9]
	s_nop 0
	;;#ASMSTART
	v_pk_mul_f32 v[4:5], v[4:5], v[6:7]
	;;#ASMEND
	s_load_dword s0, s[2:3], 0xc
	v_cvt_f16_f32_e32 v4, v4
	v_cvt_f16_f32_e32 v5, v5
	s_waitcnt lgkmcnt(0)
	s_and_b32 s0, s0, 0xffff
	s_lshl_b32 s28, s0, 1
	v_lshl_add_u64 v[2:3], s[28:29], 0, v[2:3]
	v_cmp_le_i64_e32 vcc, s[24:25], v[2:3]
	v_pack_b32_f16 v4, v4, v5
	s_or_b64 s[26:27], vcc, s[26:27]
	buffer_store_dword v4, v1, s[4:7], 0 offen
	s_andn2_b64 exec, exec, s[26:27]
	s_cbranch_execnz .LBB209_8
.LBB209_9:
	s_endpgm
	.section	.rodata,"a",@progbits
	.p2align	6, 0x0
	.amdhsa_kernel _ZN5aiter23act_and_mul_bias_kernelIDF16_DF16_lfTnPFfRKT2_EXadL_ZNS_11silu_kernelIfEEfRKT_EELi2EEEvPT0_PS8_PKT1_PS2_il
		.amdhsa_group_segment_fixed_size 0
		.amdhsa_private_segment_fixed_size 0
		.amdhsa_kernarg_size 304
		.amdhsa_user_sgpr_count 2
		.amdhsa_user_sgpr_dispatch_ptr 0
		.amdhsa_user_sgpr_queue_ptr 0
		.amdhsa_user_sgpr_kernarg_segment_ptr 1
		.amdhsa_user_sgpr_dispatch_id 0
		.amdhsa_user_sgpr_kernarg_preload_length 0
		.amdhsa_user_sgpr_kernarg_preload_offset 0
		.amdhsa_user_sgpr_private_segment_size 0
		.amdhsa_uses_dynamic_stack 0
		.amdhsa_enable_private_segment 0
		.amdhsa_system_sgpr_workgroup_id_x 1
		.amdhsa_system_sgpr_workgroup_id_y 0
		.amdhsa_system_sgpr_workgroup_id_z 0
		.amdhsa_system_sgpr_workgroup_info 0
		.amdhsa_system_vgpr_workitem_id 0
		.amdhsa_next_free_vgpr 14
		.amdhsa_next_free_sgpr 34
		.amdhsa_accum_offset 16
		.amdhsa_reserve_vcc 1
		.amdhsa_float_round_mode_32 0
		.amdhsa_float_round_mode_16_64 0
		.amdhsa_float_denorm_mode_32 3
		.amdhsa_float_denorm_mode_16_64 3
		.amdhsa_dx10_clamp 1
		.amdhsa_ieee_mode 1
		.amdhsa_fp16_overflow 0
		.amdhsa_tg_split 0
		.amdhsa_exception_fp_ieee_invalid_op 0
		.amdhsa_exception_fp_denorm_src 0
		.amdhsa_exception_fp_ieee_div_zero 0
		.amdhsa_exception_fp_ieee_overflow 0
		.amdhsa_exception_fp_ieee_underflow 0
		.amdhsa_exception_fp_ieee_inexact 0
		.amdhsa_exception_int_div_zero 0
	.end_amdhsa_kernel
	.section	.text._ZN5aiter23act_and_mul_bias_kernelIDF16_DF16_lfTnPFfRKT2_EXadL_ZNS_11silu_kernelIfEEfRKT_EELi2EEEvPT0_PS8_PKT1_PS2_il,"axG",@progbits,_ZN5aiter23act_and_mul_bias_kernelIDF16_DF16_lfTnPFfRKT2_EXadL_ZNS_11silu_kernelIfEEfRKT_EELi2EEEvPT0_PS8_PKT1_PS2_il,comdat
.Lfunc_end209:
	.size	_ZN5aiter23act_and_mul_bias_kernelIDF16_DF16_lfTnPFfRKT2_EXadL_ZNS_11silu_kernelIfEEfRKT_EELi2EEEvPT0_PS8_PKT1_PS2_il, .Lfunc_end209-_ZN5aiter23act_and_mul_bias_kernelIDF16_DF16_lfTnPFfRKT2_EXadL_ZNS_11silu_kernelIfEEfRKT_EELi2EEEvPT0_PS8_PKT1_PS2_il
                                        ; -- End function
	.section	.AMDGPU.csdata,"",@progbits
; Kernel info:
; codeLenInByte = 892
; NumSgprs: 40
; NumVgprs: 14
; NumAgprs: 0
; TotalNumVgprs: 14
; ScratchSize: 0
; MemoryBound: 0
; FloatMode: 240
; IeeeMode: 1
; LDSByteSize: 0 bytes/workgroup (compile time only)
; SGPRBlocks: 4
; VGPRBlocks: 1
; NumSGPRsForWavesPerEU: 40
; NumVGPRsForWavesPerEU: 14
; AccumOffset: 16
; Occupancy: 8
; WaveLimiterHint : 0
; COMPUTE_PGM_RSRC2:SCRATCH_EN: 0
; COMPUTE_PGM_RSRC2:USER_SGPR: 2
; COMPUTE_PGM_RSRC2:TRAP_HANDLER: 0
; COMPUTE_PGM_RSRC2:TGID_X_EN: 1
; COMPUTE_PGM_RSRC2:TGID_Y_EN: 0
; COMPUTE_PGM_RSRC2:TGID_Z_EN: 0
; COMPUTE_PGM_RSRC2:TIDIG_COMP_CNT: 0
; COMPUTE_PGM_RSRC3_GFX90A:ACCUM_OFFSET: 3
; COMPUTE_PGM_RSRC3_GFX90A:TG_SPLIT: 0
	.section	.text._ZN5aiter23act_and_mul_bias_kernelIDF16_DF16_lfTnPFfRKT2_EXadL_ZNS_11silu_kernelIfEEfRKT_EELi1EEEvPT0_PS8_PKT1_PS2_il,"axG",@progbits,_ZN5aiter23act_and_mul_bias_kernelIDF16_DF16_lfTnPFfRKT2_EXadL_ZNS_11silu_kernelIfEEfRKT_EELi1EEEvPT0_PS8_PKT1_PS2_il,comdat
	.protected	_ZN5aiter23act_and_mul_bias_kernelIDF16_DF16_lfTnPFfRKT2_EXadL_ZNS_11silu_kernelIfEEfRKT_EELi1EEEvPT0_PS8_PKT1_PS2_il ; -- Begin function _ZN5aiter23act_and_mul_bias_kernelIDF16_DF16_lfTnPFfRKT2_EXadL_ZNS_11silu_kernelIfEEfRKT_EELi1EEEvPT0_PS8_PKT1_PS2_il
	.globl	_ZN5aiter23act_and_mul_bias_kernelIDF16_DF16_lfTnPFfRKT2_EXadL_ZNS_11silu_kernelIfEEfRKT_EELi1EEEvPT0_PS8_PKT1_PS2_il
	.p2align	8
	.type	_ZN5aiter23act_and_mul_bias_kernelIDF16_DF16_lfTnPFfRKT2_EXadL_ZNS_11silu_kernelIfEEfRKT_EELi1EEEvPT0_PS8_PKT1_PS2_il,@function
_ZN5aiter23act_and_mul_bias_kernelIDF16_DF16_lfTnPFfRKT2_EXadL_ZNS_11silu_kernelIfEEfRKT_EELi1EEEvPT0_PS8_PKT1_PS2_il: ; @_ZN5aiter23act_and_mul_bias_kernelIDF16_DF16_lfTnPFfRKT2_EXadL_ZNS_11silu_kernelIfEEfRKT_EELi1EEEvPT0_PS8_PKT1_PS2_il
; %bb.0:
	s_load_dword s20, s[0:1], 0x20
	s_load_dwordx2 s[4:5], s[0:1], 0x0
	s_load_dwordx2 s[6:7], s[0:1], 0x10
	;; [unrolled: 1-line block ×3, first 2 shown]
	s_mov_b32 s3, 0
	s_waitcnt lgkmcnt(0)
	s_ashr_i32 s21, s20, 31
	s_lshl_b64 s[8:9], s[2:3], 3
	s_add_u32 s6, s6, s8
	s_addc_u32 s7, s7, s9
	s_add_i32 s3, s20, 1
	s_lshr_b32 s8, s3, 31
	s_add_i32 s3, s3, s8
	s_load_dwordx2 s[6:7], s[6:7], 0x0
	s_lshl_b32 s3, s3, 1
	s_and_b32 s10, s3, -4
	s_mul_hi_u32 s3, s20, s2
	s_mul_i32 s8, s21, s2
	s_add_i32 s9, s3, s8
	s_mul_i32 s8, s20, s2
	s_lshl_b64 s[8:9], s[8:9], 1
	s_add_u32 s8, s4, s8
	v_mov_b64_e32 v[2:3], s[14:15]
	s_addc_u32 s3, s5, s9
	s_waitcnt lgkmcnt(0)
	v_cmp_gt_i64_e64 s[4:5], s[6:7], -1
	v_cmp_lt_i64_e32 vcc, s[6:7], v[2:3]
	s_and_b64 s[4:5], s[4:5], vcc
	s_and_b32 s9, s3, 0xffff
	s_mov_b64 s[12:13], -1
	s_and_b64 vcc, exec, s[4:5]
	v_cmp_gt_i32_e64 s[4:5], s20, v0
	s_cbranch_vccnz .LBB210_5
; %bb.1:
	s_and_saveexec_b64 s[12:13], s[4:5]
	s_cbranch_execz .LBB210_4
; %bb.2:
	s_load_dword s3, s[0:1], 0x3c
	v_mov_b32_e32 v1, 0
	s_mov_b32 s5, 0
	v_lshlrev_b32_e32 v4, 1, v0
	s_mov_b64 s[14:15], 0
	s_waitcnt lgkmcnt(0)
	s_and_b32 s4, s3, 0xffff
	s_lshl_b32 s3, s4, 1
	s_mov_b32 s11, 0x20000
	v_mov_b64_e32 v[2:3], v[0:1]
.LBB210_3:                              ; =>This Inner Loop Header: Depth=1
	v_lshl_add_u64 v[2:3], v[2:3], 0, s[4:5]
	v_cmp_le_i64_e32 vcc, s[20:21], v[2:3]
	buffer_store_short v1, v4, s[8:11], 0 offen
	s_or_b64 s[14:15], vcc, s[14:15]
	v_add_u32_e32 v4, s3, v4
	s_andn2_b64 exec, exec, s[14:15]
	s_cbranch_execnz .LBB210_3
.LBB210_4:
	s_or_b64 exec, exec, s[12:13]
	s_mov_b64 s[12:13], 0
.LBB210_5:
	s_andn2_b64 vcc, exec, s[12:13]
	s_cbranch_vccnz .LBB210_9
; %bb.6:
	v_cmp_gt_i32_e32 vcc, s20, v0
	s_and_saveexec_b64 s[4:5], vcc
	s_cbranch_execz .LBB210_9
; %bb.7:
	s_mul_i32 s3, s20, s7
	s_mul_hi_u32 s4, s20, s6
	s_add_i32 s3, s4, s3
	s_load_dwordx2 s[12:13], s[0:1], 0x8
	s_load_dwordx2 s[4:5], s[0:1], 0x18
	s_mul_i32 s7, s21, s6
	s_add_i32 s7, s3, s7
	s_mul_i32 s6, s20, s6
	s_lshl_b64 s[6:7], s[6:7], 3
	s_waitcnt lgkmcnt(0)
	s_add_u32 s4, s4, s6
	s_load_dword s14, s[0:1], 0x3c
	s_addc_u32 s3, s5, s7
	s_lshl_b64 s[0:1], s[20:21], 2
	s_add_u32 s0, s4, s0
	s_addc_u32 s1, s3, s1
	s_and_b32 s5, s3, 0xffff
	s_mul_i32 s3, s2, s21
	s_mul_hi_u32 s15, s2, s20
	s_add_i32 s3, s15, s3
	s_mul_i32 s2, s2, s20
	s_lshl_b32 s6, s20, 2
	s_and_b32 s1, s1, 0xffff
	s_lshl_b64 s[2:3], s[2:3], 2
	s_add_u32 s12, s12, s2
	s_addc_u32 s13, s13, s3
	s_lshl_b64 s[2:3], s[20:21], 1
	s_add_u32 s16, s12, s2
	s_mov_b32 s11, 0x20000
	s_addc_u32 s2, s13, s3
	s_waitcnt lgkmcnt(0)
	s_and_b32 s22, s14, 0xffff
	s_mov_b32 s7, s11
	s_and_b32 s13, s13, 0xffff
	s_and_b32 s17, s2, 0xffff
	s_mov_b32 s23, 0
	v_mov_b32_e32 v1, 0
	v_lshlrev_b32_e32 v2, 2, v0
	s_lshl_b32 s26, s22, 2
	v_lshlrev_b32_e32 v3, 1, v0
	s_lshl_b32 s27, s22, 1
	s_mov_b64 s[24:25], 0
	s_mov_b32 s28, 0xbfb8aa3b
	s_mov_b32 s29, 0x42ce8ed0
	;; [unrolled: 1-line block ×3, first 2 shown]
	v_mov_b32_e32 v4, 0x7f800000
	s_mov_b32 s14, s10
	s_mov_b32 s15, s11
	;; [unrolled: 1-line block ×4, first 2 shown]
.LBB210_8:                              ; =>This Inner Loop Header: Depth=1
	buffer_load_ushort v5, v3, s[12:15], 0 offen
	buffer_load_ushort v8, v3, s[16:19], 0 offen
	s_mov_b32 s2, s6
	s_mov_b32 s3, s7
	buffer_load_dword v7, v2, s[4:7], 0 offen
	buffer_load_dword v6, v2, s[0:3], 0 offen
	v_lshl_add_u64 v[0:1], v[0:1], 0, s[22:23]
	v_add_u32_e32 v2, s26, v2
	s_waitcnt vmcnt(3)
	v_cvt_f32_f16_e32 v9, v5
	s_waitcnt vmcnt(2)
	v_cvt_f32_f16_e32 v8, v8
	s_waitcnt vmcnt(0)
	v_pk_add_f32 v[6:7], v[8:9], v[6:7]
	s_nop 0
	v_mul_f32_e32 v5, 0xbfb8aa3b, v7
	v_fma_f32 v8, v7, s28, -v5
	v_rndne_f32_e32 v9, v5
	v_fmac_f32_e32 v8, 0xb2a5705f, v7
	v_sub_f32_e32 v5, v5, v9
	v_add_f32_e32 v5, v5, v8
	v_cvt_i32_f32_e32 v9, v9
	v_exp_f32_e32 v5, v5
	v_cmp_nlt_f32_e32 vcc, s29, v7
	v_ldexp_f32 v5, v5, v9
	s_nop 0
	v_cndmask_b32_e32 v5, 0, v5, vcc
	v_cmp_ngt_f32_e32 vcc, s30, v7
	s_nop 1
	v_cndmask_b32_e32 v5, v4, v5, vcc
	v_add_f32_e32 v5, 1.0, v5
	v_rcp_f32_e32 v5, v5
	v_cmp_le_i64_e32 vcc, s[20:21], v[0:1]
	s_or_b64 s[24:25], vcc, s[24:25]
	v_mul_f32_e32 v5, v7, v5
	v_fma_mixlo_f16 v5, v6, v5, 0
	buffer_store_short v5, v3, s[8:11], 0 offen
	v_add_u32_e32 v3, s27, v3
	s_andn2_b64 exec, exec, s[24:25]
	s_cbranch_execnz .LBB210_8
.LBB210_9:
	s_endpgm
	.section	.rodata,"a",@progbits
	.p2align	6, 0x0
	.amdhsa_kernel _ZN5aiter23act_and_mul_bias_kernelIDF16_DF16_lfTnPFfRKT2_EXadL_ZNS_11silu_kernelIfEEfRKT_EELi1EEEvPT0_PS8_PKT1_PS2_il
		.amdhsa_group_segment_fixed_size 0
		.amdhsa_private_segment_fixed_size 0
		.amdhsa_kernarg_size 304
		.amdhsa_user_sgpr_count 2
		.amdhsa_user_sgpr_dispatch_ptr 0
		.amdhsa_user_sgpr_queue_ptr 0
		.amdhsa_user_sgpr_kernarg_segment_ptr 1
		.amdhsa_user_sgpr_dispatch_id 0
		.amdhsa_user_sgpr_kernarg_preload_length 0
		.amdhsa_user_sgpr_kernarg_preload_offset 0
		.amdhsa_user_sgpr_private_segment_size 0
		.amdhsa_uses_dynamic_stack 0
		.amdhsa_enable_private_segment 0
		.amdhsa_system_sgpr_workgroup_id_x 1
		.amdhsa_system_sgpr_workgroup_id_y 0
		.amdhsa_system_sgpr_workgroup_id_z 0
		.amdhsa_system_sgpr_workgroup_info 0
		.amdhsa_system_vgpr_workitem_id 0
		.amdhsa_next_free_vgpr 10
		.amdhsa_next_free_sgpr 31
		.amdhsa_accum_offset 12
		.amdhsa_reserve_vcc 1
		.amdhsa_float_round_mode_32 0
		.amdhsa_float_round_mode_16_64 0
		.amdhsa_float_denorm_mode_32 3
		.amdhsa_float_denorm_mode_16_64 3
		.amdhsa_dx10_clamp 1
		.amdhsa_ieee_mode 1
		.amdhsa_fp16_overflow 0
		.amdhsa_tg_split 0
		.amdhsa_exception_fp_ieee_invalid_op 0
		.amdhsa_exception_fp_denorm_src 0
		.amdhsa_exception_fp_ieee_div_zero 0
		.amdhsa_exception_fp_ieee_overflow 0
		.amdhsa_exception_fp_ieee_underflow 0
		.amdhsa_exception_fp_ieee_inexact 0
		.amdhsa_exception_int_div_zero 0
	.end_amdhsa_kernel
	.section	.text._ZN5aiter23act_and_mul_bias_kernelIDF16_DF16_lfTnPFfRKT2_EXadL_ZNS_11silu_kernelIfEEfRKT_EELi1EEEvPT0_PS8_PKT1_PS2_il,"axG",@progbits,_ZN5aiter23act_and_mul_bias_kernelIDF16_DF16_lfTnPFfRKT2_EXadL_ZNS_11silu_kernelIfEEfRKT_EELi1EEEvPT0_PS8_PKT1_PS2_il,comdat
.Lfunc_end210:
	.size	_ZN5aiter23act_and_mul_bias_kernelIDF16_DF16_lfTnPFfRKT2_EXadL_ZNS_11silu_kernelIfEEfRKT_EELi1EEEvPT0_PS8_PKT1_PS2_il, .Lfunc_end210-_ZN5aiter23act_and_mul_bias_kernelIDF16_DF16_lfTnPFfRKT2_EXadL_ZNS_11silu_kernelIfEEfRKT_EELi1EEEvPT0_PS8_PKT1_PS2_il
                                        ; -- End function
	.section	.AMDGPU.csdata,"",@progbits
; Kernel info:
; codeLenInByte = 752
; NumSgprs: 37
; NumVgprs: 10
; NumAgprs: 0
; TotalNumVgprs: 10
; ScratchSize: 0
; MemoryBound: 0
; FloatMode: 240
; IeeeMode: 1
; LDSByteSize: 0 bytes/workgroup (compile time only)
; SGPRBlocks: 4
; VGPRBlocks: 1
; NumSGPRsForWavesPerEU: 37
; NumVGPRsForWavesPerEU: 10
; AccumOffset: 12
; Occupancy: 8
; WaveLimiterHint : 0
; COMPUTE_PGM_RSRC2:SCRATCH_EN: 0
; COMPUTE_PGM_RSRC2:USER_SGPR: 2
; COMPUTE_PGM_RSRC2:TRAP_HANDLER: 0
; COMPUTE_PGM_RSRC2:TGID_X_EN: 1
; COMPUTE_PGM_RSRC2:TGID_Y_EN: 0
; COMPUTE_PGM_RSRC2:TGID_Z_EN: 0
; COMPUTE_PGM_RSRC2:TIDIG_COMP_CNT: 0
; COMPUTE_PGM_RSRC3_GFX90A:ACCUM_OFFSET: 2
; COMPUTE_PGM_RSRC3_GFX90A:TG_SPLIT: 0
	.section	.text._ZN5aiter23act_and_mul_bias_kernelIttlfTnPFfRKT2_EXadL_ZNS_11silu_kernelIfEEfRKT_EELi32EEEvPT0_PS8_PKT1_PS2_il,"axG",@progbits,_ZN5aiter23act_and_mul_bias_kernelIttlfTnPFfRKT2_EXadL_ZNS_11silu_kernelIfEEfRKT_EELi32EEEvPT0_PS8_PKT1_PS2_il,comdat
	.protected	_ZN5aiter23act_and_mul_bias_kernelIttlfTnPFfRKT2_EXadL_ZNS_11silu_kernelIfEEfRKT_EELi32EEEvPT0_PS8_PKT1_PS2_il ; -- Begin function _ZN5aiter23act_and_mul_bias_kernelIttlfTnPFfRKT2_EXadL_ZNS_11silu_kernelIfEEfRKT_EELi32EEEvPT0_PS8_PKT1_PS2_il
	.globl	_ZN5aiter23act_and_mul_bias_kernelIttlfTnPFfRKT2_EXadL_ZNS_11silu_kernelIfEEfRKT_EELi32EEEvPT0_PS8_PKT1_PS2_il
	.p2align	8
	.type	_ZN5aiter23act_and_mul_bias_kernelIttlfTnPFfRKT2_EXadL_ZNS_11silu_kernelIfEEfRKT_EELi32EEEvPT0_PS8_PKT1_PS2_il,@function
_ZN5aiter23act_and_mul_bias_kernelIttlfTnPFfRKT2_EXadL_ZNS_11silu_kernelIfEEfRKT_EELi32EEEvPT0_PS8_PKT1_PS2_il: ; @_ZN5aiter23act_and_mul_bias_kernelIttlfTnPFfRKT2_EXadL_ZNS_11silu_kernelIfEEfRKT_EELi32EEEvPT0_PS8_PKT1_PS2_il
; %bb.0:
	s_load_dword s6, s[0:1], 0x20
	s_load_dwordx2 s[8:9], s[0:1], 0x0
	s_load_dwordx2 s[4:5], s[0:1], 0x10
	;; [unrolled: 1-line block ×3, first 2 shown]
	s_mov_b32 s3, 0
	s_waitcnt lgkmcnt(0)
	s_ashr_i32 s7, s6, 31
	s_lshl_b64 s[10:11], s[2:3], 3
	s_add_u32 s4, s4, s10
	s_addc_u32 s5, s5, s11
	s_add_i32 s3, s6, 1
	s_lshr_b32 s10, s3, 31
	s_load_dwordx2 s[4:5], s[4:5], 0x0
	s_add_i32 s3, s3, s10
	s_lshl_b32 s3, s3, 1
	s_and_b32 s10, s3, -4
	s_mul_hi_u32 s3, s6, s2
	s_mul_i32 s11, s7, s2
	s_add_i32 s13, s3, s11
	s_mul_i32 s12, s6, s2
	s_lshl_b64 s[12:13], s[12:13], 1
	v_mov_b64_e32 v[2:3], s[14:15]
	s_add_u32 s8, s8, s12
	s_waitcnt lgkmcnt(0)
	v_cmp_gt_i64_e64 s[16:17], s[4:5], -1
	v_cmp_lt_i64_e32 vcc, s[4:5], v[2:3]
	s_addc_u32 s3, s9, s13
	s_and_b64 s[14:15], s[16:17], vcc
	s_and_b32 s9, s3, 0xffff
	s_mov_b64 s[12:13], -1
	s_and_b64 vcc, exec, s[14:15]
	v_lshlrev_b32_e32 v4, 5, v0
	s_cbranch_vccnz .LBB211_5
; %bb.1:
	v_cmp_gt_i32_e32 vcc, s6, v4
	s_and_saveexec_b64 s[12:13], vcc
	s_cbranch_execz .LBB211_4
; %bb.2:
	s_load_dword s3, s[0:1], 0x3c
	s_mov_b32 s15, 0
	s_mov_b32 s20, s15
	;; [unrolled: 1-line block ×3, first 2 shown]
	v_mov_b32_e32 v5, 0
	v_lshlrev_b32_e32 v8, 6, v0
	s_waitcnt lgkmcnt(0)
	s_and_b32 s3, s3, 0xffff
	s_mov_b32 s22, s15
	s_mov_b32 s23, s15
	v_mov_b64_e32 v[0:1], s[20:21]
	s_lshl_b32 s14, s3, 5
	s_lshl_b32 s3, s3, 6
	s_mov_b64 s[16:17], 0
	s_mov_b32 s11, 0x20000
	v_mov_b64_e32 v[2:3], s[22:23]
	v_mov_b64_e32 v[6:7], v[4:5]
.LBB211_3:                              ; =>This Inner Loop Header: Depth=1
	v_lshl_add_u64 v[6:7], s[14:15], 0, v[6:7]
	v_cmp_le_i64_e32 vcc, s[6:7], v[6:7]
	buffer_store_dwordx4 v[0:3], v8, s[8:11], 0 offen
	buffer_store_dwordx4 v[0:3], v8, s[8:11], 16 offen
	buffer_store_dwordx4 v[0:3], v8, s[8:11], 32 offen
	buffer_store_dwordx4 v[0:3], v8, s[8:11], 48 offen
	s_or_b64 s[16:17], vcc, s[16:17]
	v_add_u32_e32 v8, s3, v8
	s_andn2_b64 exec, exec, s[16:17]
	s_cbranch_execnz .LBB211_3
.LBB211_4:
	s_or_b64 exec, exec, s[12:13]
	s_mov_b64 s[12:13], 0
.LBB211_5:
	s_andn2_b64 vcc, exec, s[12:13]
	s_cbranch_vccnz .LBB211_9
; %bb.6:
	v_cmp_gt_i32_e32 vcc, s6, v4
	s_and_saveexec_b64 s[12:13], vcc
	s_cbranch_execz .LBB211_9
; %bb.7:
	s_load_dwordx2 s[18:19], s[0:1], 0x8
	s_load_dwordx2 s[12:13], s[0:1], 0x18
	s_mul_i32 s3, s6, s5
	s_mul_hi_u32 s5, s6, s4
	s_add_i32 s3, s5, s3
	s_mul_i32 s5, s7, s4
	s_add_i32 s5, s3, s5
	s_mul_i32 s4, s6, s4
	s_lshl_b64 s[4:5], s[4:5], 3
	s_waitcnt lgkmcnt(0)
	s_add_u32 s12, s12, s4
	s_addc_u32 s3, s13, s5
	s_lshl_b64 s[4:5], s[6:7], 2
	s_add_u32 s16, s12, s4
	s_addc_u32 s4, s3, s5
	s_and_b32 s13, s3, 0xffff
	s_and_b32 s17, s4, 0xffff
	s_mul_i32 s3, s2, s7
	s_mul_hi_u32 s4, s2, s6
	s_add_i32 s3, s4, s3
	s_mul_i32 s2, s2, s6
	s_lshl_b32 s14, s6, 2
	s_lshl_b64 s[2:3], s[2:3], 2
	s_add_u32 s20, s18, s2
	s_addc_u32 s4, s19, s3
	s_lshl_b64 s[2:3], s[6:7], 1
	s_add_u32 s24, s20, s2
	s_addc_u32 s2, s4, s3
	s_and_b32 s21, s4, 0xffff
	s_and_b32 s25, s2, 0xffff
	s_mov_b32 s11, 0x20000
	s_add_u32 s28, s0, 48
	s_mov_b32 s15, s11
	v_mov_b32_e32 v5, 0
	s_addc_u32 s29, s1, 0
	s_mov_b64 s[30:31], 0
	s_mov_b32 s35, 0
	s_movk_i32 s33, 0x50
	s_movk_i32 s36, 0x60
	;; [unrolled: 1-line block ×3, first 2 shown]
	s_mov_b32 s38, 0xbfb8aa3b
	s_mov_b32 s39, 0x42ce8ed0
	;; [unrolled: 1-line block ×3, first 2 shown]
	v_mov_b32_e32 v76, 0x7f800000
	s_mov_b32 s41, 0x7060302
	s_mov_b32 s22, s10
	s_mov_b32 s23, s11
	s_mov_b32 s26, s10
	s_mov_b32 s27, s11
.LBB211_8:                              ; =>This Inner Loop Header: Depth=1
	v_lshlrev_b32_e32 v77, 1, v4
	buffer_load_dwordx4 v[10:13], v77, s[24:27], 0 offen
	buffer_load_dwordx4 v[14:17], v77, s[20:23], 0 offen
	;; [unrolled: 1-line block ×8, first 2 shown]
	s_mov_b32 s18, s14
	s_mov_b32 s19, s15
	v_lshlrev_b32_e32 v82, 2, v4
	buffer_load_dwordx4 v[78:81], v82, s[16:19], 64 offen
	s_waitcnt vmcnt(8)
	v_and_b32_e32 v1, 0xffff0000, v10
	v_lshlrev_b32_e32 v0, 16, v10
	s_waitcnt vmcnt(7)
	v_and_b32_e32 v63, 0xffff0000, v14
	v_lshlrev_b32_e32 v62, 16, v14
	v_and_b32_e32 v3, 0xffff0000, v11
	v_lshlrev_b32_e32 v2, 16, v11
	v_and_b32_e32 v65, 0xffff0000, v15
	v_lshlrev_b32_e32 v64, 16, v15
	v_and_b32_e32 v7, 0xffff0000, v12
	v_lshlrev_b32_e32 v6, 16, v12
	v_and_b32_e32 v11, 0xffff0000, v16
	v_lshlrev_b32_e32 v10, 16, v16
	v_and_b32_e32 v9, 0xffff0000, v13
	v_lshlrev_b32_e32 v8, 16, v13
	v_and_b32_e32 v57, 0xffff0000, v17
	v_lshlrev_b32_e32 v56, 16, v17
	s_waitcnt vmcnt(6)
	v_and_b32_e32 v13, 0xffff0000, v18
	v_lshlrev_b32_e32 v12, 16, v18
	s_waitcnt vmcnt(5)
	v_and_b32_e32 v55, 0xffff0000, v22
	v_lshlrev_b32_e32 v54, 16, v22
	v_and_b32_e32 v61, 0xffff0000, v19
	v_lshlrev_b32_e32 v60, 16, v19
	;; [unrolled: 2-line block ×7, first 2 shown]
	s_waitcnt vmcnt(4)
	v_and_b32_e32 v21, 0xffff0000, v26
	v_lshlrev_b32_e32 v20, 16, v26
	v_and_b32_e32 v49, 0xffff0000, v27
	v_lshlrev_b32_e32 v48, 16, v27
	v_and_b32_e32 v23, 0xffff0000, v28
	v_lshlrev_b32_e32 v22, 16, v28
	v_and_b32_e32 v25, 0xffff0000, v29
	v_lshlrev_b32_e32 v24, 16, v29
	s_waitcnt vmcnt(3)
	v_and_b32_e32 v51, 0xffff0000, v30
	v_lshlrev_b32_e32 v50, 16, v30
	v_and_b32_e32 v53, 0xffff0000, v31
	v_lshlrev_b32_e32 v52, 16, v31
	v_and_b32_e32 v27, 0xffff0000, v32
	v_lshlrev_b32_e32 v26, 16, v32
	v_and_b32_e32 v39, 0xffff0000, v33
	v_lshlrev_b32_e32 v38, 16, v33
	;; [unrolled: 9-line block ×4, first 2 shown]
	buffer_load_dwordx4 v[66:69], v82, s[16:19], 0 offen
	s_waitcnt vmcnt(0)
	v_pk_add_f32 v[0:1], v[66:67], v[0:1]
	v_pk_add_f32 v[2:3], v[68:69], v[2:3]
	buffer_load_dwordx4 v[66:69], v82, s[12:15], 0 offen
	s_waitcnt vmcnt(0)
	v_pk_add_f32 v[74:75], v[66:67], v[62:63]
	v_pk_add_f32 v[72:73], v[68:69], v[64:65]
	buffer_load_dwordx4 v[62:65], v82, s[16:19], 16 offen
	v_cmp_nlt_f32_e32 vcc, s39, v75
	v_cmp_nlt_f32_e64 s[0:1], s39, v74
	v_cmp_ngt_f32_e64 s[2:3], s40, v75
	v_cmp_ngt_f32_e64 s[4:5], s40, v74
	s_waitcnt vmcnt(0)
	v_pk_add_f32 v[6:7], v[62:63], v[6:7]
	v_pk_add_f32 v[8:9], v[64:65], v[8:9]
	buffer_load_dwordx4 v[62:65], v82, s[12:15], 16 offen
	s_waitcnt vmcnt(0)
	v_pk_add_f32 v[70:71], v[62:63], v[10:11]
	v_pk_add_f32 v[68:69], v[64:65], v[56:57]
	buffer_load_dwordx4 v[62:65], v82, s[16:19], 32 offen
	;; [unrolled: 4-line block ×4, first 2 shown]
	s_waitcnt vmcnt(0)
	v_pk_add_f32 v[16:17], v[58:59], v[16:17]
	buffer_load_dwordx4 v[58:61], v82, s[12:15], 48 offen
	v_pk_add_f32 v[14:15], v[56:57], v[14:15]
	s_waitcnt vmcnt(0)
	v_pk_add_f32 v[58:59], v[58:59], v[18:19]
	v_pk_add_f32 v[62:63], v[60:61], v[46:47]
	;; [unrolled: 1-line block ×4, first 2 shown]
	buffer_load_dwordx4 v[46:49], v82, s[12:15], 64 offen
	s_waitcnt vmcnt(0)
	v_pk_add_f32 v[64:65], v[46:47], v[50:51]
	v_pk_add_f32 v[60:61], v[48:49], v[52:53]
	buffer_load_dwordx4 v[46:49], v82, s[16:19], s33 offen
	s_waitcnt vmcnt(0)
	v_pk_add_f32 v[22:23], v[46:47], v[22:23]
	v_pk_add_f32 v[24:25], v[48:49], v[24:25]
	;; [unrolled: 4-line block ×5, first 2 shown]
	buffer_load_dwordx4 v[38:41], v82, s[16:19], s37 offen
	buffer_load_dwordx4 v[44:47], v82, s[12:15], s37 offen
	s_waitcnt vmcnt(1)
	v_pk_add_f32 v[32:33], v[40:41], v[32:33]
	s_waitcnt vmcnt(0)
	v_pk_add_f32 v[40:41], v[44:45], v[36:37]
	v_mul_f32_e32 v36, 0xbfb8aa3b, v74
	v_pk_add_f32 v[30:31], v[38:39], v[30:31]
	v_fma_f32 v37, v74, s38, -v36
	v_rndne_f32_e32 v38, v36
	v_fmac_f32_e32 v37, 0xb2a5705f, v74
	v_sub_f32_e32 v36, v36, v38
	v_add_f32_e32 v36, v36, v37
	v_mul_f32_e32 v37, 0xbfb8aa3b, v75
	v_cvt_i32_f32_e32 v38, v38
	v_exp_f32_e32 v36, v36
	v_fma_f32 v39, v75, s38, -v37
	v_rndne_f32_e32 v44, v37
	v_fmac_f32_e32 v39, 0xb2a5705f, v75
	v_sub_f32_e32 v37, v37, v44
	v_add_f32_e32 v37, v37, v39
	v_ldexp_f32 v36, v36, v38
	v_cvt_i32_f32_e32 v38, v44
	v_exp_f32_e32 v37, v37
	v_pk_add_f32 v[34:35], v[46:47], v[34:35]
	v_cndmask_b32_e64 v36, 0, v36, s[0:1]
	v_cmp_nlt_f32_e64 s[0:1], s39, v72
	v_ldexp_f32 v37, v37, v38
	v_mul_f32_e32 v38, 0xbfb8aa3b, v72
	v_fma_f32 v39, v72, s38, -v38
	v_rndne_f32_e32 v44, v38
	v_fmac_f32_e32 v39, 0xb2a5705f, v72
	v_sub_f32_e32 v38, v38, v44
	v_add_f32_e32 v38, v38, v39
	v_mul_f32_e32 v39, 0xbfb8aa3b, v73
	v_cvt_i32_f32_e32 v44, v44
	v_exp_f32_e32 v38, v38
	v_fma_f32 v45, v73, s38, -v39
	v_rndne_f32_e32 v46, v39
	v_fmac_f32_e32 v45, 0xb2a5705f, v73
	v_sub_f32_e32 v39, v39, v46
	v_add_f32_e32 v39, v39, v45
	v_ldexp_f32 v38, v38, v44
	v_cvt_i32_f32_e32 v44, v46
	v_exp_f32_e32 v39, v39
	v_cndmask_b32_e32 v37, 0, v37, vcc
	v_cmp_nlt_f32_e32 vcc, s39, v73
	v_cndmask_b32_e64 v36, v76, v36, s[4:5]
	v_ldexp_f32 v39, v39, v44
	v_mul_f32_e32 v44, 0xbfb8aa3b, v70
	v_fma_f32 v45, v70, s38, -v44
	v_rndne_f32_e32 v46, v44
	v_fmac_f32_e32 v45, 0xb2a5705f, v70
	v_sub_f32_e32 v44, v44, v46
	v_add_f32_e32 v44, v44, v45
	v_mul_f32_e32 v45, 0xbfb8aa3b, v71
	v_cvt_i32_f32_e32 v46, v46
	v_exp_f32_e32 v44, v44
	v_fma_f32 v47, v71, s38, -v45
	v_rndne_f32_e32 v50, v45
	v_fmac_f32_e32 v47, 0xb2a5705f, v71
	v_sub_f32_e32 v45, v45, v50
	v_add_f32_e32 v45, v45, v47
	v_ldexp_f32 v44, v44, v46
	v_cvt_i32_f32_e32 v46, v50
	v_exp_f32_e32 v45, v45
	v_cndmask_b32_e64 v37, v76, v37, s[2:3]
	v_cmp_ngt_f32_e64 s[2:3], s40, v73
	v_cmp_ngt_f32_e64 s[4:5], s40, v72
	v_cndmask_b32_e64 v38, 0, v38, s[0:1]
	v_cndmask_b32_e32 v39, 0, v39, vcc
	v_ldexp_f32 v45, v45, v46
	v_cmp_nlt_f32_e32 vcc, s39, v71
	v_cmp_nlt_f32_e64 s[0:1], s39, v70
	v_cndmask_b32_e64 v38, v76, v38, s[4:5]
	v_cndmask_b32_e64 v39, v76, v39, s[2:3]
	v_cmp_ngt_f32_e64 s[2:3], s40, v71
	v_cmp_ngt_f32_e64 s[4:5], s40, v70
	v_cndmask_b32_e64 v44, 0, v44, s[0:1]
	v_cndmask_b32_e32 v45, 0, v45, vcc
	v_cndmask_b32_e64 v44, v76, v44, s[4:5]
	v_cndmask_b32_e64 v45, v76, v45, s[2:3]
	v_add_f32_e32 v44, 1.0, v44
	v_add_f32_e32 v45, 1.0, v45
	v_mul_f32_e32 v46, 0xbfb8aa3b, v68
	v_rcp_f32_e32 v44, v44
	v_rcp_f32_e32 v45, v45
	v_fma_f32 v47, v68, s38, -v46
	v_rndne_f32_e32 v50, v46
	v_fmac_f32_e32 v47, 0xb2a5705f, v68
	v_sub_f32_e32 v46, v46, v50
	v_add_f32_e32 v46, v46, v47
	v_mul_f32_e32 v47, 0xbfb8aa3b, v69
	v_cvt_i32_f32_e32 v50, v50
	v_exp_f32_e32 v46, v46
	v_pk_mul_f32 v[44:45], v[70:71], v[44:45]
	v_fma_f32 v51, v69, s38, -v47
	v_rndne_f32_e32 v70, v47
	v_fmac_f32_e32 v51, 0xb2a5705f, v69
	v_sub_f32_e32 v47, v47, v70
	v_add_f32_e32 v47, v47, v51
	v_ldexp_f32 v46, v46, v50
	v_cvt_i32_f32_e32 v50, v70
	v_exp_f32_e32 v47, v47
	v_cmp_nlt_f32_e32 vcc, s39, v69
	v_cmp_nlt_f32_e64 s[0:1], s39, v68
	v_cmp_ngt_f32_e64 s[2:3], s40, v69
	v_ldexp_f32 v47, v47, v50
	v_cmp_ngt_f32_e64 s[4:5], s40, v68
	v_cndmask_b32_e64 v46, 0, v46, s[0:1]
	v_cndmask_b32_e32 v47, 0, v47, vcc
	v_cndmask_b32_e64 v46, v76, v46, s[4:5]
	v_cndmask_b32_e64 v47, v76, v47, s[2:3]
	v_add_f32_e32 v46, 1.0, v46
	v_add_f32_e32 v47, 1.0, v47
	v_rcp_f32_e32 v46, v46
	v_rcp_f32_e32 v47, v47
	v_mul_f32_e32 v50, 0xbfb8aa3b, v66
	v_fma_f32 v51, v66, s38, -v50
	v_fmac_f32_e32 v51, 0xb2a5705f, v66
	v_pk_mul_f32 v[46:47], v[68:69], v[46:47]
	v_rndne_f32_e32 v68, v50
	v_sub_f32_e32 v50, v50, v68
	v_add_f32_e32 v50, v50, v51
	v_mul_f32_e32 v51, 0xbfb8aa3b, v67
	v_cvt_i32_f32_e32 v68, v68
	v_exp_f32_e32 v50, v50
	v_fma_f32 v69, v67, s38, -v51
	v_rndne_f32_e32 v70, v51
	v_fmac_f32_e32 v69, 0xb2a5705f, v67
	v_sub_f32_e32 v51, v51, v70
	v_add_f32_e32 v51, v51, v69
	v_ldexp_f32 v50, v50, v68
	v_cvt_i32_f32_e32 v68, v70
	v_exp_f32_e32 v51, v51
	v_cmp_nlt_f32_e32 vcc, s39, v67
	v_cmp_nlt_f32_e64 s[0:1], s39, v66
	v_cmp_ngt_f32_e64 s[2:3], s40, v67
	v_ldexp_f32 v51, v51, v68
	v_cmp_ngt_f32_e64 s[4:5], s40, v66
	v_cndmask_b32_e64 v50, 0, v50, s[0:1]
	v_cndmask_b32_e32 v51, 0, v51, vcc
	v_cndmask_b32_e64 v50, v76, v50, s[4:5]
	v_cndmask_b32_e64 v51, v76, v51, s[2:3]
	v_add_f32_e32 v50, 1.0, v50
	v_add_f32_e32 v51, 1.0, v51
	v_rcp_f32_e32 v50, v50
	v_rcp_f32_e32 v51, v51
	v_cmp_nlt_f32_e32 vcc, s39, v55
	v_cmp_nlt_f32_e64 s[0:1], s39, v54
	v_cmp_ngt_f32_e64 s[2:3], s40, v55
	v_pk_mul_f32 v[50:51], v[66:67], v[50:51]
	v_mul_f32_e32 v66, 0xbfb8aa3b, v54
	v_fma_f32 v67, v54, s38, -v66
	v_rndne_f32_e32 v68, v66
	v_fmac_f32_e32 v67, 0xb2a5705f, v54
	v_sub_f32_e32 v66, v66, v68
	v_add_f32_e32 v66, v66, v67
	v_mul_f32_e32 v67, 0xbfb8aa3b, v55
	v_cvt_i32_f32_e32 v68, v68
	v_exp_f32_e32 v66, v66
	v_fma_f32 v69, v55, s38, -v67
	v_rndne_f32_e32 v70, v67
	v_fmac_f32_e32 v69, 0xb2a5705f, v55
	v_sub_f32_e32 v67, v67, v70
	v_add_f32_e32 v67, v67, v69
	v_ldexp_f32 v66, v66, v68
	v_cvt_i32_f32_e32 v68, v70
	v_exp_f32_e32 v67, v67
	v_cmp_ngt_f32_e64 s[4:5], s40, v54
	v_cndmask_b32_e64 v66, 0, v66, s[0:1]
	v_cmp_nlt_f32_e64 s[0:1], s39, v58
	v_ldexp_f32 v67, v67, v68
	v_cndmask_b32_e32 v67, 0, v67, vcc
	v_cndmask_b32_e64 v66, v76, v66, s[4:5]
	v_cndmask_b32_e64 v67, v76, v67, s[2:3]
	v_add_f32_e32 v66, 1.0, v66
	v_add_f32_e32 v67, 1.0, v67
	v_rcp_f32_e32 v66, v66
	v_rcp_f32_e32 v67, v67
	v_cmp_nlt_f32_e32 vcc, s39, v59
	v_cmp_ngt_f32_e64 s[2:3], s40, v59
	v_cmp_ngt_f32_e64 s[4:5], s40, v58
	v_pk_mul_f32 v[54:55], v[54:55], v[66:67]
	v_mul_f32_e32 v66, 0xbfb8aa3b, v58
	v_fma_f32 v67, v58, s38, -v66
	v_rndne_f32_e32 v68, v66
	v_fmac_f32_e32 v67, 0xb2a5705f, v58
	v_sub_f32_e32 v66, v66, v68
	v_add_f32_e32 v66, v66, v67
	v_mul_f32_e32 v67, 0xbfb8aa3b, v59
	v_cvt_i32_f32_e32 v68, v68
	v_exp_f32_e32 v66, v66
	v_fma_f32 v69, v59, s38, -v67
	v_rndne_f32_e32 v70, v67
	v_fmac_f32_e32 v69, 0xb2a5705f, v59
	v_sub_f32_e32 v67, v67, v70
	v_add_f32_e32 v67, v67, v69
	v_ldexp_f32 v66, v66, v68
	v_cvt_i32_f32_e32 v68, v70
	v_exp_f32_e32 v67, v67
	v_cndmask_b32_e64 v66, 0, v66, s[0:1]
	v_cndmask_b32_e64 v66, v76, v66, s[4:5]
	v_add_f32_e32 v66, 1.0, v66
	v_ldexp_f32 v67, v67, v68
	v_cndmask_b32_e32 v67, 0, v67, vcc
	v_cndmask_b32_e64 v67, v76, v67, s[2:3]
	v_add_f32_e32 v67, 1.0, v67
	v_rcp_f32_e32 v66, v66
	v_rcp_f32_e32 v67, v67
	v_cmp_nlt_f32_e32 vcc, s39, v63
	v_cmp_nlt_f32_e64 s[0:1], s39, v62
	v_cmp_ngt_f32_e64 s[2:3], s40, v63
	v_pk_mul_f32 v[58:59], v[58:59], v[66:67]
	v_mul_f32_e32 v66, 0xbfb8aa3b, v62
	v_fma_f32 v67, v62, s38, -v66
	v_rndne_f32_e32 v68, v66
	v_fmac_f32_e32 v67, 0xb2a5705f, v62
	v_sub_f32_e32 v66, v66, v68
	v_add_f32_e32 v66, v66, v67
	v_mul_f32_e32 v67, 0xbfb8aa3b, v63
	v_cvt_i32_f32_e32 v68, v68
	v_exp_f32_e32 v66, v66
	v_fma_f32 v69, v63, s38, -v67
	v_rndne_f32_e32 v70, v67
	v_fmac_f32_e32 v69, 0xb2a5705f, v63
	v_sub_f32_e32 v67, v67, v70
	v_add_f32_e32 v67, v67, v69
	v_ldexp_f32 v66, v66, v68
	v_cvt_i32_f32_e32 v68, v70
	v_exp_f32_e32 v67, v67
	v_cmp_ngt_f32_e64 s[4:5], s40, v62
	v_cndmask_b32_e64 v66, 0, v66, s[0:1]
	v_cmp_nlt_f32_e64 s[0:1], s39, v64
	v_ldexp_f32 v67, v67, v68
	v_cndmask_b32_e32 v67, 0, v67, vcc
	v_cndmask_b32_e64 v66, v76, v66, s[4:5]
	v_cndmask_b32_e64 v67, v76, v67, s[2:3]
	v_add_f32_e32 v66, 1.0, v66
	v_add_f32_e32 v67, 1.0, v67
	v_rcp_f32_e32 v66, v66
	v_rcp_f32_e32 v67, v67
	v_cmp_nlt_f32_e32 vcc, s39, v65
	v_cmp_ngt_f32_e64 s[2:3], s40, v65
	v_cmp_ngt_f32_e64 s[4:5], s40, v64
	v_pk_mul_f32 v[62:63], v[62:63], v[66:67]
	v_mul_f32_e32 v66, 0xbfb8aa3b, v64
	v_fma_f32 v67, v64, s38, -v66
	v_rndne_f32_e32 v68, v66
	v_fmac_f32_e32 v67, 0xb2a5705f, v64
	v_sub_f32_e32 v66, v66, v68
	v_add_f32_e32 v66, v66, v67
	v_mul_f32_e32 v67, 0xbfb8aa3b, v65
	v_cvt_i32_f32_e32 v68, v68
	v_exp_f32_e32 v66, v66
	v_fma_f32 v69, v65, s38, -v67
	v_rndne_f32_e32 v70, v67
	v_fmac_f32_e32 v69, 0xb2a5705f, v65
	v_sub_f32_e32 v67, v67, v70
	v_add_f32_e32 v67, v67, v69
	v_ldexp_f32 v66, v66, v68
	v_cvt_i32_f32_e32 v68, v70
	v_exp_f32_e32 v67, v67
	v_cndmask_b32_e64 v66, 0, v66, s[0:1]
	v_cndmask_b32_e64 v66, v76, v66, s[4:5]
	v_add_f32_e32 v66, 1.0, v66
	v_ldexp_f32 v67, v67, v68
	v_cndmask_b32_e32 v67, 0, v67, vcc
	v_cndmask_b32_e64 v67, v76, v67, s[2:3]
	;; [unrolled: 62-line block ×5, first 2 shown]
	v_add_f32_e32 v67, 1.0, v67
	v_rcp_f32_e32 v66, v66
	v_rcp_f32_e32 v67, v67
	v_cmp_nlt_f32_e32 vcc, s39, v35
	v_cmp_nlt_f32_e64 s[0:1], s39, v34
	v_cmp_ngt_f32_e64 s[2:3], s40, v35
	v_pk_mul_f32 v[40:41], v[40:41], v[66:67]
	v_mul_f32_e32 v66, 0xbfb8aa3b, v34
	v_fma_f32 v67, v34, s38, -v66
	v_rndne_f32_e32 v68, v66
	v_fmac_f32_e32 v67, 0xb2a5705f, v34
	v_sub_f32_e32 v66, v66, v68
	v_add_f32_e32 v66, v66, v67
	v_mul_f32_e32 v67, 0xbfb8aa3b, v35
	v_cvt_i32_f32_e32 v68, v68
	v_exp_f32_e32 v66, v66
	v_fma_f32 v69, v35, s38, -v67
	v_rndne_f32_e32 v70, v67
	v_fmac_f32_e32 v69, 0xb2a5705f, v35
	v_sub_f32_e32 v67, v67, v70
	v_add_f32_e32 v67, v67, v69
	v_ldexp_f32 v66, v66, v68
	v_cvt_i32_f32_e32 v68, v70
	v_exp_f32_e32 v67, v67
	v_cmp_ngt_f32_e64 s[4:5], s40, v34
	v_cndmask_b32_e64 v66, 0, v66, s[0:1]
	v_add_f32_e32 v36, 1.0, v36
	v_ldexp_f32 v67, v67, v68
	v_cndmask_b32_e32 v67, 0, v67, vcc
	v_add_f32_e32 v37, 1.0, v37
	v_cndmask_b32_e64 v66, v76, v66, s[4:5]
	v_cndmask_b32_e64 v67, v76, v67, s[2:3]
	v_rcp_f32_e32 v36, v36
	v_rcp_f32_e32 v37, v37
	v_add_f32_e32 v38, 1.0, v38
	v_add_f32_e32 v39, 1.0, v39
	;; [unrolled: 1-line block ×4, first 2 shown]
	v_rcp_f32_e32 v38, v38
	v_rcp_f32_e32 v39, v39
	;; [unrolled: 1-line block ×4, first 2 shown]
	v_pk_mul_f32 v[36:37], v[74:75], v[36:37]
	v_pk_mul_f32 v[38:39], v[72:73], v[38:39]
	;;#ASMSTART
	v_pk_mul_f32 v[36:37], v[36:37], v[0:1]
	;;#ASMEND
	v_pk_mul_f32 v[34:35], v[34:35], v[66:67]
	;;#ASMSTART
	v_pk_mul_f32 v[0:1], v[38:39], v[2:3]
	;;#ASMEND
	;;#ASMSTART
	v_pk_mul_f32 v[6:7], v[44:45], v[6:7]
	;;#ASMEND
	;; [unrolled: 3-line block ×14, first 2 shown]
	s_nop 0
	;;#ASMSTART
	v_pk_mul_f32 v[30:31], v[34:35], v[32:33]
	;;#ASMEND
	s_load_dword s0, s[28:29], 0xc
	v_perm_b32 v1, v1, v0, s41
	v_perm_b32 v3, v3, v2, s41
	;; [unrolled: 1-line block ×4, first 2 shown]
	s_waitcnt lgkmcnt(0)
	s_and_b32 s0, s0, 0xffff
	s_lshl_b32 s34, s0, 5
	v_lshl_add_u64 v[4:5], s[34:35], 0, v[4:5]
	v_cmp_le_i64_e32 vcc, s[6:7], v[4:5]
	v_perm_b32 v7, v9, v8, s41
	v_perm_b32 v9, v15, v14, s41
	;; [unrolled: 1-line block ×8, first 2 shown]
	s_or_b64 s[30:31], vcc, s[30:31]
	v_perm_b32 v8, v13, v12, s41
	v_perm_b32 v11, v19, v18, s41
	;; [unrolled: 1-line block ×4, first 2 shown]
	buffer_store_dwordx4 v[0:3], v77, s[8:11], 0 offen
	buffer_store_dwordx4 v[6:9], v77, s[8:11], 16 offen
	;; [unrolled: 1-line block ×4, first 2 shown]
	s_andn2_b64 exec, exec, s[30:31]
	s_cbranch_execnz .LBB211_8
.LBB211_9:
	s_endpgm
	.section	.rodata,"a",@progbits
	.p2align	6, 0x0
	.amdhsa_kernel _ZN5aiter23act_and_mul_bias_kernelIttlfTnPFfRKT2_EXadL_ZNS_11silu_kernelIfEEfRKT_EELi32EEEvPT0_PS8_PKT1_PS2_il
		.amdhsa_group_segment_fixed_size 0
		.amdhsa_private_segment_fixed_size 0
		.amdhsa_kernarg_size 304
		.amdhsa_user_sgpr_count 2
		.amdhsa_user_sgpr_dispatch_ptr 0
		.amdhsa_user_sgpr_queue_ptr 0
		.amdhsa_user_sgpr_kernarg_segment_ptr 1
		.amdhsa_user_sgpr_dispatch_id 0
		.amdhsa_user_sgpr_kernarg_preload_length 0
		.amdhsa_user_sgpr_kernarg_preload_offset 0
		.amdhsa_user_sgpr_private_segment_size 0
		.amdhsa_uses_dynamic_stack 0
		.amdhsa_enable_private_segment 0
		.amdhsa_system_sgpr_workgroup_id_x 1
		.amdhsa_system_sgpr_workgroup_id_y 0
		.amdhsa_system_sgpr_workgroup_id_z 0
		.amdhsa_system_sgpr_workgroup_info 0
		.amdhsa_system_vgpr_workitem_id 0
		.amdhsa_next_free_vgpr 83
		.amdhsa_next_free_sgpr 42
		.amdhsa_accum_offset 84
		.amdhsa_reserve_vcc 1
		.amdhsa_float_round_mode_32 0
		.amdhsa_float_round_mode_16_64 0
		.amdhsa_float_denorm_mode_32 3
		.amdhsa_float_denorm_mode_16_64 3
		.amdhsa_dx10_clamp 1
		.amdhsa_ieee_mode 1
		.amdhsa_fp16_overflow 0
		.amdhsa_tg_split 0
		.amdhsa_exception_fp_ieee_invalid_op 0
		.amdhsa_exception_fp_denorm_src 0
		.amdhsa_exception_fp_ieee_div_zero 0
		.amdhsa_exception_fp_ieee_overflow 0
		.amdhsa_exception_fp_ieee_underflow 0
		.amdhsa_exception_fp_ieee_inexact 0
		.amdhsa_exception_int_div_zero 0
	.end_amdhsa_kernel
	.section	.text._ZN5aiter23act_and_mul_bias_kernelIttlfTnPFfRKT2_EXadL_ZNS_11silu_kernelIfEEfRKT_EELi32EEEvPT0_PS8_PKT1_PS2_il,"axG",@progbits,_ZN5aiter23act_and_mul_bias_kernelIttlfTnPFfRKT2_EXadL_ZNS_11silu_kernelIfEEfRKT_EELi32EEEvPT0_PS8_PKT1_PS2_il,comdat
.Lfunc_end211:
	.size	_ZN5aiter23act_and_mul_bias_kernelIttlfTnPFfRKT2_EXadL_ZNS_11silu_kernelIfEEfRKT_EELi32EEEvPT0_PS8_PKT1_PS2_il, .Lfunc_end211-_ZN5aiter23act_and_mul_bias_kernelIttlfTnPFfRKT2_EXadL_ZNS_11silu_kernelIfEEfRKT_EELi32EEEvPT0_PS8_PKT1_PS2_il
                                        ; -- End function
	.section	.AMDGPU.csdata,"",@progbits
; Kernel info:
; codeLenInByte = 4812
; NumSgprs: 48
; NumVgprs: 83
; NumAgprs: 0
; TotalNumVgprs: 83
; ScratchSize: 0
; MemoryBound: 0
; FloatMode: 240
; IeeeMode: 1
; LDSByteSize: 0 bytes/workgroup (compile time only)
; SGPRBlocks: 5
; VGPRBlocks: 10
; NumSGPRsForWavesPerEU: 48
; NumVGPRsForWavesPerEU: 83
; AccumOffset: 84
; Occupancy: 5
; WaveLimiterHint : 0
; COMPUTE_PGM_RSRC2:SCRATCH_EN: 0
; COMPUTE_PGM_RSRC2:USER_SGPR: 2
; COMPUTE_PGM_RSRC2:TRAP_HANDLER: 0
; COMPUTE_PGM_RSRC2:TGID_X_EN: 1
; COMPUTE_PGM_RSRC2:TGID_Y_EN: 0
; COMPUTE_PGM_RSRC2:TGID_Z_EN: 0
; COMPUTE_PGM_RSRC2:TIDIG_COMP_CNT: 0
; COMPUTE_PGM_RSRC3_GFX90A:ACCUM_OFFSET: 20
; COMPUTE_PGM_RSRC3_GFX90A:TG_SPLIT: 0
	.section	.text._ZN5aiter23act_and_mul_bias_kernelIttlfTnPFfRKT2_EXadL_ZNS_11silu_kernelIfEEfRKT_EELi16EEEvPT0_PS8_PKT1_PS2_il,"axG",@progbits,_ZN5aiter23act_and_mul_bias_kernelIttlfTnPFfRKT2_EXadL_ZNS_11silu_kernelIfEEfRKT_EELi16EEEvPT0_PS8_PKT1_PS2_il,comdat
	.protected	_ZN5aiter23act_and_mul_bias_kernelIttlfTnPFfRKT2_EXadL_ZNS_11silu_kernelIfEEfRKT_EELi16EEEvPT0_PS8_PKT1_PS2_il ; -- Begin function _ZN5aiter23act_and_mul_bias_kernelIttlfTnPFfRKT2_EXadL_ZNS_11silu_kernelIfEEfRKT_EELi16EEEvPT0_PS8_PKT1_PS2_il
	.globl	_ZN5aiter23act_and_mul_bias_kernelIttlfTnPFfRKT2_EXadL_ZNS_11silu_kernelIfEEfRKT_EELi16EEEvPT0_PS8_PKT1_PS2_il
	.p2align	8
	.type	_ZN5aiter23act_and_mul_bias_kernelIttlfTnPFfRKT2_EXadL_ZNS_11silu_kernelIfEEfRKT_EELi16EEEvPT0_PS8_PKT1_PS2_il,@function
_ZN5aiter23act_and_mul_bias_kernelIttlfTnPFfRKT2_EXadL_ZNS_11silu_kernelIfEEfRKT_EELi16EEEvPT0_PS8_PKT1_PS2_il: ; @_ZN5aiter23act_and_mul_bias_kernelIttlfTnPFfRKT2_EXadL_ZNS_11silu_kernelIfEEfRKT_EELi16EEEvPT0_PS8_PKT1_PS2_il
; %bb.0:
	s_load_dword s24, s[0:1], 0x20
	s_load_dwordx2 s[4:5], s[0:1], 0x0
	s_load_dwordx2 s[6:7], s[0:1], 0x10
	;; [unrolled: 1-line block ×3, first 2 shown]
	s_mov_b32 s3, 0
	s_waitcnt lgkmcnt(0)
	s_ashr_i32 s25, s24, 31
	s_lshl_b64 s[8:9], s[2:3], 3
	s_add_u32 s6, s6, s8
	s_addc_u32 s7, s7, s9
	s_add_i32 s3, s24, 1
	s_load_dwordx2 s[8:9], s[6:7], 0x0
	s_lshr_b32 s6, s3, 31
	s_add_i32 s3, s3, s6
	s_lshl_b32 s3, s3, 1
	s_and_b32 s6, s3, -4
	s_mul_hi_u32 s3, s24, s2
	s_mul_i32 s7, s25, s2
	s_add_i32 s11, s3, s7
	s_mul_i32 s10, s24, s2
	s_lshl_b64 s[10:11], s[10:11], 1
	v_mov_b64_e32 v[2:3], s[12:13]
	s_add_u32 s4, s4, s10
	s_waitcnt lgkmcnt(0)
	v_cmp_gt_i64_e64 s[14:15], s[8:9], -1
	v_cmp_lt_i64_e32 vcc, s[8:9], v[2:3]
	s_addc_u32 s3, s5, s11
	s_and_b64 s[12:13], s[14:15], vcc
	s_and_b32 s5, s3, 0xffff
	s_mov_b64 s[10:11], -1
	s_and_b64 vcc, exec, s[12:13]
	v_lshlrev_b32_e32 v44, 4, v0
	s_cbranch_vccnz .LBB212_5
; %bb.1:
	v_cmp_gt_i32_e32 vcc, s24, v44
	s_and_saveexec_b64 s[10:11], vcc
	s_cbranch_execz .LBB212_4
; %bb.2:
	s_load_dword s3, s[0:1], 0x3c
	s_mov_b32 s13, 0
	s_mov_b32 s16, s13
	;; [unrolled: 1-line block ×3, first 2 shown]
	v_mov_b32_e32 v45, 0
	v_lshlrev_b32_e32 v6, 5, v0
	s_waitcnt lgkmcnt(0)
	s_and_b32 s3, s3, 0xffff
	s_mov_b32 s18, s13
	s_mov_b32 s19, s13
	v_mov_b64_e32 v[0:1], s[16:17]
	s_lshl_b32 s12, s3, 4
	s_lshl_b32 s3, s3, 5
	s_mov_b64 s[14:15], 0
	s_mov_b32 s7, 0x20000
	v_mov_b64_e32 v[2:3], s[18:19]
	v_mov_b64_e32 v[4:5], v[44:45]
.LBB212_3:                              ; =>This Inner Loop Header: Depth=1
	v_lshl_add_u64 v[4:5], s[12:13], 0, v[4:5]
	v_cmp_le_i64_e32 vcc, s[24:25], v[4:5]
	buffer_store_dwordx4 v[0:3], v6, s[4:7], 0 offen
	buffer_store_dwordx4 v[0:3], v6, s[4:7], 16 offen
	s_or_b64 s[14:15], vcc, s[14:15]
	v_add_u32_e32 v6, s3, v6
	s_andn2_b64 exec, exec, s[14:15]
	s_cbranch_execnz .LBB212_3
.LBB212_4:
	s_or_b64 exec, exec, s[10:11]
	s_mov_b64 s[10:11], 0
.LBB212_5:
	s_andn2_b64 vcc, exec, s[10:11]
	s_cbranch_vccnz .LBB212_9
; %bb.6:
	v_cmp_gt_i32_e32 vcc, s24, v44
	s_and_saveexec_b64 s[10:11], vcc
	s_cbranch_execz .LBB212_9
; %bb.7:
	s_load_dwordx2 s[14:15], s[0:1], 0x8
	s_load_dwordx2 s[10:11], s[0:1], 0x18
	s_mul_i32 s3, s24, s9
	s_mul_hi_u32 s7, s24, s8
	s_add_i32 s3, s7, s3
	s_mul_i32 s7, s25, s8
	s_add_i32 s9, s3, s7
	s_mul_i32 s8, s24, s8
	s_lshl_b64 s[8:9], s[8:9], 3
	s_waitcnt lgkmcnt(0)
	s_add_u32 s8, s10, s8
	s_addc_u32 s3, s11, s9
	s_lshl_b64 s[10:11], s[24:25], 2
	s_add_u32 s12, s8, s10
	s_addc_u32 s13, s3, s11
	s_and_b32 s9, s3, 0xffff
	s_mul_i32 s3, s2, s25
	s_mul_hi_u32 s16, s2, s24
	s_add_i32 s3, s16, s3
	s_mul_i32 s2, s2, s24
	s_lshl_b32 s10, s24, 2
	s_and_b32 s13, s13, 0xffff
	s_lshl_b64 s[2:3], s[2:3], 2
	s_add_u32 s16, s14, s2
	s_addc_u32 s14, s15, s3
	s_lshl_b64 s[2:3], s[24:25], 1
	s_add_u32 s20, s16, s2
	s_addc_u32 s2, s14, s3
	s_and_b32 s17, s14, 0xffff
	s_and_b32 s21, s2, 0xffff
	s_mov_b32 s7, 0x20000
	s_add_u32 s0, s0, 48
	s_mov_b32 s11, s7
	v_mov_b32_e32 v45, 0
	s_addc_u32 s1, s1, 0
	s_mov_b64 s[2:3], 0
	s_mov_b32 s27, 0
	s_mov_b32 s28, 0xbfb8aa3b
	;; [unrolled: 1-line block ×4, first 2 shown]
	v_mov_b32_e32 v46, 0x7f800000
	s_mov_b32 s31, 0x7060302
	s_mov_b32 s18, s6
	;; [unrolled: 1-line block ×5, first 2 shown]
.LBB212_8:                              ; =>This Inner Loop Header: Depth=1
	v_lshlrev_b32_e32 v47, 1, v44
	buffer_load_dwordx4 v[24:27], v47, s[16:19], 0 offen
	buffer_load_dwordx4 v[4:7], v47, s[16:19], 16 offen
	;; [unrolled: 1-line block ×4, first 2 shown]
	v_lshlrev_b32_e32 v52, 2, v44
	s_mov_b32 s14, s10
	s_mov_b32 s15, s11
	buffer_load_dwordx4 v[40:43], v52, s[8:11], 0 offen
	buffer_load_dwordx4 v[28:31], v52, s[8:11], 16 offen
	;; [unrolled: 1-line block ×8, first 2 shown]
	s_waitcnt vmcnt(9)
	v_and_b32_e32 v53, 0xffff0000, v32
	v_lshlrev_b32_e32 v52, 16, v32
	s_waitcnt vmcnt(3)
	v_pk_add_f32 v[48:49], v[48:49], v[52:53]
	v_and_b32_e32 v53, 0xffff0000, v24
	v_lshlrev_b32_e32 v52, 16, v24
	v_pk_add_f32 v[40:41], v[40:41], v[52:53]
	s_nop 0
	v_mul_f32_e32 v24, 0xbfb8aa3b, v40
	v_fma_f32 v32, v40, s28, -v24
	v_rndne_f32_e32 v52, v24
	v_fmac_f32_e32 v32, 0xb2a5705f, v40
	v_sub_f32_e32 v24, v24, v52
	v_add_f32_e32 v24, v24, v32
	v_exp_f32_e32 v24, v24
	v_cvt_i32_f32_e32 v32, v52
	v_cmp_nlt_f32_e32 vcc, s29, v40
	v_ldexp_f32 v24, v24, v32
	s_nop 0
	v_cndmask_b32_e32 v24, 0, v24, vcc
	v_cmp_ngt_f32_e32 vcc, s30, v40
	s_nop 1
	v_cndmask_b32_e32 v24, v46, v24, vcc
	v_add_f32_e32 v24, 1.0, v24
	v_rcp_f32_e32 v52, v24
	v_mul_f32_e32 v24, 0xbfb8aa3b, v41
	v_fma_f32 v32, v41, s28, -v24
	v_rndne_f32_e32 v53, v24
	v_fmac_f32_e32 v32, 0xb2a5705f, v41
	v_sub_f32_e32 v24, v24, v53
	v_add_f32_e32 v24, v24, v32
	v_exp_f32_e32 v24, v24
	v_cvt_i32_f32_e32 v32, v53
	v_cmp_nlt_f32_e32 vcc, s29, v41
	v_ldexp_f32 v24, v24, v32
	s_nop 0
	v_cndmask_b32_e32 v24, 0, v24, vcc
	v_cmp_ngt_f32_e32 vcc, s30, v41
	s_nop 1
	v_cndmask_b32_e32 v24, v46, v24, vcc
	v_add_f32_e32 v24, 1.0, v24
	v_rcp_f32_e32 v53, v24
	s_nop 0
	v_pk_mul_f32 v[40:41], v[40:41], v[52:53]
	s_nop 0
	;;#ASMSTART
	v_pk_mul_f32 v[40:41], v[40:41], v[48:49]
	;;#ASMEND
	v_and_b32_e32 v49, 0xffff0000, v33
	v_lshlrev_b32_e32 v48, 16, v33
	v_pk_add_f32 v[32:33], v[50:51], v[48:49]
	v_and_b32_e32 v49, 0xffff0000, v25
	v_lshlrev_b32_e32 v48, 16, v25
	v_pk_add_f32 v[24:25], v[42:43], v[48:49]
	s_nop 0
	v_mul_f32_e32 v42, 0xbfb8aa3b, v24
	v_fma_f32 v43, v24, s28, -v42
	v_rndne_f32_e32 v48, v42
	v_fmac_f32_e32 v43, 0xb2a5705f, v24
	v_sub_f32_e32 v42, v42, v48
	v_add_f32_e32 v42, v42, v43
	v_exp_f32_e32 v42, v42
	v_cvt_i32_f32_e32 v43, v48
	v_cmp_nlt_f32_e32 vcc, s29, v24
	v_ldexp_f32 v42, v42, v43
	v_mul_f32_e32 v43, 0xbfb8aa3b, v25
	v_fma_f32 v48, v25, s28, -v43
	v_rndne_f32_e32 v49, v43
	v_fmac_f32_e32 v48, 0xb2a5705f, v25
	v_sub_f32_e32 v43, v43, v49
	v_add_f32_e32 v43, v43, v48
	v_exp_f32_e32 v43, v43
	v_cvt_i32_f32_e32 v48, v49
	v_cndmask_b32_e32 v42, 0, v42, vcc
	v_cmp_ngt_f32_e32 vcc, s30, v24
	v_ldexp_f32 v43, v43, v48
	s_nop 0
	v_cndmask_b32_e32 v42, v46, v42, vcc
	v_cmp_nlt_f32_e32 vcc, s29, v25
	v_add_f32_e32 v42, 1.0, v42
	v_rcp_f32_e32 v42, v42
	v_cndmask_b32_e32 v43, 0, v43, vcc
	v_cmp_ngt_f32_e32 vcc, s30, v25
	s_nop 1
	v_cndmask_b32_e32 v43, v46, v43, vcc
	v_add_f32_e32 v43, 1.0, v43
	v_rcp_f32_e32 v43, v43
	s_nop 0
	v_pk_mul_f32 v[24:25], v[24:25], v[42:43]
	s_nop 0
	;;#ASMSTART
	v_pk_mul_f32 v[24:25], v[24:25], v[32:33]
	;;#ASMEND
	v_and_b32_e32 v33, 0xffff0000, v34
	v_lshlrev_b32_e32 v32, 16, v34
	s_waitcnt vmcnt(2)
	v_pk_add_f32 v[32:33], v[36:37], v[32:33]
	v_and_b32_e32 v37, 0xffff0000, v26
	v_lshlrev_b32_e32 v36, 16, v26
	v_pk_add_f32 v[28:29], v[28:29], v[36:37]
	s_nop 0
	v_mul_f32_e32 v26, 0xbfb8aa3b, v28
	v_fma_f32 v34, v28, s28, -v26
	v_rndne_f32_e32 v36, v26
	v_fmac_f32_e32 v34, 0xb2a5705f, v28
	v_sub_f32_e32 v26, v26, v36
	v_add_f32_e32 v26, v26, v34
	v_exp_f32_e32 v26, v26
	v_cvt_i32_f32_e32 v34, v36
	v_cmp_nlt_f32_e32 vcc, s29, v28
	v_ldexp_f32 v26, v26, v34
	s_nop 0
	v_cndmask_b32_e32 v26, 0, v26, vcc
	v_cmp_ngt_f32_e32 vcc, s30, v28
	s_nop 1
	v_cndmask_b32_e32 v26, v46, v26, vcc
	v_add_f32_e32 v26, 1.0, v26
	v_rcp_f32_e32 v36, v26
	v_mul_f32_e32 v26, 0xbfb8aa3b, v29
	v_fma_f32 v34, v29, s28, -v26
	v_rndne_f32_e32 v37, v26
	v_fmac_f32_e32 v34, 0xb2a5705f, v29
	v_sub_f32_e32 v26, v26, v37
	v_add_f32_e32 v26, v26, v34
	v_exp_f32_e32 v26, v26
	v_cvt_i32_f32_e32 v34, v37
	v_cmp_nlt_f32_e32 vcc, s29, v29
	v_ldexp_f32 v26, v26, v34
	s_nop 0
	v_cndmask_b32_e32 v26, 0, v26, vcc
	v_cmp_ngt_f32_e32 vcc, s30, v29
	v_lshlrev_b32_e32 v34, 16, v27
	s_nop 0
	v_cndmask_b32_e32 v26, v46, v26, vcc
	v_add_f32_e32 v26, 1.0, v26
	v_rcp_f32_e32 v37, v26
	s_nop 0
	v_pk_mul_f32 v[28:29], v[28:29], v[36:37]
	s_nop 0
	;;#ASMSTART
	v_pk_mul_f32 v[28:29], v[28:29], v[32:33]
	;;#ASMEND
	v_and_b32_e32 v33, 0xffff0000, v35
	v_lshlrev_b32_e32 v32, 16, v35
	v_and_b32_e32 v35, 0xffff0000, v27
	v_pk_add_f32 v[26:27], v[30:31], v[34:35]
	v_pk_add_f32 v[32:33], v[38:39], v[32:33]
	v_mul_f32_e32 v30, 0xbfb8aa3b, v26
	v_fma_f32 v31, v26, s28, -v30
	v_rndne_f32_e32 v34, v30
	v_fmac_f32_e32 v31, 0xb2a5705f, v26
	v_sub_f32_e32 v30, v30, v34
	v_add_f32_e32 v30, v30, v31
	v_exp_f32_e32 v30, v30
	v_cvt_i32_f32_e32 v31, v34
	v_cmp_nlt_f32_e32 vcc, s29, v26
	v_ldexp_f32 v30, v30, v31
	v_mul_f32_e32 v31, 0xbfb8aa3b, v27
	v_fma_f32 v34, v27, s28, -v31
	v_rndne_f32_e32 v35, v31
	v_fmac_f32_e32 v34, 0xb2a5705f, v27
	v_sub_f32_e32 v31, v31, v35
	v_add_f32_e32 v31, v31, v34
	v_exp_f32_e32 v31, v31
	v_cvt_i32_f32_e32 v34, v35
	v_cndmask_b32_e32 v30, 0, v30, vcc
	v_cmp_ngt_f32_e32 vcc, s30, v26
	v_ldexp_f32 v31, v31, v34
	s_nop 0
	v_cndmask_b32_e32 v30, v46, v30, vcc
	v_cmp_nlt_f32_e32 vcc, s29, v27
	v_add_f32_e32 v30, 1.0, v30
	v_rcp_f32_e32 v30, v30
	v_cndmask_b32_e32 v31, 0, v31, vcc
	v_cmp_ngt_f32_e32 vcc, s30, v27
	s_nop 1
	v_cndmask_b32_e32 v31, v46, v31, vcc
	v_add_f32_e32 v31, 1.0, v31
	v_rcp_f32_e32 v31, v31
	s_nop 0
	v_pk_mul_f32 v[26:27], v[26:27], v[30:31]
	v_and_b32_e32 v31, 0xffff0000, v8
	v_lshlrev_b32_e32 v30, 16, v8
	s_waitcnt vmcnt(1)
	v_pk_add_f32 v[20:21], v[20:21], v[30:31]
	v_and_b32_e32 v31, 0xffff0000, v4
	v_lshlrev_b32_e32 v30, 16, v4
	v_pk_add_f32 v[16:17], v[16:17], v[30:31]
	;;#ASMSTART
	v_pk_mul_f32 v[26:27], v[26:27], v[32:33]
	;;#ASMEND
	s_nop 0
	v_mul_f32_e32 v4, 0xbfb8aa3b, v16
	v_fma_f32 v8, v16, s28, -v4
	v_rndne_f32_e32 v30, v4
	v_fmac_f32_e32 v8, 0xb2a5705f, v16
	v_sub_f32_e32 v4, v4, v30
	v_add_f32_e32 v4, v4, v8
	v_exp_f32_e32 v4, v4
	v_cvt_i32_f32_e32 v8, v30
	v_cmp_nlt_f32_e32 vcc, s29, v16
	v_ldexp_f32 v4, v4, v8
	s_nop 0
	v_cndmask_b32_e32 v4, 0, v4, vcc
	v_cmp_ngt_f32_e32 vcc, s30, v16
	s_nop 1
	v_cndmask_b32_e32 v4, v46, v4, vcc
	v_add_f32_e32 v4, 1.0, v4
	v_rcp_f32_e32 v30, v4
	v_mul_f32_e32 v4, 0xbfb8aa3b, v17
	v_fma_f32 v8, v17, s28, -v4
	v_rndne_f32_e32 v31, v4
	v_fmac_f32_e32 v8, 0xb2a5705f, v17
	v_sub_f32_e32 v4, v4, v31
	v_add_f32_e32 v4, v4, v8
	v_exp_f32_e32 v4, v4
	v_cvt_i32_f32_e32 v8, v31
	v_cmp_nlt_f32_e32 vcc, s29, v17
	v_ldexp_f32 v4, v4, v8
	s_nop 0
	v_cndmask_b32_e32 v4, 0, v4, vcc
	v_cmp_ngt_f32_e32 vcc, s30, v17
	s_nop 1
	v_cndmask_b32_e32 v4, v46, v4, vcc
	v_add_f32_e32 v4, 1.0, v4
	v_rcp_f32_e32 v31, v4
	s_nop 0
	v_pk_mul_f32 v[16:17], v[16:17], v[30:31]
	s_nop 0
	;;#ASMSTART
	v_pk_mul_f32 v[16:17], v[16:17], v[20:21]
	;;#ASMEND
	v_and_b32_e32 v21, 0xffff0000, v9
	v_lshlrev_b32_e32 v20, 16, v9
	v_pk_add_f32 v[8:9], v[22:23], v[20:21]
	v_and_b32_e32 v21, 0xffff0000, v5
	v_lshlrev_b32_e32 v20, 16, v5
	v_pk_add_f32 v[4:5], v[18:19], v[20:21]
	s_nop 0
	v_mul_f32_e32 v18, 0xbfb8aa3b, v4
	v_fma_f32 v19, v4, s28, -v18
	v_rndne_f32_e32 v20, v18
	v_fmac_f32_e32 v19, 0xb2a5705f, v4
	v_sub_f32_e32 v18, v18, v20
	v_add_f32_e32 v18, v18, v19
	v_exp_f32_e32 v18, v18
	v_cvt_i32_f32_e32 v19, v20
	v_cmp_nlt_f32_e32 vcc, s29, v4
	v_ldexp_f32 v18, v18, v19
	v_mul_f32_e32 v19, 0xbfb8aa3b, v5
	v_fma_f32 v20, v5, s28, -v19
	v_rndne_f32_e32 v21, v19
	v_fmac_f32_e32 v20, 0xb2a5705f, v5
	v_sub_f32_e32 v19, v19, v21
	v_add_f32_e32 v19, v19, v20
	v_exp_f32_e32 v19, v19
	v_cvt_i32_f32_e32 v20, v21
	v_cndmask_b32_e32 v18, 0, v18, vcc
	v_cmp_ngt_f32_e32 vcc, s30, v4
	v_ldexp_f32 v19, v19, v20
	s_nop 0
	v_cndmask_b32_e32 v18, v46, v18, vcc
	v_cmp_nlt_f32_e32 vcc, s29, v5
	v_add_f32_e32 v18, 1.0, v18
	v_rcp_f32_e32 v18, v18
	v_cndmask_b32_e32 v19, 0, v19, vcc
	v_cmp_ngt_f32_e32 vcc, s30, v5
	s_nop 1
	v_cndmask_b32_e32 v19, v46, v19, vcc
	v_add_f32_e32 v19, 1.0, v19
	v_rcp_f32_e32 v19, v19
	s_nop 0
	v_pk_mul_f32 v[4:5], v[4:5], v[18:19]
	s_nop 0
	;;#ASMSTART
	v_pk_mul_f32 v[4:5], v[4:5], v[8:9]
	;;#ASMEND
	v_and_b32_e32 v9, 0xffff0000, v10
	v_lshlrev_b32_e32 v8, 16, v10
	s_waitcnt vmcnt(0)
	v_pk_add_f32 v[8:9], v[12:13], v[8:9]
	v_and_b32_e32 v13, 0xffff0000, v6
	v_lshlrev_b32_e32 v12, 16, v6
	v_pk_add_f32 v[0:1], v[0:1], v[12:13]
	s_nop 0
	v_mul_f32_e32 v6, 0xbfb8aa3b, v0
	v_fma_f32 v10, v0, s28, -v6
	v_rndne_f32_e32 v12, v6
	v_fmac_f32_e32 v10, 0xb2a5705f, v0
	v_sub_f32_e32 v6, v6, v12
	v_add_f32_e32 v6, v6, v10
	v_exp_f32_e32 v6, v6
	v_cvt_i32_f32_e32 v10, v12
	v_cmp_nlt_f32_e32 vcc, s29, v0
	v_ldexp_f32 v6, v6, v10
	s_nop 0
	v_cndmask_b32_e32 v6, 0, v6, vcc
	v_cmp_ngt_f32_e32 vcc, s30, v0
	s_nop 1
	v_cndmask_b32_e32 v6, v46, v6, vcc
	v_add_f32_e32 v6, 1.0, v6
	v_rcp_f32_e32 v12, v6
	v_mul_f32_e32 v6, 0xbfb8aa3b, v1
	v_fma_f32 v10, v1, s28, -v6
	v_rndne_f32_e32 v13, v6
	v_fmac_f32_e32 v10, 0xb2a5705f, v1
	v_sub_f32_e32 v6, v6, v13
	v_add_f32_e32 v6, v6, v10
	v_exp_f32_e32 v6, v6
	v_cvt_i32_f32_e32 v10, v13
	v_cmp_nlt_f32_e32 vcc, s29, v1
	v_ldexp_f32 v6, v6, v10
	s_nop 0
	v_cndmask_b32_e32 v6, 0, v6, vcc
	v_cmp_ngt_f32_e32 vcc, s30, v1
	v_lshlrev_b32_e32 v10, 16, v7
	s_nop 0
	v_cndmask_b32_e32 v6, v46, v6, vcc
	v_add_f32_e32 v6, 1.0, v6
	v_rcp_f32_e32 v13, v6
	s_nop 0
	v_pk_mul_f32 v[0:1], v[0:1], v[12:13]
	s_nop 0
	;;#ASMSTART
	v_pk_mul_f32 v[0:1], v[0:1], v[8:9]
	;;#ASMEND
	v_and_b32_e32 v9, 0xffff0000, v11
	v_lshlrev_b32_e32 v8, 16, v11
	v_and_b32_e32 v11, 0xffff0000, v7
	v_pk_add_f32 v[2:3], v[2:3], v[10:11]
	v_pk_add_f32 v[8:9], v[14:15], v[8:9]
	v_mul_f32_e32 v6, 0xbfb8aa3b, v2
	v_fma_f32 v7, v2, s28, -v6
	v_rndne_f32_e32 v10, v6
	v_fmac_f32_e32 v7, 0xb2a5705f, v2
	v_sub_f32_e32 v6, v6, v10
	v_add_f32_e32 v6, v6, v7
	v_exp_f32_e32 v6, v6
	v_cvt_i32_f32_e32 v7, v10
	v_cmp_nlt_f32_e32 vcc, s29, v2
	v_ldexp_f32 v6, v6, v7
	v_mul_f32_e32 v7, 0xbfb8aa3b, v3
	v_fma_f32 v10, v3, s28, -v7
	v_rndne_f32_e32 v11, v7
	v_fmac_f32_e32 v10, 0xb2a5705f, v3
	v_sub_f32_e32 v7, v7, v11
	v_add_f32_e32 v7, v7, v10
	v_exp_f32_e32 v7, v7
	v_cvt_i32_f32_e32 v10, v11
	v_cndmask_b32_e32 v6, 0, v6, vcc
	v_cmp_ngt_f32_e32 vcc, s30, v2
	v_ldexp_f32 v7, v7, v10
	s_nop 0
	v_cndmask_b32_e32 v6, v46, v6, vcc
	v_cmp_nlt_f32_e32 vcc, s29, v3
	v_add_f32_e32 v6, 1.0, v6
	v_rcp_f32_e32 v6, v6
	v_cndmask_b32_e32 v7, 0, v7, vcc
	v_cmp_ngt_f32_e32 vcc, s30, v3
	s_nop 1
	v_cndmask_b32_e32 v7, v46, v7, vcc
	v_add_f32_e32 v7, 1.0, v7
	v_rcp_f32_e32 v7, v7
	s_nop 0
	v_pk_mul_f32 v[2:3], v[2:3], v[6:7]
	s_nop 0
	;;#ASMSTART
	v_pk_mul_f32 v[10:11], v[2:3], v[8:9]
	;;#ASMEND
	s_load_dword s14, s[0:1], 0xc
	v_perm_b32 v7, v25, v24, s31
	v_perm_b32 v9, v27, v26, s31
	v_perm_b32 v6, v41, v40, s31
	v_perm_b32 v8, v29, v28, s31
	s_waitcnt lgkmcnt(0)
	s_and_b32 s14, s14, 0xffff
	s_lshl_b32 s26, s14, 4
	v_lshl_add_u64 v[44:45], s[26:27], 0, v[44:45]
	v_cmp_le_i64_e32 vcc, s[24:25], v[44:45]
	v_perm_b32 v3, v5, v4, s31
	v_perm_b32 v5, v11, v10, s31
	;; [unrolled: 1-line block ×4, first 2 shown]
	s_or_b64 s[2:3], vcc, s[2:3]
	buffer_store_dwordx4 v[6:9], v47, s[4:7], 0 offen
	buffer_store_dwordx4 v[2:5], v47, s[4:7], 16 offen
	s_andn2_b64 exec, exec, s[2:3]
	s_cbranch_execnz .LBB212_8
.LBB212_9:
	s_endpgm
	.section	.rodata,"a",@progbits
	.p2align	6, 0x0
	.amdhsa_kernel _ZN5aiter23act_and_mul_bias_kernelIttlfTnPFfRKT2_EXadL_ZNS_11silu_kernelIfEEfRKT_EELi16EEEvPT0_PS8_PKT1_PS2_il
		.amdhsa_group_segment_fixed_size 0
		.amdhsa_private_segment_fixed_size 0
		.amdhsa_kernarg_size 304
		.amdhsa_user_sgpr_count 2
		.amdhsa_user_sgpr_dispatch_ptr 0
		.amdhsa_user_sgpr_queue_ptr 0
		.amdhsa_user_sgpr_kernarg_segment_ptr 1
		.amdhsa_user_sgpr_dispatch_id 0
		.amdhsa_user_sgpr_kernarg_preload_length 0
		.amdhsa_user_sgpr_kernarg_preload_offset 0
		.amdhsa_user_sgpr_private_segment_size 0
		.amdhsa_uses_dynamic_stack 0
		.amdhsa_enable_private_segment 0
		.amdhsa_system_sgpr_workgroup_id_x 1
		.amdhsa_system_sgpr_workgroup_id_y 0
		.amdhsa_system_sgpr_workgroup_id_z 0
		.amdhsa_system_sgpr_workgroup_info 0
		.amdhsa_system_vgpr_workitem_id 0
		.amdhsa_next_free_vgpr 54
		.amdhsa_next_free_sgpr 32
		.amdhsa_accum_offset 56
		.amdhsa_reserve_vcc 1
		.amdhsa_float_round_mode_32 0
		.amdhsa_float_round_mode_16_64 0
		.amdhsa_float_denorm_mode_32 3
		.amdhsa_float_denorm_mode_16_64 3
		.amdhsa_dx10_clamp 1
		.amdhsa_ieee_mode 1
		.amdhsa_fp16_overflow 0
		.amdhsa_tg_split 0
		.amdhsa_exception_fp_ieee_invalid_op 0
		.amdhsa_exception_fp_denorm_src 0
		.amdhsa_exception_fp_ieee_div_zero 0
		.amdhsa_exception_fp_ieee_overflow 0
		.amdhsa_exception_fp_ieee_underflow 0
		.amdhsa_exception_fp_ieee_inexact 0
		.amdhsa_exception_int_div_zero 0
	.end_amdhsa_kernel
	.section	.text._ZN5aiter23act_and_mul_bias_kernelIttlfTnPFfRKT2_EXadL_ZNS_11silu_kernelIfEEfRKT_EELi16EEEvPT0_PS8_PKT1_PS2_il,"axG",@progbits,_ZN5aiter23act_and_mul_bias_kernelIttlfTnPFfRKT2_EXadL_ZNS_11silu_kernelIfEEfRKT_EELi16EEEvPT0_PS8_PKT1_PS2_il,comdat
.Lfunc_end212:
	.size	_ZN5aiter23act_and_mul_bias_kernelIttlfTnPFfRKT2_EXadL_ZNS_11silu_kernelIfEEfRKT_EELi16EEEvPT0_PS8_PKT1_PS2_il, .Lfunc_end212-_ZN5aiter23act_and_mul_bias_kernelIttlfTnPFfRKT2_EXadL_ZNS_11silu_kernelIfEEfRKT_EELi16EEEvPT0_PS8_PKT1_PS2_il
                                        ; -- End function
	.section	.AMDGPU.csdata,"",@progbits
; Kernel info:
; codeLenInByte = 2664
; NumSgprs: 38
; NumVgprs: 54
; NumAgprs: 0
; TotalNumVgprs: 54
; ScratchSize: 0
; MemoryBound: 0
; FloatMode: 240
; IeeeMode: 1
; LDSByteSize: 0 bytes/workgroup (compile time only)
; SGPRBlocks: 4
; VGPRBlocks: 6
; NumSGPRsForWavesPerEU: 38
; NumVGPRsForWavesPerEU: 54
; AccumOffset: 56
; Occupancy: 8
; WaveLimiterHint : 0
; COMPUTE_PGM_RSRC2:SCRATCH_EN: 0
; COMPUTE_PGM_RSRC2:USER_SGPR: 2
; COMPUTE_PGM_RSRC2:TRAP_HANDLER: 0
; COMPUTE_PGM_RSRC2:TGID_X_EN: 1
; COMPUTE_PGM_RSRC2:TGID_Y_EN: 0
; COMPUTE_PGM_RSRC2:TGID_Z_EN: 0
; COMPUTE_PGM_RSRC2:TIDIG_COMP_CNT: 0
; COMPUTE_PGM_RSRC3_GFX90A:ACCUM_OFFSET: 13
; COMPUTE_PGM_RSRC3_GFX90A:TG_SPLIT: 0
	.section	.text._ZN5aiter23act_and_mul_bias_kernelIttlfTnPFfRKT2_EXadL_ZNS_11silu_kernelIfEEfRKT_EELi8EEEvPT0_PS8_PKT1_PS2_il,"axG",@progbits,_ZN5aiter23act_and_mul_bias_kernelIttlfTnPFfRKT2_EXadL_ZNS_11silu_kernelIfEEfRKT_EELi8EEEvPT0_PS8_PKT1_PS2_il,comdat
	.protected	_ZN5aiter23act_and_mul_bias_kernelIttlfTnPFfRKT2_EXadL_ZNS_11silu_kernelIfEEfRKT_EELi8EEEvPT0_PS8_PKT1_PS2_il ; -- Begin function _ZN5aiter23act_and_mul_bias_kernelIttlfTnPFfRKT2_EXadL_ZNS_11silu_kernelIfEEfRKT_EELi8EEEvPT0_PS8_PKT1_PS2_il
	.globl	_ZN5aiter23act_and_mul_bias_kernelIttlfTnPFfRKT2_EXadL_ZNS_11silu_kernelIfEEfRKT_EELi8EEEvPT0_PS8_PKT1_PS2_il
	.p2align	8
	.type	_ZN5aiter23act_and_mul_bias_kernelIttlfTnPFfRKT2_EXadL_ZNS_11silu_kernelIfEEfRKT_EELi8EEEvPT0_PS8_PKT1_PS2_il,@function
_ZN5aiter23act_and_mul_bias_kernelIttlfTnPFfRKT2_EXadL_ZNS_11silu_kernelIfEEfRKT_EELi8EEEvPT0_PS8_PKT1_PS2_il: ; @_ZN5aiter23act_and_mul_bias_kernelIttlfTnPFfRKT2_EXadL_ZNS_11silu_kernelIfEEfRKT_EELi8EEEvPT0_PS8_PKT1_PS2_il
; %bb.0:
	s_load_dword s14, s[0:1], 0x20
	s_load_dwordx2 s[6:7], s[0:1], 0x0
	s_load_dwordx2 s[4:5], s[0:1], 0x10
	;; [unrolled: 1-line block ×3, first 2 shown]
	s_mov_b32 s3, 0
	s_waitcnt lgkmcnt(0)
	s_ashr_i32 s15, s14, 31
	s_lshl_b64 s[10:11], s[2:3], 3
	s_add_u32 s4, s4, s10
	s_addc_u32 s5, s5, s11
	s_add_i32 s3, s14, 1
	s_lshr_b32 s10, s3, 31
	s_add_i32 s3, s3, s10
	s_load_dwordx2 s[4:5], s[4:5], 0x0
	s_lshl_b32 s3, s3, 1
	s_and_b32 s18, s3, -4
	s_mul_hi_u32 s3, s14, s2
	s_mul_i32 s10, s15, s2
	s_add_i32 s11, s3, s10
	s_mul_i32 s10, s14, s2
	s_lshl_b64 s[10:11], s[10:11], 1
	s_add_u32 s16, s6, s10
	v_mov_b64_e32 v[2:3], s[8:9]
	s_addc_u32 s3, s7, s11
	s_waitcnt lgkmcnt(0)
	v_cmp_gt_i64_e64 s[10:11], s[4:5], -1
	v_cmp_lt_i64_e32 vcc, s[4:5], v[2:3]
	s_and_b64 s[8:9], s[10:11], vcc
	s_and_b32 s17, s3, 0xffff
	s_mov_b64 s[6:7], -1
	s_and_b64 vcc, exec, s[8:9]
	v_lshlrev_b32_e32 v24, 3, v0
	s_cbranch_vccnz .LBB213_5
; %bb.1:
	v_cmp_gt_i32_e32 vcc, s14, v24
	s_and_saveexec_b64 s[6:7], vcc
	s_cbranch_execz .LBB213_4
; %bb.2:
	s_load_dword s3, s[0:1], 0x3c
	v_mov_b32_e32 v25, 0
	s_mov_b32 s9, 0
	v_lshlrev_b32_e32 v6, 4, v0
	s_mov_b64 s[10:11], 0
	s_waitcnt lgkmcnt(0)
	s_and_b32 s3, s3, 0xffff
	s_lshl_b32 s8, s3, 3
	s_lshl_b32 s3, s3, 4
	s_mov_b32 s19, 0x20000
	v_mov_b32_e32 v0, v25
	v_mov_b32_e32 v1, v25
	v_mov_b32_e32 v2, v25
	v_mov_b32_e32 v3, v25
	v_mov_b64_e32 v[4:5], v[24:25]
.LBB213_3:                              ; =>This Inner Loop Header: Depth=1
	v_lshl_add_u64 v[4:5], s[8:9], 0, v[4:5]
	v_cmp_le_i64_e32 vcc, s[14:15], v[4:5]
	buffer_store_dwordx4 v[0:3], v6, s[16:19], 0 offen
	s_or_b64 s[10:11], vcc, s[10:11]
	v_add_u32_e32 v6, s3, v6
	s_andn2_b64 exec, exec, s[10:11]
	s_cbranch_execnz .LBB213_3
.LBB213_4:
	s_or_b64 exec, exec, s[6:7]
	s_mov_b64 s[6:7], 0
.LBB213_5:
	s_andn2_b64 vcc, exec, s[6:7]
	s_cbranch_vccnz .LBB213_9
; %bb.6:
	v_cmp_gt_i32_e32 vcc, s14, v24
	s_and_saveexec_b64 s[6:7], vcc
	s_cbranch_execz .LBB213_9
; %bb.7:
	s_load_dwordx2 s[6:7], s[0:1], 0x8
	s_load_dwordx2 s[8:9], s[0:1], 0x18
	s_mul_i32 s3, s14, s5
	s_mul_hi_u32 s5, s14, s4
	s_add_i32 s3, s5, s3
	s_mul_i32 s5, s15, s4
	s_add_i32 s5, s3, s5
	s_mul_i32 s4, s14, s4
	s_lshl_b64 s[4:5], s[4:5], 3
	s_waitcnt lgkmcnt(0)
	s_add_u32 s20, s8, s4
	s_addc_u32 s3, s9, s5
	s_lshl_b64 s[4:5], s[14:15], 2
	s_add_u32 s24, s20, s4
	s_addc_u32 s4, s3, s5
	s_and_b32 s21, s3, 0xffff
	s_and_b32 s25, s4, 0xffff
	s_mul_i32 s3, s2, s15
	s_mul_hi_u32 s4, s2, s14
	s_add_i32 s3, s4, s3
	s_mul_i32 s2, s2, s14
	s_lshl_b32 s22, s14, 2
	s_lshl_b64 s[2:3], s[2:3], 2
	s_add_u32 s28, s6, s2
	s_addc_u32 s4, s7, s3
	s_lshl_b64 s[2:3], s[14:15], 1
	s_add_u32 s36, s28, s2
	s_addc_u32 s2, s4, s3
	s_and_b32 s29, s4, 0xffff
	s_and_b32 s37, s2, 0xffff
	s_mov_b32 s19, 0x20000
	s_add_u32 s34, s0, 48
	s_mov_b32 s23, s19
	v_mov_b32_e32 v25, 0
	s_addc_u32 s35, s1, 0
	s_mov_b64 s[40:41], 0
	s_mov_b32 s43, 0
	s_mov_b32 s33, 0xbfb8aa3b
	s_mov_b32 s44, 0x42ce8ed0
	s_mov_b32 s45, 0xc2b17218
	v_mov_b32_e32 v30, 0x7f800000
	s_mov_b32 s46, 0x7060302
	s_mov_b32 s30, s18
	;; [unrolled: 1-line block ×5, first 2 shown]
.LBB213_8:                              ; =>This Inner Loop Header: Depth=1
	v_lshlrev_b32_e32 v31, 1, v24
	v_lshlrev_b32_e32 v26, 2, v24
	s_mov_b32 s26, s22
	s_mov_b32 s27, s23
	buffer_load_dwordx4 v[20:23], v31, s[36:39], 0 offen
	buffer_load_dwordx4 v[16:19], v31, s[28:31], 0 offen
	;; [unrolled: 1-line block ×6, first 2 shown]
	s_waitcnt vmcnt(5)
	v_and_b32_e32 v35, 0xffff0000, v22
	v_lshlrev_b32_e32 v34, 16, v22
	v_and_b32_e32 v39, 0xffff0000, v23
	v_lshlrev_b32_e32 v38, 16, v23
	s_waitcnt vmcnt(4)
	v_and_b32_e32 v23, 0xffff0000, v19
	v_lshlrev_b32_e32 v22, 16, v19
	v_and_b32_e32 v27, 0xffff0000, v20
	v_lshlrev_b32_e32 v26, 16, v20
	;; [unrolled: 2-line block ×6, first 2 shown]
	s_waitcnt vmcnt(0)
	v_pk_add_f32 v[2:3], v[2:3], v[22:23]
	v_pk_add_f32 v[16:17], v[4:5], v[28:29]
	;; [unrolled: 1-line block ×6, first 2 shown]
	v_mul_f32_e32 v22, 0xbfb8aa3b, v2
	v_mul_f32_e32 v23, 0xbfb8aa3b, v3
	v_pk_add_f32 v[0:1], v[14:15], v[38:39]
	v_mul_f32_e32 v14, 0xbfb8aa3b, v16
	v_mul_f32_e32 v15, 0xbfb8aa3b, v17
	;; [unrolled: 1-line block ×6, first 2 shown]
	v_fma_f32 v40, v2, s33, -v22
	v_rndne_f32_e32 v41, v22
	v_fma_f32 v42, v3, s33, -v23
	v_rndne_f32_e32 v43, v23
	v_pk_add_f32 v[8:9], v[8:9], v[26:27]
	v_fma_f32 v26, v16, s33, -v14
	v_rndne_f32_e32 v27, v14
	v_fma_f32 v28, v17, s33, -v15
	v_rndne_f32_e32 v29, v15
	;; [unrolled: 2-line block ×6, first 2 shown]
	v_fmac_f32_e32 v40, 0xb2a5705f, v2
	v_sub_f32_e32 v22, v22, v41
	v_fmac_f32_e32 v42, 0xb2a5705f, v3
	v_sub_f32_e32 v23, v23, v43
	;; [unrolled: 2-line block ×8, first 2 shown]
	v_add_f32_e32 v22, v22, v40
	v_add_f32_e32 v23, v23, v42
	v_cvt_i32_f32_e32 v41, v41
	v_cvt_i32_f32_e32 v43, v43
	v_add_f32_e32 v14, v14, v26
	v_add_f32_e32 v15, v15, v28
	;; [unrolled: 1-line block ×6, first 2 shown]
	v_exp_f32_e32 v22, v22
	v_exp_f32_e32 v23, v23
	v_cvt_i32_f32_e32 v27, v27
	v_cvt_i32_f32_e32 v29, v29
	;; [unrolled: 1-line block ×6, first 2 shown]
	v_exp_f32_e32 v14, v14
	v_exp_f32_e32 v15, v15
	;; [unrolled: 1-line block ×6, first 2 shown]
	v_ldexp_f32 v22, v22, v41
	v_cmp_nlt_f32_e64 s[8:9], s44, v2
	v_ldexp_f32 v23, v23, v43
	v_cmp_nlt_f32_e64 s[10:11], s44, v3
	v_ldexp_f32 v14, v14, v27
	v_ldexp_f32 v15, v15, v29
	v_cmp_nlt_f32_e32 vcc, s44, v17
	v_ldexp_f32 v18, v18, v33
	v_cmp_nlt_f32_e64 s[0:1], s44, v10
	v_ldexp_f32 v19, v19, v35
	v_cmp_nlt_f32_e64 s[2:3], s44, v11
	;; [unrolled: 2-line block ×4, first 2 shown]
	v_cmp_nlt_f32_e64 s[12:13], s44, v16
	v_cndmask_b32_e64 v22, 0, v22, s[8:9]
	v_cmp_ngt_f32_e64 s[8:9], s45, v2
	v_cndmask_b32_e64 v23, 0, v23, s[10:11]
	v_cmp_ngt_f32_e64 s[10:11], s45, v3
	v_cndmask_b32_e64 v14, 0, v14, s[12:13]
	v_cndmask_b32_e32 v15, 0, v15, vcc
	v_cmp_ngt_f32_e32 vcc, s45, v17
	v_cndmask_b32_e64 v18, 0, v18, s[0:1]
	v_cmp_ngt_f32_e64 s[0:1], s45, v10
	v_cndmask_b32_e64 v19, 0, v19, s[2:3]
	v_cmp_ngt_f32_e64 s[2:3], s45, v11
	;; [unrolled: 2-line block ×4, first 2 shown]
	v_cmp_ngt_f32_e64 s[12:13], s45, v16
	v_cndmask_b32_e64 v22, v30, v22, s[8:9]
	v_cndmask_b32_e64 v23, v30, v23, s[10:11]
	;; [unrolled: 1-line block ×3, first 2 shown]
	v_cndmask_b32_e32 v15, v30, v15, vcc
	v_cndmask_b32_e64 v18, v30, v18, s[0:1]
	v_cndmask_b32_e64 v19, v30, v19, s[2:3]
	;; [unrolled: 1-line block ×4, first 2 shown]
	v_add_f32_e32 v22, 1.0, v22
	v_add_f32_e32 v23, 1.0, v23
	;; [unrolled: 1-line block ×8, first 2 shown]
	v_rcp_f32_e32 v22, v22
	v_rcp_f32_e32 v23, v23
	;; [unrolled: 1-line block ×8, first 2 shown]
	v_pk_mul_f32 v[2:3], v[2:3], v[22:23]
	v_pk_mul_f32 v[14:15], v[16:17], v[14:15]
	;; [unrolled: 1-line block ×4, first 2 shown]
	;;#ASMSTART
	v_pk_mul_f32 v[8:9], v[14:15], v[8:9]
	;;#ASMEND
	;;#ASMSTART
	v_pk_mul_f32 v[4:5], v[10:11], v[4:5]
	;;#ASMEND
	s_nop 0
	;;#ASMSTART
	v_pk_mul_f32 v[6:7], v[12:13], v[6:7]
	;;#ASMEND
	;;#ASMSTART
	v_pk_mul_f32 v[2:3], v[2:3], v[0:1]
	;;#ASMEND
	s_load_dword s0, s[34:35], 0xc
	v_perm_b32 v1, v5, v4, s46
	v_perm_b32 v3, v3, v2, s46
	v_perm_b32 v0, v9, v8, s46
	v_perm_b32 v2, v7, v6, s46
	s_waitcnt lgkmcnt(0)
	s_and_b32 s0, s0, 0xffff
	s_lshl_b32 s42, s0, 3
	v_lshl_add_u64 v[24:25], s[42:43], 0, v[24:25]
	v_cmp_le_i64_e32 vcc, s[14:15], v[24:25]
	s_or_b64 s[40:41], vcc, s[40:41]
	buffer_store_dwordx4 v[0:3], v31, s[16:19], 0 offen
	s_andn2_b64 exec, exec, s[40:41]
	s_cbranch_execnz .LBB213_8
.LBB213_9:
	s_endpgm
	.section	.rodata,"a",@progbits
	.p2align	6, 0x0
	.amdhsa_kernel _ZN5aiter23act_and_mul_bias_kernelIttlfTnPFfRKT2_EXadL_ZNS_11silu_kernelIfEEfRKT_EELi8EEEvPT0_PS8_PKT1_PS2_il
		.amdhsa_group_segment_fixed_size 0
		.amdhsa_private_segment_fixed_size 0
		.amdhsa_kernarg_size 304
		.amdhsa_user_sgpr_count 2
		.amdhsa_user_sgpr_dispatch_ptr 0
		.amdhsa_user_sgpr_queue_ptr 0
		.amdhsa_user_sgpr_kernarg_segment_ptr 1
		.amdhsa_user_sgpr_dispatch_id 0
		.amdhsa_user_sgpr_kernarg_preload_length 0
		.amdhsa_user_sgpr_kernarg_preload_offset 0
		.amdhsa_user_sgpr_private_segment_size 0
		.amdhsa_uses_dynamic_stack 0
		.amdhsa_enable_private_segment 0
		.amdhsa_system_sgpr_workgroup_id_x 1
		.amdhsa_system_sgpr_workgroup_id_y 0
		.amdhsa_system_sgpr_workgroup_id_z 0
		.amdhsa_system_sgpr_workgroup_info 0
		.amdhsa_system_vgpr_workitem_id 0
		.amdhsa_next_free_vgpr 44
		.amdhsa_next_free_sgpr 47
		.amdhsa_accum_offset 44
		.amdhsa_reserve_vcc 1
		.amdhsa_float_round_mode_32 0
		.amdhsa_float_round_mode_16_64 0
		.amdhsa_float_denorm_mode_32 3
		.amdhsa_float_denorm_mode_16_64 3
		.amdhsa_dx10_clamp 1
		.amdhsa_ieee_mode 1
		.amdhsa_fp16_overflow 0
		.amdhsa_tg_split 0
		.amdhsa_exception_fp_ieee_invalid_op 0
		.amdhsa_exception_fp_denorm_src 0
		.amdhsa_exception_fp_ieee_div_zero 0
		.amdhsa_exception_fp_ieee_overflow 0
		.amdhsa_exception_fp_ieee_underflow 0
		.amdhsa_exception_fp_ieee_inexact 0
		.amdhsa_exception_int_div_zero 0
	.end_amdhsa_kernel
	.section	.text._ZN5aiter23act_and_mul_bias_kernelIttlfTnPFfRKT2_EXadL_ZNS_11silu_kernelIfEEfRKT_EELi8EEEvPT0_PS8_PKT1_PS2_il,"axG",@progbits,_ZN5aiter23act_and_mul_bias_kernelIttlfTnPFfRKT2_EXadL_ZNS_11silu_kernelIfEEfRKT_EELi8EEEvPT0_PS8_PKT1_PS2_il,comdat
.Lfunc_end213:
	.size	_ZN5aiter23act_and_mul_bias_kernelIttlfTnPFfRKT2_EXadL_ZNS_11silu_kernelIfEEfRKT_EELi8EEEvPT0_PS8_PKT1_PS2_il, .Lfunc_end213-_ZN5aiter23act_and_mul_bias_kernelIttlfTnPFfRKT2_EXadL_ZNS_11silu_kernelIfEEfRKT_EELi8EEEvPT0_PS8_PKT1_PS2_il
                                        ; -- End function
	.section	.AMDGPU.csdata,"",@progbits
; Kernel info:
; codeLenInByte = 1656
; NumSgprs: 53
; NumVgprs: 44
; NumAgprs: 0
; TotalNumVgprs: 44
; ScratchSize: 0
; MemoryBound: 0
; FloatMode: 240
; IeeeMode: 1
; LDSByteSize: 0 bytes/workgroup (compile time only)
; SGPRBlocks: 6
; VGPRBlocks: 5
; NumSGPRsForWavesPerEU: 53
; NumVGPRsForWavesPerEU: 44
; AccumOffset: 44
; Occupancy: 8
; WaveLimiterHint : 0
; COMPUTE_PGM_RSRC2:SCRATCH_EN: 0
; COMPUTE_PGM_RSRC2:USER_SGPR: 2
; COMPUTE_PGM_RSRC2:TRAP_HANDLER: 0
; COMPUTE_PGM_RSRC2:TGID_X_EN: 1
; COMPUTE_PGM_RSRC2:TGID_Y_EN: 0
; COMPUTE_PGM_RSRC2:TGID_Z_EN: 0
; COMPUTE_PGM_RSRC2:TIDIG_COMP_CNT: 0
; COMPUTE_PGM_RSRC3_GFX90A:ACCUM_OFFSET: 10
; COMPUTE_PGM_RSRC3_GFX90A:TG_SPLIT: 0
	.section	.text._ZN5aiter23act_and_mul_bias_kernelIttlfTnPFfRKT2_EXadL_ZNS_11silu_kernelIfEEfRKT_EELi4EEEvPT0_PS8_PKT1_PS2_il,"axG",@progbits,_ZN5aiter23act_and_mul_bias_kernelIttlfTnPFfRKT2_EXadL_ZNS_11silu_kernelIfEEfRKT_EELi4EEEvPT0_PS8_PKT1_PS2_il,comdat
	.protected	_ZN5aiter23act_and_mul_bias_kernelIttlfTnPFfRKT2_EXadL_ZNS_11silu_kernelIfEEfRKT_EELi4EEEvPT0_PS8_PKT1_PS2_il ; -- Begin function _ZN5aiter23act_and_mul_bias_kernelIttlfTnPFfRKT2_EXadL_ZNS_11silu_kernelIfEEfRKT_EELi4EEEvPT0_PS8_PKT1_PS2_il
	.globl	_ZN5aiter23act_and_mul_bias_kernelIttlfTnPFfRKT2_EXadL_ZNS_11silu_kernelIfEEfRKT_EELi4EEEvPT0_PS8_PKT1_PS2_il
	.p2align	8
	.type	_ZN5aiter23act_and_mul_bias_kernelIttlfTnPFfRKT2_EXadL_ZNS_11silu_kernelIfEEfRKT_EELi4EEEvPT0_PS8_PKT1_PS2_il,@function
_ZN5aiter23act_and_mul_bias_kernelIttlfTnPFfRKT2_EXadL_ZNS_11silu_kernelIfEEfRKT_EELi4EEEvPT0_PS8_PKT1_PS2_il: ; @_ZN5aiter23act_and_mul_bias_kernelIttlfTnPFfRKT2_EXadL_ZNS_11silu_kernelIfEEfRKT_EELi4EEEvPT0_PS8_PKT1_PS2_il
; %bb.0:
	s_load_dword s6, s[0:1], 0x20
	s_load_dwordx2 s[8:9], s[0:1], 0x0
	s_load_dwordx2 s[4:5], s[0:1], 0x10
	;; [unrolled: 1-line block ×3, first 2 shown]
	s_mov_b32 s3, 0
	s_waitcnt lgkmcnt(0)
	s_ashr_i32 s7, s6, 31
	s_lshl_b64 s[10:11], s[2:3], 3
	s_add_u32 s4, s4, s10
	s_addc_u32 s5, s5, s11
	s_add_i32 s3, s6, 1
	s_lshr_b32 s10, s3, 31
	s_load_dwordx2 s[4:5], s[4:5], 0x0
	s_add_i32 s3, s3, s10
	s_lshl_b32 s3, s3, 1
	s_and_b32 s10, s3, -4
	s_mul_hi_u32 s3, s6, s2
	s_mul_i32 s11, s7, s2
	s_add_i32 s13, s3, s11
	s_mul_i32 s12, s6, s2
	s_lshl_b64 s[12:13], s[12:13], 1
	v_mov_b64_e32 v[2:3], s[14:15]
	s_add_u32 s8, s8, s12
	s_waitcnt lgkmcnt(0)
	v_cmp_gt_i64_e64 s[16:17], s[4:5], -1
	v_cmp_lt_i64_e32 vcc, s[4:5], v[2:3]
	s_addc_u32 s3, s9, s13
	s_and_b64 s[14:15], s[16:17], vcc
	s_and_b32 s9, s3, 0xffff
	s_mov_b64 s[12:13], -1
	s_and_b64 vcc, exec, s[14:15]
	v_lshlrev_b32_e32 v2, 2, v0
	s_cbranch_vccnz .LBB214_5
; %bb.1:
	v_cmp_gt_i32_e32 vcc, s6, v2
	s_and_saveexec_b64 s[12:13], vcc
	s_cbranch_execz .LBB214_4
; %bb.2:
	s_load_dword s3, s[0:1], 0x3c
	v_mov_b32_e32 v3, 0
	s_mov_b32 s15, 0
	v_lshlrev_b32_e32 v6, 3, v0
	s_mov_b64 s[16:17], 0
	s_waitcnt lgkmcnt(0)
	s_and_b32 s3, s3, 0xffff
	s_lshl_b32 s14, s3, 2
	s_lshl_b32 s3, s3, 3
	s_mov_b32 s11, 0x20000
	v_mov_b32_e32 v0, v3
	v_mov_b32_e32 v1, v3
	v_mov_b64_e32 v[4:5], v[2:3]
.LBB214_3:                              ; =>This Inner Loop Header: Depth=1
	v_lshl_add_u64 v[4:5], s[14:15], 0, v[4:5]
	v_cmp_le_i64_e32 vcc, s[6:7], v[4:5]
	buffer_store_dwordx2 v[0:1], v6, s[8:11], 0 offen
	s_or_b64 s[16:17], vcc, s[16:17]
	v_add_u32_e32 v6, s3, v6
	s_andn2_b64 exec, exec, s[16:17]
	s_cbranch_execnz .LBB214_3
.LBB214_4:
	s_or_b64 exec, exec, s[12:13]
	s_mov_b64 s[12:13], 0
.LBB214_5:
	s_andn2_b64 vcc, exec, s[12:13]
	s_cbranch_vccnz .LBB214_9
; %bb.6:
	v_cmp_gt_i32_e32 vcc, s6, v2
	s_and_saveexec_b64 s[12:13], vcc
	s_cbranch_execz .LBB214_9
; %bb.7:
	s_load_dwordx2 s[18:19], s[0:1], 0x8
	s_load_dwordx2 s[12:13], s[0:1], 0x18
	s_mul_i32 s3, s6, s5
	s_mul_hi_u32 s5, s6, s4
	s_add_i32 s3, s5, s3
	s_mul_i32 s5, s7, s4
	s_add_i32 s5, s3, s5
	s_mul_i32 s4, s6, s4
	s_lshl_b64 s[4:5], s[4:5], 3
	s_waitcnt lgkmcnt(0)
	s_add_u32 s12, s12, s4
	s_addc_u32 s3, s13, s5
	s_lshl_b64 s[4:5], s[6:7], 2
	s_add_u32 s16, s12, s4
	s_addc_u32 s4, s3, s5
	s_and_b32 s13, s3, 0xffff
	s_and_b32 s17, s4, 0xffff
	s_mul_i32 s3, s2, s7
	s_mul_hi_u32 s4, s2, s6
	s_add_i32 s3, s4, s3
	s_mul_i32 s2, s2, s6
	s_lshl_b32 s14, s6, 2
	s_lshl_b64 s[2:3], s[2:3], 2
	s_add_u32 s20, s18, s2
	s_addc_u32 s4, s19, s3
	s_lshl_b64 s[2:3], s[6:7], 1
	s_add_u32 s24, s20, s2
	s_addc_u32 s2, s4, s3
	s_and_b32 s21, s4, 0xffff
	s_and_b32 s25, s2, 0xffff
	s_mov_b32 s11, 0x20000
	s_add_u32 s28, s0, 48
	s_mov_b32 s15, s11
	v_mov_b32_e32 v3, 0
	s_addc_u32 s29, s1, 0
	s_mov_b64 s[30:31], 0
	s_mov_b32 s35, 0
	s_mov_b32 s33, 0xbfb8aa3b
	;; [unrolled: 1-line block ×4, first 2 shown]
	v_mov_b32_e32 v0, 0x7f800000
	s_mov_b32 s38, 0x7060302
	s_mov_b32 s22, s10
	;; [unrolled: 1-line block ×5, first 2 shown]
.LBB214_8:                              ; =>This Inner Loop Header: Depth=1
	v_lshlrev_b32_e32 v1, 1, v2
	v_lshlrev_b32_e32 v16, 2, v2
	s_mov_b32 s18, s14
	s_mov_b32 s19, s15
	buffer_load_dwordx2 v[12:13], v1, s[24:27], 0 offen
	buffer_load_dwordx2 v[14:15], v1, s[20:23], 0 offen
	buffer_load_dwordx4 v[4:7], v16, s[12:15], 0 offen
	buffer_load_dwordx4 v[8:11], v16, s[16:19], 0 offen
	s_waitcnt vmcnt(3)
	v_and_b32_e32 v17, 0xffff0000, v12
	v_lshlrev_b32_e32 v16, 16, v12
	s_waitcnt vmcnt(2)
	v_and_b32_e32 v19, 0xffff0000, v14
	v_lshlrev_b32_e32 v18, 16, v14
	v_and_b32_e32 v21, 0xffff0000, v13
	v_lshlrev_b32_e32 v20, 16, v13
	v_and_b32_e32 v13, 0xffff0000, v15
	v_lshlrev_b32_e32 v12, 16, v15
	s_waitcnt vmcnt(1)
	v_pk_add_f32 v[4:5], v[4:5], v[18:19]
	v_pk_add_f32 v[6:7], v[6:7], v[12:13]
	v_mul_f32_e32 v12, 0xbfb8aa3b, v4
	v_mul_f32_e32 v13, 0xbfb8aa3b, v5
	;; [unrolled: 1-line block ×4, first 2 shown]
	s_waitcnt vmcnt(0)
	v_pk_add_f32 v[8:9], v[8:9], v[16:17]
	v_pk_add_f32 v[10:11], v[10:11], v[20:21]
	v_fma_f32 v16, v4, s33, -v12
	v_rndne_f32_e32 v17, v12
	v_fma_f32 v18, v5, s33, -v13
	v_rndne_f32_e32 v19, v13
	v_fma_f32 v20, v6, s33, -v14
	v_rndne_f32_e32 v21, v14
	v_fma_f32 v22, v7, s33, -v15
	v_rndne_f32_e32 v23, v15
	v_fmac_f32_e32 v16, 0xb2a5705f, v4
	v_sub_f32_e32 v12, v12, v17
	v_fmac_f32_e32 v18, 0xb2a5705f, v5
	v_sub_f32_e32 v13, v13, v19
	;; [unrolled: 2-line block ×4, first 2 shown]
	v_add_f32_e32 v12, v12, v16
	v_add_f32_e32 v13, v13, v18
	;; [unrolled: 1-line block ×4, first 2 shown]
	v_cvt_i32_f32_e32 v17, v17
	v_cvt_i32_f32_e32 v19, v19
	v_cvt_i32_f32_e32 v21, v21
	v_cvt_i32_f32_e32 v23, v23
	v_exp_f32_e32 v12, v12
	v_exp_f32_e32 v13, v13
	;; [unrolled: 1-line block ×4, first 2 shown]
	v_ldexp_f32 v12, v12, v17
	v_ldexp_f32 v13, v13, v19
	v_cmp_nlt_f32_e32 vcc, s36, v5
	v_ldexp_f32 v14, v14, v21
	v_cmp_nlt_f32_e64 s[0:1], s36, v6
	v_ldexp_f32 v15, v15, v23
	v_cmp_nlt_f32_e64 s[2:3], s36, v7
	v_cmp_nlt_f32_e64 s[4:5], s36, v4
	v_cndmask_b32_e32 v13, 0, v13, vcc
	v_cmp_ngt_f32_e32 vcc, s37, v5
	v_cndmask_b32_e64 v12, 0, v12, s[4:5]
	v_cndmask_b32_e64 v14, 0, v14, s[0:1]
	v_cmp_ngt_f32_e64 s[0:1], s37, v6
	v_cndmask_b32_e64 v15, 0, v15, s[2:3]
	v_cmp_ngt_f32_e64 s[2:3], s37, v7
	v_cmp_ngt_f32_e64 s[4:5], s37, v4
	v_cndmask_b32_e32 v13, v0, v13, vcc
	v_cndmask_b32_e64 v14, v0, v14, s[0:1]
	v_cndmask_b32_e64 v12, v0, v12, s[4:5]
	;; [unrolled: 1-line block ×3, first 2 shown]
	v_add_f32_e32 v12, 1.0, v12
	v_add_f32_e32 v13, 1.0, v13
	;; [unrolled: 1-line block ×4, first 2 shown]
	v_rcp_f32_e32 v12, v12
	v_rcp_f32_e32 v13, v13
	;; [unrolled: 1-line block ×4, first 2 shown]
	v_pk_mul_f32 v[4:5], v[4:5], v[12:13]
	s_nop 0
	;;#ASMSTART
	v_pk_mul_f32 v[4:5], v[4:5], v[8:9]
	;;#ASMEND
	v_pk_mul_f32 v[6:7], v[6:7], v[14:15]
	s_nop 0
	;;#ASMSTART
	v_pk_mul_f32 v[6:7], v[6:7], v[10:11]
	;;#ASMEND
	s_load_dword s0, s[28:29], 0xc
	v_perm_b32 v7, v7, v6, s38
	v_perm_b32 v6, v5, v4, s38
	buffer_store_dwordx2 v[6:7], v1, s[8:11], 0 offen
	s_waitcnt lgkmcnt(0)
	s_and_b32 s0, s0, 0xffff
	s_lshl_b32 s34, s0, 2
	v_lshl_add_u64 v[2:3], s[34:35], 0, v[2:3]
	v_cmp_le_i64_e32 vcc, s[6:7], v[2:3]
	s_or_b64 s[30:31], vcc, s[30:31]
	s_andn2_b64 exec, exec, s[30:31]
	s_cbranch_execnz .LBB214_8
.LBB214_9:
	s_endpgm
	.section	.rodata,"a",@progbits
	.p2align	6, 0x0
	.amdhsa_kernel _ZN5aiter23act_and_mul_bias_kernelIttlfTnPFfRKT2_EXadL_ZNS_11silu_kernelIfEEfRKT_EELi4EEEvPT0_PS8_PKT1_PS2_il
		.amdhsa_group_segment_fixed_size 0
		.amdhsa_private_segment_fixed_size 0
		.amdhsa_kernarg_size 304
		.amdhsa_user_sgpr_count 2
		.amdhsa_user_sgpr_dispatch_ptr 0
		.amdhsa_user_sgpr_queue_ptr 0
		.amdhsa_user_sgpr_kernarg_segment_ptr 1
		.amdhsa_user_sgpr_dispatch_id 0
		.amdhsa_user_sgpr_kernarg_preload_length 0
		.amdhsa_user_sgpr_kernarg_preload_offset 0
		.amdhsa_user_sgpr_private_segment_size 0
		.amdhsa_uses_dynamic_stack 0
		.amdhsa_enable_private_segment 0
		.amdhsa_system_sgpr_workgroup_id_x 1
		.amdhsa_system_sgpr_workgroup_id_y 0
		.amdhsa_system_sgpr_workgroup_id_z 0
		.amdhsa_system_sgpr_workgroup_info 0
		.amdhsa_system_vgpr_workitem_id 0
		.amdhsa_next_free_vgpr 24
		.amdhsa_next_free_sgpr 39
		.amdhsa_accum_offset 24
		.amdhsa_reserve_vcc 1
		.amdhsa_float_round_mode_32 0
		.amdhsa_float_round_mode_16_64 0
		.amdhsa_float_denorm_mode_32 3
		.amdhsa_float_denorm_mode_16_64 3
		.amdhsa_dx10_clamp 1
		.amdhsa_ieee_mode 1
		.amdhsa_fp16_overflow 0
		.amdhsa_tg_split 0
		.amdhsa_exception_fp_ieee_invalid_op 0
		.amdhsa_exception_fp_denorm_src 0
		.amdhsa_exception_fp_ieee_div_zero 0
		.amdhsa_exception_fp_ieee_overflow 0
		.amdhsa_exception_fp_ieee_underflow 0
		.amdhsa_exception_fp_ieee_inexact 0
		.amdhsa_exception_int_div_zero 0
	.end_amdhsa_kernel
	.section	.text._ZN5aiter23act_and_mul_bias_kernelIttlfTnPFfRKT2_EXadL_ZNS_11silu_kernelIfEEfRKT_EELi4EEEvPT0_PS8_PKT1_PS2_il,"axG",@progbits,_ZN5aiter23act_and_mul_bias_kernelIttlfTnPFfRKT2_EXadL_ZNS_11silu_kernelIfEEfRKT_EELi4EEEvPT0_PS8_PKT1_PS2_il,comdat
.Lfunc_end214:
	.size	_ZN5aiter23act_and_mul_bias_kernelIttlfTnPFfRKT2_EXadL_ZNS_11silu_kernelIfEEfRKT_EELi4EEEvPT0_PS8_PKT1_PS2_il, .Lfunc_end214-_ZN5aiter23act_and_mul_bias_kernelIttlfTnPFfRKT2_EXadL_ZNS_11silu_kernelIfEEfRKT_EELi4EEEvPT0_PS8_PKT1_PS2_il
                                        ; -- End function
	.section	.AMDGPU.csdata,"",@progbits
; Kernel info:
; codeLenInByte = 1144
; NumSgprs: 45
; NumVgprs: 24
; NumAgprs: 0
; TotalNumVgprs: 24
; ScratchSize: 0
; MemoryBound: 0
; FloatMode: 240
; IeeeMode: 1
; LDSByteSize: 0 bytes/workgroup (compile time only)
; SGPRBlocks: 5
; VGPRBlocks: 2
; NumSGPRsForWavesPerEU: 45
; NumVGPRsForWavesPerEU: 24
; AccumOffset: 24
; Occupancy: 8
; WaveLimiterHint : 0
; COMPUTE_PGM_RSRC2:SCRATCH_EN: 0
; COMPUTE_PGM_RSRC2:USER_SGPR: 2
; COMPUTE_PGM_RSRC2:TRAP_HANDLER: 0
; COMPUTE_PGM_RSRC2:TGID_X_EN: 1
; COMPUTE_PGM_RSRC2:TGID_Y_EN: 0
; COMPUTE_PGM_RSRC2:TGID_Z_EN: 0
; COMPUTE_PGM_RSRC2:TIDIG_COMP_CNT: 0
; COMPUTE_PGM_RSRC3_GFX90A:ACCUM_OFFSET: 5
; COMPUTE_PGM_RSRC3_GFX90A:TG_SPLIT: 0
	.section	.text._ZN5aiter23act_and_mul_bias_kernelIttlfTnPFfRKT2_EXadL_ZNS_11silu_kernelIfEEfRKT_EELi2EEEvPT0_PS8_PKT1_PS2_il,"axG",@progbits,_ZN5aiter23act_and_mul_bias_kernelIttlfTnPFfRKT2_EXadL_ZNS_11silu_kernelIfEEfRKT_EELi2EEEvPT0_PS8_PKT1_PS2_il,comdat
	.protected	_ZN5aiter23act_and_mul_bias_kernelIttlfTnPFfRKT2_EXadL_ZNS_11silu_kernelIfEEfRKT_EELi2EEEvPT0_PS8_PKT1_PS2_il ; -- Begin function _ZN5aiter23act_and_mul_bias_kernelIttlfTnPFfRKT2_EXadL_ZNS_11silu_kernelIfEEfRKT_EELi2EEEvPT0_PS8_PKT1_PS2_il
	.globl	_ZN5aiter23act_and_mul_bias_kernelIttlfTnPFfRKT2_EXadL_ZNS_11silu_kernelIfEEfRKT_EELi2EEEvPT0_PS8_PKT1_PS2_il
	.p2align	8
	.type	_ZN5aiter23act_and_mul_bias_kernelIttlfTnPFfRKT2_EXadL_ZNS_11silu_kernelIfEEfRKT_EELi2EEEvPT0_PS8_PKT1_PS2_il,@function
_ZN5aiter23act_and_mul_bias_kernelIttlfTnPFfRKT2_EXadL_ZNS_11silu_kernelIfEEfRKT_EELi2EEEvPT0_PS8_PKT1_PS2_il: ; @_ZN5aiter23act_and_mul_bias_kernelIttlfTnPFfRKT2_EXadL_ZNS_11silu_kernelIfEEfRKT_EELi2EEEvPT0_PS8_PKT1_PS2_il
; %bb.0:
	s_load_dword s24, s[0:1], 0x20
	s_load_dwordx2 s[4:5], s[0:1], 0x0
	s_load_dwordx2 s[6:7], s[0:1], 0x10
	;; [unrolled: 1-line block ×3, first 2 shown]
	s_mov_b32 s3, 0
	s_waitcnt lgkmcnt(0)
	s_ashr_i32 s25, s24, 31
	s_lshl_b64 s[8:9], s[2:3], 3
	s_add_u32 s6, s6, s8
	s_addc_u32 s7, s7, s9
	s_add_i32 s3, s24, 1
	s_load_dwordx2 s[8:9], s[6:7], 0x0
	s_lshr_b32 s6, s3, 31
	s_add_i32 s3, s3, s6
	s_lshl_b32 s3, s3, 1
	s_and_b32 s6, s3, -4
	s_mul_hi_u32 s3, s24, s2
	s_mul_i32 s7, s25, s2
	s_add_i32 s11, s3, s7
	s_mul_i32 s10, s24, s2
	s_lshl_b64 s[10:11], s[10:11], 1
	v_mov_b64_e32 v[2:3], s[12:13]
	s_add_u32 s4, s4, s10
	s_waitcnt lgkmcnt(0)
	v_cmp_gt_i64_e64 s[14:15], s[8:9], -1
	v_cmp_lt_i64_e32 vcc, s[8:9], v[2:3]
	s_addc_u32 s3, s5, s11
	s_and_b64 s[12:13], s[14:15], vcc
	s_and_b32 s5, s3, 0xffff
	s_mov_b64 s[10:11], -1
	s_and_b64 vcc, exec, s[12:13]
	v_lshlrev_b32_e32 v2, 1, v0
	s_cbranch_vccnz .LBB215_5
; %bb.1:
	v_cmp_gt_i32_e32 vcc, s24, v2
	s_and_saveexec_b64 s[10:11], vcc
	s_cbranch_execz .LBB215_4
; %bb.2:
	s_load_dword s3, s[0:1], 0x3c
	v_mov_b32_e32 v3, 0
	s_mov_b32 s13, 0
	v_lshlrev_b32_e32 v4, 2, v0
	s_mov_b64 s[14:15], 0
	s_waitcnt lgkmcnt(0)
	s_and_b32 s3, s3, 0xffff
	s_lshl_b32 s12, s3, 1
	s_lshl_b32 s3, s3, 2
	s_mov_b32 s7, 0x20000
	v_mov_b64_e32 v[0:1], v[2:3]
.LBB215_3:                              ; =>This Inner Loop Header: Depth=1
	v_lshl_add_u64 v[0:1], s[12:13], 0, v[0:1]
	v_cmp_le_i64_e32 vcc, s[24:25], v[0:1]
	buffer_store_dword v3, v4, s[4:7], 0 offen
	s_or_b64 s[14:15], vcc, s[14:15]
	v_add_u32_e32 v4, s3, v4
	s_andn2_b64 exec, exec, s[14:15]
	s_cbranch_execnz .LBB215_3
.LBB215_4:
	s_or_b64 exec, exec, s[10:11]
	s_mov_b64 s[10:11], 0
.LBB215_5:
	s_andn2_b64 vcc, exec, s[10:11]
	s_cbranch_vccnz .LBB215_9
; %bb.6:
	v_cmp_gt_i32_e32 vcc, s24, v2
	s_and_saveexec_b64 s[10:11], vcc
	s_cbranch_execz .LBB215_9
; %bb.7:
	s_load_dwordx2 s[14:15], s[0:1], 0x8
	s_load_dwordx2 s[10:11], s[0:1], 0x18
	s_mul_i32 s3, s24, s9
	s_mul_hi_u32 s7, s24, s8
	s_add_i32 s3, s7, s3
	s_mul_i32 s7, s25, s8
	s_add_i32 s9, s3, s7
	s_mul_i32 s8, s24, s8
	s_lshl_b64 s[8:9], s[8:9], 3
	s_waitcnt lgkmcnt(0)
	s_add_u32 s8, s10, s8
	s_addc_u32 s3, s11, s9
	s_lshl_b64 s[10:11], s[24:25], 2
	s_add_u32 s12, s8, s10
	s_addc_u32 s13, s3, s11
	s_and_b32 s9, s3, 0xffff
	s_mul_i32 s3, s2, s25
	s_mul_hi_u32 s16, s2, s24
	s_add_i32 s3, s16, s3
	s_mul_i32 s2, s2, s24
	s_lshl_b32 s10, s24, 2
	s_and_b32 s13, s13, 0xffff
	s_lshl_b64 s[2:3], s[2:3], 2
	s_add_u32 s16, s14, s2
	s_addc_u32 s14, s15, s3
	s_lshl_b64 s[2:3], s[24:25], 1
	s_add_u32 s20, s16, s2
	s_addc_u32 s2, s14, s3
	s_and_b32 s17, s14, 0xffff
	s_and_b32 s21, s2, 0xffff
	s_mov_b32 s7, 0x20000
	s_add_u32 s2, s0, 48
	s_mov_b32 s11, s7
	v_mov_b32_e32 v3, 0
	s_addc_u32 s3, s1, 0
	s_mov_b64 s[26:27], 0
	s_mov_b32 s29, 0
	s_mov_b32 s30, 0xbfb8aa3b
	;; [unrolled: 1-line block ×4, first 2 shown]
	v_mov_b32_e32 v0, 0x7f800000
	s_mov_b32 s34, 0x7060302
	s_mov_b32 s18, s6
	;; [unrolled: 1-line block ×5, first 2 shown]
.LBB215_8:                              ; =>This Inner Loop Header: Depth=1
	v_lshlrev_b32_e32 v8, 2, v2
	v_lshlrev_b32_e32 v1, 1, v2
	s_mov_b32 s14, s10
	s_mov_b32 s15, s11
	buffer_load_dwordx2 v[4:5], v8, s[8:11], 0 offen
	buffer_load_dword v10, v1, s[16:19], 0 offen
	buffer_load_dword v12, v1, s[20:23], 0 offen
	buffer_load_dwordx2 v[6:7], v8, s[12:15], 0 offen
	s_waitcnt vmcnt(2)
	v_and_b32_e32 v9, 0xffff0000, v10
	v_lshlrev_b32_e32 v8, 16, v10
	v_pk_add_f32 v[4:5], v[4:5], v[8:9]
	s_waitcnt vmcnt(1)
	v_and_b32_e32 v11, 0xffff0000, v12
	v_mul_f32_e32 v8, 0xbfb8aa3b, v5
	v_mul_f32_e32 v9, 0xbfb8aa3b, v4
	v_fma_f32 v10, v5, s30, -v8
	v_rndne_f32_e32 v13, v8
	v_fma_f32 v14, v4, s30, -v9
	v_rndne_f32_e32 v15, v9
	v_fmac_f32_e32 v10, 0xb2a5705f, v5
	v_sub_f32_e32 v8, v8, v13
	v_fmac_f32_e32 v14, 0xb2a5705f, v4
	v_sub_f32_e32 v9, v9, v15
	v_add_f32_e32 v8, v8, v10
	v_add_f32_e32 v9, v9, v14
	v_cvt_i32_f32_e32 v13, v13
	v_cvt_i32_f32_e32 v15, v15
	v_exp_f32_e32 v8, v8
	v_exp_f32_e32 v9, v9
	v_cmp_nlt_f32_e32 vcc, s31, v4
	v_cmp_nlt_f32_e64 s[0:1], s31, v5
	v_ldexp_f32 v8, v8, v13
	v_ldexp_f32 v9, v9, v15
	v_cndmask_b32_e64 v8, 0, v8, s[0:1]
	v_cndmask_b32_e32 v9, 0, v9, vcc
	v_cmp_ngt_f32_e32 vcc, s33, v4
	v_cmp_ngt_f32_e64 s[0:1], s33, v5
	s_nop 0
	v_cndmask_b32_e32 v9, v0, v9, vcc
	v_cndmask_b32_e64 v8, v0, v8, s[0:1]
	v_add_f32_e32 v8, 1.0, v8
	v_add_f32_e32 v10, 1.0, v9
	v_rcp_f32_e32 v9, v8
	v_rcp_f32_e32 v8, v10
	v_lshlrev_b32_e32 v10, 16, v12
	s_waitcnt vmcnt(0)
	v_pk_add_f32 v[6:7], v[6:7], v[10:11]
	v_pk_mul_f32 v[4:5], v[4:5], v[8:9]
	s_nop 0
	;;#ASMSTART
	v_pk_mul_f32 v[4:5], v[4:5], v[6:7]
	;;#ASMEND
	s_load_dword s0, s[2:3], 0xc
	v_perm_b32 v4, v5, v4, s34
	buffer_store_dword v4, v1, s[4:7], 0 offen
	s_waitcnt lgkmcnt(0)
	s_and_b32 s0, s0, 0xffff
	s_lshl_b32 s28, s0, 1
	v_lshl_add_u64 v[2:3], s[28:29], 0, v[2:3]
	v_cmp_le_i64_e32 vcc, s[24:25], v[2:3]
	s_or_b64 s[26:27], vcc, s[26:27]
	s_andn2_b64 exec, exec, s[26:27]
	s_cbranch_execnz .LBB215_8
.LBB215_9:
	s_endpgm
	.section	.rodata,"a",@progbits
	.p2align	6, 0x0
	.amdhsa_kernel _ZN5aiter23act_and_mul_bias_kernelIttlfTnPFfRKT2_EXadL_ZNS_11silu_kernelIfEEfRKT_EELi2EEEvPT0_PS8_PKT1_PS2_il
		.amdhsa_group_segment_fixed_size 0
		.amdhsa_private_segment_fixed_size 0
		.amdhsa_kernarg_size 304
		.amdhsa_user_sgpr_count 2
		.amdhsa_user_sgpr_dispatch_ptr 0
		.amdhsa_user_sgpr_queue_ptr 0
		.amdhsa_user_sgpr_kernarg_segment_ptr 1
		.amdhsa_user_sgpr_dispatch_id 0
		.amdhsa_user_sgpr_kernarg_preload_length 0
		.amdhsa_user_sgpr_kernarg_preload_offset 0
		.amdhsa_user_sgpr_private_segment_size 0
		.amdhsa_uses_dynamic_stack 0
		.amdhsa_enable_private_segment 0
		.amdhsa_system_sgpr_workgroup_id_x 1
		.amdhsa_system_sgpr_workgroup_id_y 0
		.amdhsa_system_sgpr_workgroup_id_z 0
		.amdhsa_system_sgpr_workgroup_info 0
		.amdhsa_system_vgpr_workitem_id 0
		.amdhsa_next_free_vgpr 16
		.amdhsa_next_free_sgpr 35
		.amdhsa_accum_offset 16
		.amdhsa_reserve_vcc 1
		.amdhsa_float_round_mode_32 0
		.amdhsa_float_round_mode_16_64 0
		.amdhsa_float_denorm_mode_32 3
		.amdhsa_float_denorm_mode_16_64 3
		.amdhsa_dx10_clamp 1
		.amdhsa_ieee_mode 1
		.amdhsa_fp16_overflow 0
		.amdhsa_tg_split 0
		.amdhsa_exception_fp_ieee_invalid_op 0
		.amdhsa_exception_fp_denorm_src 0
		.amdhsa_exception_fp_ieee_div_zero 0
		.amdhsa_exception_fp_ieee_overflow 0
		.amdhsa_exception_fp_ieee_underflow 0
		.amdhsa_exception_fp_ieee_inexact 0
		.amdhsa_exception_int_div_zero 0
	.end_amdhsa_kernel
	.section	.text._ZN5aiter23act_and_mul_bias_kernelIttlfTnPFfRKT2_EXadL_ZNS_11silu_kernelIfEEfRKT_EELi2EEEvPT0_PS8_PKT1_PS2_il,"axG",@progbits,_ZN5aiter23act_and_mul_bias_kernelIttlfTnPFfRKT2_EXadL_ZNS_11silu_kernelIfEEfRKT_EELi2EEEvPT0_PS8_PKT1_PS2_il,comdat
.Lfunc_end215:
	.size	_ZN5aiter23act_and_mul_bias_kernelIttlfTnPFfRKT2_EXadL_ZNS_11silu_kernelIfEEfRKT_EELi2EEEvPT0_PS8_PKT1_PS2_il, .Lfunc_end215-_ZN5aiter23act_and_mul_bias_kernelIttlfTnPFfRKT2_EXadL_ZNS_11silu_kernelIfEEfRKT_EELi2EEEvPT0_PS8_PKT1_PS2_il
                                        ; -- End function
	.section	.AMDGPU.csdata,"",@progbits
; Kernel info:
; codeLenInByte = 884
; NumSgprs: 41
; NumVgprs: 16
; NumAgprs: 0
; TotalNumVgprs: 16
; ScratchSize: 0
; MemoryBound: 0
; FloatMode: 240
; IeeeMode: 1
; LDSByteSize: 0 bytes/workgroup (compile time only)
; SGPRBlocks: 5
; VGPRBlocks: 1
; NumSGPRsForWavesPerEU: 41
; NumVGPRsForWavesPerEU: 16
; AccumOffset: 16
; Occupancy: 8
; WaveLimiterHint : 0
; COMPUTE_PGM_RSRC2:SCRATCH_EN: 0
; COMPUTE_PGM_RSRC2:USER_SGPR: 2
; COMPUTE_PGM_RSRC2:TRAP_HANDLER: 0
; COMPUTE_PGM_RSRC2:TGID_X_EN: 1
; COMPUTE_PGM_RSRC2:TGID_Y_EN: 0
; COMPUTE_PGM_RSRC2:TGID_Z_EN: 0
; COMPUTE_PGM_RSRC2:TIDIG_COMP_CNT: 0
; COMPUTE_PGM_RSRC3_GFX90A:ACCUM_OFFSET: 3
; COMPUTE_PGM_RSRC3_GFX90A:TG_SPLIT: 0
	.section	.text._ZN5aiter23act_and_mul_bias_kernelIttlfTnPFfRKT2_EXadL_ZNS_11silu_kernelIfEEfRKT_EELi1EEEvPT0_PS8_PKT1_PS2_il,"axG",@progbits,_ZN5aiter23act_and_mul_bias_kernelIttlfTnPFfRKT2_EXadL_ZNS_11silu_kernelIfEEfRKT_EELi1EEEvPT0_PS8_PKT1_PS2_il,comdat
	.protected	_ZN5aiter23act_and_mul_bias_kernelIttlfTnPFfRKT2_EXadL_ZNS_11silu_kernelIfEEfRKT_EELi1EEEvPT0_PS8_PKT1_PS2_il ; -- Begin function _ZN5aiter23act_and_mul_bias_kernelIttlfTnPFfRKT2_EXadL_ZNS_11silu_kernelIfEEfRKT_EELi1EEEvPT0_PS8_PKT1_PS2_il
	.globl	_ZN5aiter23act_and_mul_bias_kernelIttlfTnPFfRKT2_EXadL_ZNS_11silu_kernelIfEEfRKT_EELi1EEEvPT0_PS8_PKT1_PS2_il
	.p2align	8
	.type	_ZN5aiter23act_and_mul_bias_kernelIttlfTnPFfRKT2_EXadL_ZNS_11silu_kernelIfEEfRKT_EELi1EEEvPT0_PS8_PKT1_PS2_il,@function
_ZN5aiter23act_and_mul_bias_kernelIttlfTnPFfRKT2_EXadL_ZNS_11silu_kernelIfEEfRKT_EELi1EEEvPT0_PS8_PKT1_PS2_il: ; @_ZN5aiter23act_and_mul_bias_kernelIttlfTnPFfRKT2_EXadL_ZNS_11silu_kernelIfEEfRKT_EELi1EEEvPT0_PS8_PKT1_PS2_il
; %bb.0:
	s_load_dword s20, s[0:1], 0x20
	s_load_dwordx2 s[4:5], s[0:1], 0x0
	s_load_dwordx2 s[6:7], s[0:1], 0x10
	;; [unrolled: 1-line block ×3, first 2 shown]
	s_mov_b32 s3, 0
	s_waitcnt lgkmcnt(0)
	s_ashr_i32 s21, s20, 31
	s_lshl_b64 s[8:9], s[2:3], 3
	s_add_u32 s6, s6, s8
	s_addc_u32 s7, s7, s9
	s_add_i32 s3, s20, 1
	s_lshr_b32 s8, s3, 31
	s_add_i32 s3, s3, s8
	s_load_dwordx2 s[6:7], s[6:7], 0x0
	s_lshl_b32 s3, s3, 1
	s_and_b32 s10, s3, -4
	s_mul_hi_u32 s3, s20, s2
	s_mul_i32 s8, s21, s2
	s_add_i32 s9, s3, s8
	s_mul_i32 s8, s20, s2
	s_lshl_b64 s[8:9], s[8:9], 1
	s_add_u32 s8, s4, s8
	v_mov_b64_e32 v[2:3], s[14:15]
	s_addc_u32 s3, s5, s9
	s_waitcnt lgkmcnt(0)
	v_cmp_gt_i64_e64 s[4:5], s[6:7], -1
	v_cmp_lt_i64_e32 vcc, s[6:7], v[2:3]
	s_and_b64 s[4:5], s[4:5], vcc
	s_and_b32 s9, s3, 0xffff
	s_mov_b64 s[12:13], -1
	s_and_b64 vcc, exec, s[4:5]
	v_cmp_gt_i32_e64 s[4:5], s20, v0
	s_cbranch_vccnz .LBB216_5
; %bb.1:
	s_and_saveexec_b64 s[12:13], s[4:5]
	s_cbranch_execz .LBB216_4
; %bb.2:
	s_load_dword s3, s[0:1], 0x3c
	v_mov_b32_e32 v1, 0
	s_mov_b32 s5, 0
	v_lshlrev_b32_e32 v4, 1, v0
	s_mov_b64 s[14:15], 0
	s_waitcnt lgkmcnt(0)
	s_and_b32 s4, s3, 0xffff
	s_lshl_b32 s3, s4, 1
	s_mov_b32 s11, 0x20000
	v_mov_b64_e32 v[2:3], v[0:1]
.LBB216_3:                              ; =>This Inner Loop Header: Depth=1
	v_lshl_add_u64 v[2:3], v[2:3], 0, s[4:5]
	v_cmp_le_i64_e32 vcc, s[20:21], v[2:3]
	buffer_store_short v1, v4, s[8:11], 0 offen
	s_or_b64 s[14:15], vcc, s[14:15]
	v_add_u32_e32 v4, s3, v4
	s_andn2_b64 exec, exec, s[14:15]
	s_cbranch_execnz .LBB216_3
.LBB216_4:
	s_or_b64 exec, exec, s[12:13]
	s_mov_b64 s[12:13], 0
.LBB216_5:
	s_andn2_b64 vcc, exec, s[12:13]
	s_cbranch_vccnz .LBB216_9
; %bb.6:
	v_cmp_gt_i32_e32 vcc, s20, v0
	s_and_saveexec_b64 s[4:5], vcc
	s_cbranch_execz .LBB216_9
; %bb.7:
	s_mul_i32 s3, s20, s7
	s_mul_hi_u32 s4, s20, s6
	s_add_i32 s3, s4, s3
	s_load_dwordx2 s[12:13], s[0:1], 0x8
	s_load_dwordx2 s[4:5], s[0:1], 0x18
	s_mul_i32 s7, s21, s6
	s_add_i32 s7, s3, s7
	s_mul_i32 s6, s20, s6
	s_lshl_b64 s[6:7], s[6:7], 3
	s_waitcnt lgkmcnt(0)
	s_add_u32 s4, s4, s6
	s_load_dword s14, s[0:1], 0x3c
	s_addc_u32 s3, s5, s7
	s_lshl_b64 s[0:1], s[20:21], 2
	s_add_u32 s0, s4, s0
	s_addc_u32 s1, s3, s1
	s_and_b32 s5, s3, 0xffff
	s_mul_i32 s3, s2, s21
	s_mul_hi_u32 s15, s2, s20
	s_add_i32 s3, s15, s3
	s_mul_i32 s2, s2, s20
	s_lshl_b32 s6, s20, 2
	s_and_b32 s1, s1, 0xffff
	s_lshl_b64 s[2:3], s[2:3], 2
	s_add_u32 s12, s12, s2
	s_addc_u32 s13, s13, s3
	s_lshl_b64 s[2:3], s[20:21], 1
	s_add_u32 s16, s12, s2
	s_mov_b32 s11, 0x20000
	s_addc_u32 s2, s13, s3
	s_waitcnt lgkmcnt(0)
	s_and_b32 s22, s14, 0xffff
	s_mov_b32 s7, s11
	s_and_b32 s13, s13, 0xffff
	s_and_b32 s17, s2, 0xffff
	s_mov_b32 s23, 0
	v_mov_b32_e32 v1, 0
	v_lshlrev_b32_e32 v2, 2, v0
	s_lshl_b32 s26, s22, 2
	v_lshlrev_b32_e32 v3, 1, v0
	s_lshl_b32 s27, s22, 1
	s_mov_b64 s[24:25], 0
	s_mov_b32 s28, 0xbfb8aa3b
	s_mov_b32 s29, 0x42ce8ed0
	s_mov_b32 s30, 0xc2b17218
	v_mov_b32_e32 v4, 0x7f800000
	s_mov_b32 s14, s10
	s_mov_b32 s15, s11
	s_mov_b32 s18, s10
	s_mov_b32 s19, s11
.LBB216_8:                              ; =>This Inner Loop Header: Depth=1
	buffer_load_ushort v5, v3, s[12:15], 0 offen
	buffer_load_ushort v8, v3, s[16:19], 0 offen
	s_mov_b32 s2, s6
	s_mov_b32 s3, s7
	buffer_load_dword v7, v2, s[4:7], 0 offen
	buffer_load_dword v6, v2, s[0:3], 0 offen
	v_lshl_add_u64 v[0:1], v[0:1], 0, s[22:23]
	v_add_u32_e32 v2, s26, v2
	s_waitcnt vmcnt(3)
	v_lshlrev_b32_e32 v9, 16, v5
	s_waitcnt vmcnt(2)
	v_lshlrev_b32_e32 v8, 16, v8
	s_waitcnt vmcnt(0)
	v_pk_add_f32 v[6:7], v[8:9], v[6:7]
	s_nop 0
	v_mul_f32_e32 v5, 0xbfb8aa3b, v7
	v_fma_f32 v8, v7, s28, -v5
	v_rndne_f32_e32 v9, v5
	v_fmac_f32_e32 v8, 0xb2a5705f, v7
	v_sub_f32_e32 v5, v5, v9
	v_add_f32_e32 v5, v5, v8
	v_cvt_i32_f32_e32 v9, v9
	v_exp_f32_e32 v5, v5
	v_cmp_nlt_f32_e32 vcc, s29, v7
	v_ldexp_f32 v5, v5, v9
	s_nop 0
	v_cndmask_b32_e32 v5, 0, v5, vcc
	v_cmp_ngt_f32_e32 vcc, s30, v7
	s_nop 1
	v_cndmask_b32_e32 v5, v4, v5, vcc
	v_add_f32_e32 v5, 1.0, v5
	v_rcp_f32_e32 v5, v5
	v_cmp_le_i64_e32 vcc, s[20:21], v[0:1]
	s_or_b64 s[24:25], vcc, s[24:25]
	v_mul_f32_e32 v5, v7, v5
	v_mul_f32_e32 v5, v6, v5
	v_lshrrev_b32_e32 v5, 16, v5
	buffer_store_short v5, v3, s[8:11], 0 offen
	v_add_u32_e32 v3, s27, v3
	s_andn2_b64 exec, exec, s[24:25]
	s_cbranch_execnz .LBB216_8
.LBB216_9:
	s_endpgm
	.section	.rodata,"a",@progbits
	.p2align	6, 0x0
	.amdhsa_kernel _ZN5aiter23act_and_mul_bias_kernelIttlfTnPFfRKT2_EXadL_ZNS_11silu_kernelIfEEfRKT_EELi1EEEvPT0_PS8_PKT1_PS2_il
		.amdhsa_group_segment_fixed_size 0
		.amdhsa_private_segment_fixed_size 0
		.amdhsa_kernarg_size 304
		.amdhsa_user_sgpr_count 2
		.amdhsa_user_sgpr_dispatch_ptr 0
		.amdhsa_user_sgpr_queue_ptr 0
		.amdhsa_user_sgpr_kernarg_segment_ptr 1
		.amdhsa_user_sgpr_dispatch_id 0
		.amdhsa_user_sgpr_kernarg_preload_length 0
		.amdhsa_user_sgpr_kernarg_preload_offset 0
		.amdhsa_user_sgpr_private_segment_size 0
		.amdhsa_uses_dynamic_stack 0
		.amdhsa_enable_private_segment 0
		.amdhsa_system_sgpr_workgroup_id_x 1
		.amdhsa_system_sgpr_workgroup_id_y 0
		.amdhsa_system_sgpr_workgroup_id_z 0
		.amdhsa_system_sgpr_workgroup_info 0
		.amdhsa_system_vgpr_workitem_id 0
		.amdhsa_next_free_vgpr 10
		.amdhsa_next_free_sgpr 31
		.amdhsa_accum_offset 12
		.amdhsa_reserve_vcc 1
		.amdhsa_float_round_mode_32 0
		.amdhsa_float_round_mode_16_64 0
		.amdhsa_float_denorm_mode_32 3
		.amdhsa_float_denorm_mode_16_64 3
		.amdhsa_dx10_clamp 1
		.amdhsa_ieee_mode 1
		.amdhsa_fp16_overflow 0
		.amdhsa_tg_split 0
		.amdhsa_exception_fp_ieee_invalid_op 0
		.amdhsa_exception_fp_denorm_src 0
		.amdhsa_exception_fp_ieee_div_zero 0
		.amdhsa_exception_fp_ieee_overflow 0
		.amdhsa_exception_fp_ieee_underflow 0
		.amdhsa_exception_fp_ieee_inexact 0
		.amdhsa_exception_int_div_zero 0
	.end_amdhsa_kernel
	.section	.text._ZN5aiter23act_and_mul_bias_kernelIttlfTnPFfRKT2_EXadL_ZNS_11silu_kernelIfEEfRKT_EELi1EEEvPT0_PS8_PKT1_PS2_il,"axG",@progbits,_ZN5aiter23act_and_mul_bias_kernelIttlfTnPFfRKT2_EXadL_ZNS_11silu_kernelIfEEfRKT_EELi1EEEvPT0_PS8_PKT1_PS2_il,comdat
.Lfunc_end216:
	.size	_ZN5aiter23act_and_mul_bias_kernelIttlfTnPFfRKT2_EXadL_ZNS_11silu_kernelIfEEfRKT_EELi1EEEvPT0_PS8_PKT1_PS2_il, .Lfunc_end216-_ZN5aiter23act_and_mul_bias_kernelIttlfTnPFfRKT2_EXadL_ZNS_11silu_kernelIfEEfRKT_EELi1EEEvPT0_PS8_PKT1_PS2_il
                                        ; -- End function
	.section	.AMDGPU.csdata,"",@progbits
; Kernel info:
; codeLenInByte = 752
; NumSgprs: 37
; NumVgprs: 10
; NumAgprs: 0
; TotalNumVgprs: 10
; ScratchSize: 0
; MemoryBound: 0
; FloatMode: 240
; IeeeMode: 1
; LDSByteSize: 0 bytes/workgroup (compile time only)
; SGPRBlocks: 4
; VGPRBlocks: 1
; NumSGPRsForWavesPerEU: 37
; NumVGPRsForWavesPerEU: 10
; AccumOffset: 12
; Occupancy: 8
; WaveLimiterHint : 0
; COMPUTE_PGM_RSRC2:SCRATCH_EN: 0
; COMPUTE_PGM_RSRC2:USER_SGPR: 2
; COMPUTE_PGM_RSRC2:TRAP_HANDLER: 0
; COMPUTE_PGM_RSRC2:TGID_X_EN: 1
; COMPUTE_PGM_RSRC2:TGID_Y_EN: 0
; COMPUTE_PGM_RSRC2:TGID_Z_EN: 0
; COMPUTE_PGM_RSRC2:TIDIG_COMP_CNT: 0
; COMPUTE_PGM_RSRC3_GFX90A:ACCUM_OFFSET: 2
; COMPUTE_PGM_RSRC3_GFX90A:TG_SPLIT: 0
	.section	.text._ZN5aiter30swiglu_act_and_mul_bias_kernelIfthfLi16EEEvPT0_PKT_PKT1_PKT2_il,"axG",@progbits,_ZN5aiter30swiglu_act_and_mul_bias_kernelIfthfLi16EEEvPT0_PKT_PKT1_PKT2_il,comdat
	.protected	_ZN5aiter30swiglu_act_and_mul_bias_kernelIfthfLi16EEEvPT0_PKT_PKT1_PKT2_il ; -- Begin function _ZN5aiter30swiglu_act_and_mul_bias_kernelIfthfLi16EEEvPT0_PKT_PKT1_PKT2_il
	.globl	_ZN5aiter30swiglu_act_and_mul_bias_kernelIfthfLi16EEEvPT0_PKT_PKT1_PKT2_il
	.p2align	8
	.type	_ZN5aiter30swiglu_act_and_mul_bias_kernelIfthfLi16EEEvPT0_PKT_PKT1_PKT2_il,@function
_ZN5aiter30swiglu_act_and_mul_bias_kernelIfthfLi16EEEvPT0_PKT_PKT1_PKT2_il: ; @_ZN5aiter30swiglu_act_and_mul_bias_kernelIfthfLi16EEEvPT0_PKT_PKT1_PKT2_il
; %bb.0:
	s_load_dwordx2 s[4:5], s[0:1], 0x10
	s_load_dword s58, s[0:1], 0x20
	s_load_dwordx2 s[8:9], s[0:1], 0x28
	v_mov_b32_e32 v1, s2
	s_load_dwordx2 s[10:11], s[0:1], 0x0
	s_waitcnt lgkmcnt(0)
	global_load_ubyte v1, v1, s[4:5]
	s_ashr_i32 s59, s58, 31
	s_mul_hi_u32 s3, s58, s2
	s_mul_i32 s4, s59, s2
	s_mul_i32 s12, s58, s2
	s_add_i32 s13, s3, s4
	v_mov_b64_e32 v[2:3], s[8:9]
	s_lshl_b64 s[8:9], s[12:13], 1
	s_mov_b32 s5, 0
	s_mov_b64 s[6:7], -1
	v_lshlrev_b32_e32 v44, 4, v0
	s_waitcnt vmcnt(0)
	v_readfirstlane_b32 s3, v1
	s_and_b32 s4, s3, 0xffff
	s_add_u32 s60, s10, s8
	v_cmp_lt_i64_e32 vcc, s[4:5], v[2:3]
	s_addc_u32 s3, s11, s9
	s_add_i32 s5, s58, 1
	s_lshr_b32 s8, s5, 31
	s_add_i32 s5, s5, s8
	s_and_b32 s61, s3, 0xffff
	s_lshl_b32 s3, s5, 1
	s_and_b32 s62, s3, -4
	s_cbranch_vccnz .LBB217_5
; %bb.1:
	v_cmp_gt_i32_e32 vcc, s58, v44
	s_and_saveexec_b64 s[6:7], vcc
	s_cbranch_execz .LBB217_4
; %bb.2:
	s_load_dword s3, s[0:1], 0x3c
	s_mov_b32 s9, 0
	s_mov_b32 s12, s9
	;; [unrolled: 1-line block ×3, first 2 shown]
	v_mov_b32_e32 v45, 0
	s_waitcnt lgkmcnt(0)
	s_and_b32 s3, s3, 0xffff
	s_mov_b32 s14, s9
	s_mov_b32 s15, s9
	v_mov_b64_e32 v[2:3], s[12:13]
	v_lshlrev_b32_e32 v1, 5, v0
	s_lshl_b32 s8, s3, 4
	s_lshl_b32 s3, s3, 5
	s_mov_b64 s[10:11], 0
	s_mov_b32 s63, 0x20000
	v_mov_b64_e32 v[4:5], s[14:15]
	v_mov_b64_e32 v[6:7], v[44:45]
.LBB217_3:                              ; =>This Inner Loop Header: Depth=1
	v_lshl_add_u64 v[6:7], s[8:9], 0, v[6:7]
	v_cmp_le_i64_e32 vcc, s[58:59], v[6:7]
	buffer_store_dwordx4 v[2:5], v1, s[60:63], 0 offen
	buffer_store_dwordx4 v[2:5], v1, s[60:63], 16 offen
	s_or_b64 s[10:11], vcc, s[10:11]
	v_add_u32_e32 v1, s3, v1
	s_andn2_b64 exec, exec, s[10:11]
	s_cbranch_execnz .LBB217_3
.LBB217_4:
	s_or_b64 exec, exec, s[6:7]
	s_mov_b64 s[6:7], 0
.LBB217_5:
	s_andn2_b64 vcc, exec, s[6:7]
	s_cbranch_vccnz .LBB217_9
; %bb.6:
	v_cmp_gt_i32_e32 vcc, s58, v44
	s_and_saveexec_b64 s[6:7], vcc
	s_cbranch_execz .LBB217_9
; %bb.7:
	s_load_dwordx2 s[6:7], s[0:1], 0x8
	s_load_dwordx2 s[8:9], s[0:1], 0x18
	s_mul_hi_i32 s5, s58, s4
	s_mul_i32 s4, s58, s4
	s_lshl_b32 s66, s58, 2
	s_lshl_b64 s[4:5], s[4:5], 3
	s_waitcnt lgkmcnt(0)
	s_add_u32 s64, s8, s4
	s_load_dword s10, s[0:1], 0x3c
	s_addc_u32 s3, s9, s5
	s_lshl_b64 s[0:1], s[58:59], 2
	s_add_u32 s68, s64, s0
	s_addc_u32 s4, s3, s1
	s_and_b32 s65, s3, 0xffff
	s_and_b32 s69, s4, 0xffff
	s_mul_i32 s3, s2, s59
	s_mul_hi_u32 s4, s2, s58
	s_add_i32 s3, s4, s3
	s_mul_i32 s2, s2, s58
	s_lshl_b64 s[2:3], s[2:3], 3
	s_add_u32 s72, s6, s2
	s_addc_u32 s2, s7, s3
	s_add_u32 s76, s72, s0
	s_addc_u32 s0, s2, s1
	s_mov_b32 s63, 0x20000
	s_and_b32 s77, s0, 0xffff
	s_waitcnt lgkmcnt(0)
	s_and_b32 s0, s10, 0xffff
	s_mov_b32 s67, s63
	s_and_b32 s73, s2, 0xffff
	s_mov_b32 s81, 0
	v_mov_b32_e32 v45, 0
	s_lshl_b32 s80, s0, 4
	v_lshlrev_b32_e32 v54, 5, v0
	s_lshl_b32 s33, s0, 5
	v_lshlrev_b32_e32 v55, 6, v0
	s_lshl_b32 s84, s0, 6
	s_mov_b64 s[82:83], 0
	s_mov_b32 s74, s66
	s_mov_b32 s75, s63
	;; [unrolled: 1-line block ×5, first 2 shown]
	v_mov_b32_e32 v56, 0x7f800000
	s_mov_b32 s88, 0xc0e00000
	v_mov_b32_e32 v57, 0x40e00000
	s_mov_b32 s89, 0x7060302
	s_mov_b32 s78, s66
	;; [unrolled: 1-line block ×3, first 2 shown]
.LBB217_8:                              ; =>This Inner Loop Header: Depth=1
	buffer_load_dwordx4 v[20:23], v55, s[72:75], 0 offen
	buffer_load_dwordx4 v[24:27], v55, s[64:67], 0 offen
	;; [unrolled: 1-line block ×12, first 2 shown]
	s_mov_b32 s70, s66
	s_mov_b32 s71, s67
	buffer_load_dwordx4 v[16:19], v55, s[68:71], 0 offen
	v_lshl_add_u64 v[44:45], s[80:81], 0, v[44:45]
	v_cmp_le_i64_e64 s[52:53], s[58:59], v[44:45]
	s_or_b64 s[82:83], s[52:53], s[82:83]
	s_waitcnt vmcnt(11)
	v_pk_add_f32 v[46:47], v[22:23], v[26:27]
	v_pk_add_f32 v[48:49], v[20:21], v[24:25]
	buffer_load_dwordx4 v[20:23], v55, s[68:71], 16 offen
	buffer_load_dwordx4 v[24:27], v55, s[68:71], 32 offen
	s_waitcnt vmcnt(9)
	v_pk_add_f32 v[42:43], v[38:39], v[42:43]
	v_pk_add_f32 v[40:41], v[36:37], v[40:41]
	buffer_load_dwordx4 v[36:39], v55, s[68:71], 48 offen
	v_pk_add_f32 v[50:51], v[60:61], v[64:65]
	s_waitcnt vmcnt(8)
	v_pk_add_f32 v[60:61], v[28:29], v[32:33]
	v_min_f32_e32 v28, 0x40e00000, v48
	v_min_f32_e32 v29, 0x40e00000, v49
	v_pk_add_f32 v[52:53], v[58:59], v[62:63]
	v_pk_add_f32 v[58:59], v[30:31], v[34:35]
	s_waitcnt vmcnt(3)
	v_pk_add_f32 v[8:9], v[8:9], v[16:17]
	v_min_f32_e32 v30, 0x40e00000, v46
	v_min_f32_e32 v31, 0x40e00000, v47
	;; [unrolled: 1-line block ×3, first 2 shown]
	v_pk_add_f32 v[10:11], v[10:11], v[18:19]
	v_min_f32_e32 v32, 0x40e00000, v52
	v_min_f32_e32 v33, 0x40e00000, v53
	;; [unrolled: 1-line block ×6, first 2 shown]
	v_mul_f32_e32 v50, 0xbfd9db23, v40
	v_min_f32_e32 v42, 0x40e00000, v42
	v_mul_f32_e32 v51, 0xbfd9db23, v41
	v_mul_f32_e32 v53, 0x3fb8aa3b, v50
	v_min_f32_e32 v46, 0x40e00000, v60
	v_mul_f32_e32 v52, 0xbfd9db23, v42
	v_mul_f32_e32 v60, 0x3fb8aa3b, v51
	v_min_f32_e32 v43, 0x40e00000, v43
	v_min_f32_e32 v47, 0x40e00000, v61
	v_cmp_ngt_f32_e64 s[24:25], s86, v50
	v_cmp_nlt_f32_e64 s[14:15], s87, v50
	v_mul_f32_e32 v61, 0x3fb8aa3b, v52
	v_cmp_ngt_f32_e64 s[26:27], s86, v51
	v_cmp_nlt_f32_e64 s[16:17], s87, v51
	v_fma_f32 v62, v52, s85, -v61
	v_cmp_ngt_f32_e64 s[28:29], s86, v52
	v_cmp_nlt_f32_e64 s[18:19], s87, v52
	v_fmac_f32_e32 v62, 0x32a5705f, v52
	v_min_f32_e32 v49, 0x40e00000, v59
	v_add_u32_e32 v55, s84, v55
	s_waitcnt vmcnt(2)
	v_pk_add_f32 v[12:13], v[12:13], v[20:21]
	s_waitcnt vmcnt(1)
	v_pk_add_f32 v[16:17], v[2:3], v[26:27]
	v_pk_add_f32 v[20:21], v[0:1], v[24:25]
	v_mul_f32_e32 v24, 0xbfd9db23, v28
	v_mul_f32_e32 v25, 0xbfd9db23, v29
	v_med3_f32 v2, v8, s88, v57
	v_med3_f32 v8, v16, s88, v57
	v_mul_f32_e32 v16, 0x3fb8aa3b, v24
	s_waitcnt vmcnt(0)
	v_pk_add_f32 v[18:19], v[6:7], v[38:39]
	v_mul_f32_e32 v26, 0xbfd9db23, v30
	v_med3_f32 v3, v9, s88, v57
	v_med3_f32 v9, v17, s88, v57
	v_mul_f32_e32 v17, 0x3fb8aa3b, v25
	v_fma_f32 v58, v24, s85, -v16
	v_mul_f32_e32 v27, 0xbfd9db23, v31
	v_med3_f32 v6, v12, s88, v57
	v_med3_f32 v12, v18, s88, v57
	v_cmp_ngt_f32_e64 s[42:43], s86, v24
	v_cmp_nlt_f32_e32 vcc, s87, v24
	v_mul_f32_e32 v18, 0x3fb8aa3b, v26
	v_fmac_f32_e32 v58, 0x32a5705f, v24
	v_fma_f32 v24, v25, s85, -v17
	v_pk_add_f32 v[14:15], v[14:15], v[22:23]
	v_pk_add_f32 v[22:23], v[4:5], v[36:37]
	v_mul_f32_e32 v36, 0xbfd9db23, v32
	v_med3_f32 v7, v13, s88, v57
	v_med3_f32 v13, v19, s88, v57
	v_cmp_ngt_f32_e64 s[44:45], s86, v25
	v_cmp_nlt_f32_e64 s[0:1], s87, v25
	v_mul_f32_e32 v19, 0x3fb8aa3b, v27
	v_fmac_f32_e32 v24, 0x32a5705f, v25
	v_fma_f32 v25, v26, s85, -v18
	v_mul_f32_e32 v37, 0xbfd9db23, v33
	v_med3_f32 v0, v10, s88, v57
	v_med3_f32 v10, v20, s88, v57
	v_cmp_ngt_f32_e64 s[46:47], s86, v26
	v_cmp_nlt_f32_e64 s[2:3], s87, v26
	v_mul_f32_e32 v20, 0x3fb8aa3b, v36
	v_fmac_f32_e32 v25, 0x32a5705f, v26
	v_fma_f32 v26, v27, s85, -v19
	;; [unrolled: 8-line block ×4, first 2 shown]
	v_med3_f32 v5, v15, s88, v57
	v_med3_f32 v15, v23, s88, v57
	v_cmp_ngt_f32_e64 s[40:41], s86, v37
	v_cmp_nlt_f32_e64 s[8:9], s87, v37
	v_mul_f32_e32 v23, 0x3fb8aa3b, v39
	v_fmac_f32_e32 v36, 0x32a5705f, v37
	v_fma_f32 v37, v38, s85, -v22
	v_rndne_f32_e32 v66, v16
	v_cmp_ngt_f32_e64 s[20:21], s86, v38
	v_cmp_nlt_f32_e64 s[10:11], s87, v38
	v_fmac_f32_e32 v37, 0x32a5705f, v38
	v_fma_f32 v38, v39, s85, -v23
	v_sub_f32_e32 v16, v16, v66
	v_rndne_f32_e32 v68, v17
	v_cmp_ngt_f32_e64 s[22:23], s86, v39
	v_cmp_nlt_f32_e64 s[12:13], s87, v39
	v_fmac_f32_e32 v38, 0x32a5705f, v39
	v_fma_f32 v39, v50, s85, -v53
	v_add_f32_e32 v67, v16, v58
	v_sub_f32_e32 v16, v17, v68
	v_rndne_f32_e32 v70, v18
	v_fmac_f32_e32 v39, 0x32a5705f, v50
	v_fma_f32 v50, v51, s85, -v60
	v_add_f32_e32 v69, v16, v24
	v_sub_f32_e32 v16, v18, v70
	v_rndne_f32_e32 v72, v19
	v_fmac_f32_e32 v50, 0x32a5705f, v51
	v_mul_f32_e32 v51, 0xbfd9db23, v43
	v_add_f32_e32 v71, v16, v25
	v_sub_f32_e32 v16, v19, v72
	v_rndne_f32_e32 v74, v20
	v_mul_f32_e32 v52, 0x3fb8aa3b, v51
	v_add_f32_e32 v73, v16, v26
	v_sub_f32_e32 v16, v20, v74
	v_rndne_f32_e32 v58, v21
	v_fma_f32 v63, v51, s85, -v52
	v_add_f32_e32 v75, v16, v27
	v_sub_f32_e32 v16, v21, v58
	v_cmp_ngt_f32_e64 s[36:37], s86, v51
	v_cmp_nlt_f32_e64 s[30:31], s87, v51
	v_fmac_f32_e32 v63, 0x32a5705f, v51
	v_mul_f32_e32 v51, 0xbfd9db23, v46
	v_add_f32_e32 v59, v16, v36
	v_rndne_f32_e32 v16, v22
	v_mul_f32_e32 v64, 0x3fb8aa3b, v51
	v_sub_f32_e32 v17, v22, v16
	v_rndne_f32_e32 v18, v23
	v_fma_f32 v65, v51, s85, -v64
	v_add_f32_e32 v19, v17, v37
	v_sub_f32_e32 v17, v23, v18
	v_cmp_ngt_f32_e64 s[38:39], s86, v51
	v_cmp_nlt_f32_e64 s[34:35], s87, v51
	v_fmac_f32_e32 v65, 0x32a5705f, v51
	v_add_f32_e32 v51, v17, v38
	v_rndne_f32_e32 v17, v53
	v_sub_f32_e32 v20, v53, v17
	v_rndne_f32_e32 v23, v60
	v_add_f32_e32 v39, v20, v39
	v_sub_f32_e32 v20, v60, v23
	v_mul_f32_e32 v60, 0xbfd9db23, v47
	v_mul_f32_e32 v27, 0x3fb8aa3b, v60
	v_rndne_f32_e32 v25, v61
	v_fma_f32 v37, v60, s85, -v27
	v_rndne_f32_e32 v38, v27
	v_sub_f32_e32 v21, v61, v25
	v_fmac_f32_e32 v37, 0x32a5705f, v60
	v_sub_f32_e32 v27, v27, v38
	v_mul_f32_e32 v61, 0xbfd9db23, v48
	v_rndne_f32_e32 v26, v52
	v_add_f32_e32 v27, v27, v37
	v_mul_f32_e32 v37, 0x3fb8aa3b, v61
	v_add_f32_e32 v20, v20, v50
	v_sub_f32_e32 v22, v52, v26
	v_fma_f32 v50, v61, s85, -v37
	v_rndne_f32_e32 v52, v37
	v_add_f32_e32 v21, v21, v62
	v_fmac_f32_e32 v50, 0x32a5705f, v61
	v_sub_f32_e32 v37, v37, v52
	v_mul_f32_e32 v62, 0xbfd9db23, v49
	v_add_f32_e32 v37, v37, v50
	v_mul_f32_e32 v50, 0x3fb8aa3b, v62
	v_add_f32_e32 v22, v22, v63
	v_fma_f32 v63, v62, s85, -v50
	v_rndne_f32_e32 v53, v50
	v_rndne_f32_e32 v36, v64
	v_fmac_f32_e32 v63, 0x32a5705f, v62
	v_sub_f32_e32 v50, v50, v53
	v_sub_f32_e32 v24, v64, v36
	v_add_f32_e32 v50, v50, v63
	v_cvt_i32_f32_e32 v63, v66
	v_exp_f32_e32 v64, v67
	v_add_f32_e32 v24, v24, v65
	v_exp_f32_e32 v65, v69
	v_cvt_i32_f32_e32 v58, v58
	v_ldexp_f32 v63, v64, v63
	v_cvt_i32_f32_e32 v64, v68
	v_exp_f32_e32 v59, v59
	v_cvt_i32_f32_e32 v16, v16
	v_exp_f32_e32 v19, v19
	v_ldexp_f32 v64, v65, v64
	v_cvt_i32_f32_e32 v65, v70
	v_exp_f32_e32 v66, v71
	v_ldexp_f32 v58, v59, v58
	v_ldexp_f32 v59, v19, v16
	v_cvt_i32_f32_e32 v16, v18
	v_exp_f32_e32 v18, v51
	v_ldexp_f32 v65, v66, v65
	v_cvt_i32_f32_e32 v66, v72
	v_exp_f32_e32 v67, v73
	v_cndmask_b32_e64 v51, 0, v58, s[40:41]
	v_ldexp_f32 v58, v18, v16
	v_cvt_i32_f32_e32 v16, v17
	v_exp_f32_e32 v17, v39
	v_ldexp_f32 v66, v67, v66
	v_cvt_i32_f32_e32 v67, v74
	v_exp_f32_e32 v68, v75
	v_ldexp_f32 v39, v17, v16
	v_pk_add_f32 v[16:17], v[0:1], 1.0 op_sel_hi:[1,0]
	v_pk_add_f32 v[0:1], v[6:7], 1.0 op_sel_hi:[1,0]
	;; [unrolled: 1-line block ×5, first 2 shown]
	v_cvt_i32_f32_e32 v12, v23
	v_cvt_i32_f32_e32 v13, v25
	;; [unrolled: 1-line block ×7, first 2 shown]
	v_exp_f32_e32 v20, v20
	v_exp_f32_e32 v21, v21
	;; [unrolled: 1-line block ×7, first 2 shown]
	v_ldexp_f32 v67, v68, v67
	v_cmp_ngt_f32_e64 s[52:53], s86, v60
	v_cmp_nlt_f32_e64 s[54:55], s87, v60
	v_cndmask_b32_e64 v60, 0, v63, s[42:43]
	v_cmp_ngt_f32_e64 s[56:57], s86, v61
	v_cndmask_b32_e64 v63, 0, v64, s[44:45]
	v_cmp_nlt_f32_e64 s[42:43], s87, v61
	v_cndmask_b32_e64 v61, 0, v65, s[46:47]
	v_cmp_ngt_f32_e64 s[46:47], s86, v62
	v_cndmask_b32_e64 v64, 0, v66, s[48:49]
	v_cmp_nlt_f32_e64 s[44:45], s87, v62
	v_cndmask_b32_e64 v62, 0, v67, s[50:51]
	v_ldexp_f32 v12, v20, v12
	v_ldexp_f32 v13, v21, v13
	;; [unrolled: 1-line block ×7, first 2 shown]
	v_cndmask_b32_e64 v23, 0, v59, s[20:21]
	v_cndmask_b32_e64 v24, 0, v58, s[22:23]
	;; [unrolled: 1-line block ×10, first 2 shown]
	v_cndmask_b32_e32 v26, v56, v60, vcc
	v_cndmask_b32_e64 v27, v56, v63, s[0:1]
	v_cndmask_b32_e64 v36, v56, v61, s[2:3]
	;; [unrolled: 1-line block ×15, first 2 shown]
	v_add_f32_e32 v26, 1.0, v26
	v_add_f32_e32 v27, 1.0, v27
	;; [unrolled: 1-line block ×16, first 2 shown]
	v_rcp_f32_e32 v12, v26
	v_rcp_f32_e32 v13, v27
	;; [unrolled: 1-line block ×16, first 2 shown]
	v_pk_add_f32 v[4:5], v[4:5], 1.0 op_sel_hi:[1,0]
	v_pk_mul_f32 v[12:13], v[28:29], v[12:13]
	v_pk_mul_f32 v[14:15], v[30:31], v[14:15]
	;; [unrolled: 1-line block ×4, first 2 shown]
	v_pk_add_f32 v[8:9], v[8:9], 1.0 op_sel_hi:[1,0]
	v_pk_add_f32 v[10:11], v[10:11], 1.0 op_sel_hi:[1,0]
	v_pk_mul_f32 v[24:25], v[40:41], v[24:25]
	v_pk_mul_f32 v[26:27], v[42:43], v[26:27]
	;; [unrolled: 1-line block ×12, first 2 shown]
	v_perm_b32 v3, v5, v4, s89
	v_perm_b32 v1, v15, v14, s89
	;; [unrolled: 1-line block ×8, first 2 shown]
	buffer_store_dwordx4 v[0:3], v54, s[60:63], 0 offen
	buffer_store_dwordx4 v[4:7], v54, s[60:63], 16 offen
	v_add_u32_e32 v54, s33, v54
	s_andn2_b64 exec, exec, s[82:83]
	s_cbranch_execnz .LBB217_8
.LBB217_9:
	s_endpgm
	.section	.rodata,"a",@progbits
	.p2align	6, 0x0
	.amdhsa_kernel _ZN5aiter30swiglu_act_and_mul_bias_kernelIfthfLi16EEEvPT0_PKT_PKT1_PKT2_il
		.amdhsa_group_segment_fixed_size 0
		.amdhsa_private_segment_fixed_size 0
		.amdhsa_kernarg_size 304
		.amdhsa_user_sgpr_count 2
		.amdhsa_user_sgpr_dispatch_ptr 0
		.amdhsa_user_sgpr_queue_ptr 0
		.amdhsa_user_sgpr_kernarg_segment_ptr 1
		.amdhsa_user_sgpr_dispatch_id 0
		.amdhsa_user_sgpr_kernarg_preload_length 0
		.amdhsa_user_sgpr_kernarg_preload_offset 0
		.amdhsa_user_sgpr_private_segment_size 0
		.amdhsa_uses_dynamic_stack 0
		.amdhsa_enable_private_segment 0
		.amdhsa_system_sgpr_workgroup_id_x 1
		.amdhsa_system_sgpr_workgroup_id_y 0
		.amdhsa_system_sgpr_workgroup_id_z 0
		.amdhsa_system_sgpr_workgroup_info 0
		.amdhsa_system_vgpr_workitem_id 0
		.amdhsa_next_free_vgpr 76
		.amdhsa_next_free_sgpr 90
		.amdhsa_accum_offset 76
		.amdhsa_reserve_vcc 1
		.amdhsa_float_round_mode_32 0
		.amdhsa_float_round_mode_16_64 0
		.amdhsa_float_denorm_mode_32 3
		.amdhsa_float_denorm_mode_16_64 3
		.amdhsa_dx10_clamp 1
		.amdhsa_ieee_mode 1
		.amdhsa_fp16_overflow 0
		.amdhsa_tg_split 0
		.amdhsa_exception_fp_ieee_invalid_op 0
		.amdhsa_exception_fp_denorm_src 0
		.amdhsa_exception_fp_ieee_div_zero 0
		.amdhsa_exception_fp_ieee_overflow 0
		.amdhsa_exception_fp_ieee_underflow 0
		.amdhsa_exception_fp_ieee_inexact 0
		.amdhsa_exception_int_div_zero 0
	.end_amdhsa_kernel
	.section	.text._ZN5aiter30swiglu_act_and_mul_bias_kernelIfthfLi16EEEvPT0_PKT_PKT1_PKT2_il,"axG",@progbits,_ZN5aiter30swiglu_act_and_mul_bias_kernelIfthfLi16EEEvPT0_PKT_PKT1_PKT2_il,comdat
.Lfunc_end217:
	.size	_ZN5aiter30swiglu_act_and_mul_bias_kernelIfthfLi16EEEvPT0_PKT_PKT1_PKT2_il, .Lfunc_end217-_ZN5aiter30swiglu_act_and_mul_bias_kernelIfthfLi16EEEvPT0_PKT_PKT1_PKT2_il
                                        ; -- End function
	.section	.AMDGPU.csdata,"",@progbits
; Kernel info:
; codeLenInByte = 3024
; NumSgprs: 96
; NumVgprs: 76
; NumAgprs: 0
; TotalNumVgprs: 76
; ScratchSize: 0
; MemoryBound: 0
; FloatMode: 240
; IeeeMode: 1
; LDSByteSize: 0 bytes/workgroup (compile time only)
; SGPRBlocks: 11
; VGPRBlocks: 9
; NumSGPRsForWavesPerEU: 96
; NumVGPRsForWavesPerEU: 76
; AccumOffset: 76
; Occupancy: 6
; WaveLimiterHint : 0
; COMPUTE_PGM_RSRC2:SCRATCH_EN: 0
; COMPUTE_PGM_RSRC2:USER_SGPR: 2
; COMPUTE_PGM_RSRC2:TRAP_HANDLER: 0
; COMPUTE_PGM_RSRC2:TGID_X_EN: 1
; COMPUTE_PGM_RSRC2:TGID_Y_EN: 0
; COMPUTE_PGM_RSRC2:TGID_Z_EN: 0
; COMPUTE_PGM_RSRC2:TIDIG_COMP_CNT: 0
; COMPUTE_PGM_RSRC3_GFX90A:ACCUM_OFFSET: 18
; COMPUTE_PGM_RSRC3_GFX90A:TG_SPLIT: 0
	.section	.text._ZN5aiter30swiglu_act_and_mul_bias_kernelIfthfLi8EEEvPT0_PKT_PKT1_PKT2_il,"axG",@progbits,_ZN5aiter30swiglu_act_and_mul_bias_kernelIfthfLi8EEEvPT0_PKT_PKT1_PKT2_il,comdat
	.protected	_ZN5aiter30swiglu_act_and_mul_bias_kernelIfthfLi8EEEvPT0_PKT_PKT1_PKT2_il ; -- Begin function _ZN5aiter30swiglu_act_and_mul_bias_kernelIfthfLi8EEEvPT0_PKT_PKT1_PKT2_il
	.globl	_ZN5aiter30swiglu_act_and_mul_bias_kernelIfthfLi8EEEvPT0_PKT_PKT1_PKT2_il
	.p2align	8
	.type	_ZN5aiter30swiglu_act_and_mul_bias_kernelIfthfLi8EEEvPT0_PKT_PKT1_PKT2_il,@function
_ZN5aiter30swiglu_act_and_mul_bias_kernelIfthfLi8EEEvPT0_PKT_PKT1_PKT2_il: ; @_ZN5aiter30swiglu_act_and_mul_bias_kernelIfthfLi8EEEvPT0_PKT_PKT1_PKT2_il
; %bb.0:
	s_load_dwordx2 s[4:5], s[0:1], 0x10
	s_load_dword s14, s[0:1], 0x20
	s_load_dwordx2 s[8:9], s[0:1], 0x28
	v_mov_b32_e32 v1, s2
	s_load_dwordx2 s[10:11], s[0:1], 0x0
	s_waitcnt lgkmcnt(0)
	global_load_ubyte v1, v1, s[4:5]
	s_ashr_i32 s15, s14, 31
	s_mul_hi_u32 s3, s14, s2
	s_mul_i32 s4, s15, s2
	s_mul_i32 s12, s14, s2
	s_add_i32 s13, s3, s4
	v_mov_b64_e32 v[2:3], s[8:9]
	s_lshl_b64 s[8:9], s[12:13], 1
	s_mov_b32 s5, 0
	s_mov_b64 s[6:7], -1
	v_lshlrev_b32_e32 v24, 3, v0
	s_waitcnt vmcnt(0)
	v_readfirstlane_b32 s3, v1
	s_and_b32 s4, s3, 0xffff
	s_add_u32 s16, s10, s8
	v_cmp_lt_i64_e32 vcc, s[4:5], v[2:3]
	s_addc_u32 s3, s11, s9
	s_add_i32 s5, s14, 1
	s_lshr_b32 s8, s5, 31
	s_add_i32 s5, s5, s8
	s_and_b32 s17, s3, 0xffff
	s_lshl_b32 s3, s5, 1
	s_and_b32 s18, s3, -4
	s_cbranch_vccnz .LBB218_5
; %bb.1:
	v_cmp_gt_i32_e32 vcc, s14, v24
	s_and_saveexec_b64 s[6:7], vcc
	s_cbranch_execz .LBB218_4
; %bb.2:
	s_load_dword s3, s[0:1], 0x3c
	v_mov_b32_e32 v25, 0
	s_mov_b32 s9, 0
	v_lshlrev_b32_e32 v1, 4, v0
	s_mov_b64 s[10:11], 0
	s_waitcnt lgkmcnt(0)
	s_and_b32 s3, s3, 0xffff
	s_lshl_b32 s8, s3, 3
	s_lshl_b32 s3, s3, 4
	s_mov_b32 s19, 0x20000
	v_mov_b32_e32 v2, v25
	v_mov_b32_e32 v3, v25
	;; [unrolled: 1-line block ×4, first 2 shown]
	v_mov_b64_e32 v[6:7], v[24:25]
.LBB218_3:                              ; =>This Inner Loop Header: Depth=1
	v_lshl_add_u64 v[6:7], s[8:9], 0, v[6:7]
	v_cmp_le_i64_e32 vcc, s[14:15], v[6:7]
	buffer_store_dwordx4 v[2:5], v1, s[16:19], 0 offen
	s_or_b64 s[10:11], vcc, s[10:11]
	v_add_u32_e32 v1, s3, v1
	s_andn2_b64 exec, exec, s[10:11]
	s_cbranch_execnz .LBB218_3
.LBB218_4:
	s_or_b64 exec, exec, s[6:7]
	s_mov_b64 s[6:7], 0
.LBB218_5:
	s_andn2_b64 vcc, exec, s[6:7]
	s_cbranch_vccnz .LBB218_9
; %bb.6:
	v_cmp_gt_i32_e32 vcc, s14, v24
	s_and_saveexec_b64 s[6:7], vcc
	s_cbranch_execz .LBB218_9
; %bb.7:
	s_load_dwordx2 s[6:7], s[0:1], 0x8
	s_load_dwordx2 s[8:9], s[0:1], 0x18
	s_mul_hi_i32 s5, s14, s4
	s_mul_i32 s4, s14, s4
	s_lshl_b32 s22, s14, 2
	s_lshl_b64 s[4:5], s[4:5], 3
	s_waitcnt lgkmcnt(0)
	s_add_u32 s20, s8, s4
	s_load_dword s10, s[0:1], 0x3c
	s_addc_u32 s3, s9, s5
	s_lshl_b64 s[0:1], s[14:15], 2
	s_add_u32 s24, s20, s0
	s_addc_u32 s4, s3, s1
	s_and_b32 s21, s3, 0xffff
	s_and_b32 s25, s4, 0xffff
	s_mul_i32 s3, s2, s15
	s_mul_hi_u32 s4, s2, s14
	s_add_i32 s3, s4, s3
	s_mul_i32 s2, s2, s14
	s_lshl_b64 s[2:3], s[2:3], 3
	s_add_u32 s28, s6, s2
	s_addc_u32 s2, s7, s3
	s_add_u32 s36, s28, s0
	s_addc_u32 s0, s2, s1
	s_mov_b32 s19, 0x20000
	s_and_b32 s37, s0, 0xffff
	s_waitcnt lgkmcnt(0)
	s_and_b32 s0, s10, 0xffff
	s_mov_b32 s23, s19
	s_and_b32 s29, s2, 0xffff
	s_mov_b32 s35, 0
	v_mov_b32_e32 v25, 0
	s_lshl_b32 s34, s0, 3
	v_lshlrev_b32_e32 v26, 4, v0
	s_lshl_b32 s33, s0, 4
	v_lshlrev_b32_e32 v27, 5, v0
	s_lshl_b32 s42, s0, 5
	s_mov_b64 s[40:41], 0
	s_mov_b32 s30, s22
	s_mov_b32 s31, s19
	;; [unrolled: 1-line block ×5, first 2 shown]
	v_mov_b32_e32 v28, 0x7f800000
	s_mov_b32 s46, 0xc0e00000
	v_mov_b32_e32 v29, 0x40e00000
	s_mov_b32 s47, 0x7060302
	s_mov_b32 s38, s22
	s_mov_b32 s39, s19
.LBB218_8:                              ; =>This Inner Loop Header: Depth=1
	buffer_load_dwordx4 v[12:15], v27, s[20:23], 0 offen
	buffer_load_dwordx4 v[16:19], v27, s[28:31], 0 offen
	;; [unrolled: 1-line block ×6, first 2 shown]
	s_mov_b32 s26, s22
	s_mov_b32 s27, s23
	buffer_load_dwordx4 v[30:33], v27, s[24:27], 0 offen
	buffer_load_dwordx4 v[34:37], v27, s[24:27], 16 offen
	v_lshl_add_u64 v[24:25], s[34:35], 0, v[24:25]
	v_cmp_le_i64_e32 vcc, s[14:15], v[24:25]
	s_or_b64 s[40:41], vcc, s[40:41]
	v_add_u32_e32 v27, s42, v27
	s_waitcnt vmcnt(6)
	v_pk_add_f32 v[14:15], v[18:19], v[14:15]
	v_pk_add_f32 v[12:13], v[16:17], v[12:13]
	s_waitcnt vmcnt(4)
	v_pk_add_f32 v[16:17], v[10:11], v[22:23]
	v_pk_add_f32 v[18:19], v[8:9], v[20:21]
	v_min_f32_e32 v9, 0x40e00000, v13
	v_min_f32_e32 v8, 0x40e00000, v12
	;; [unrolled: 1-line block ×8, first 2 shown]
	v_mul_f32_e32 v16, 0xbfd9db23, v8
	v_mul_f32_e32 v17, 0xbfd9db23, v9
	;; [unrolled: 1-line block ×8, first 2 shown]
	s_waitcnt vmcnt(1)
	v_pk_add_f32 v[2:3], v[2:3], v[32:33]
	s_waitcnt vmcnt(0)
	v_pk_add_f32 v[6:7], v[6:7], v[36:37]
	v_pk_add_f32 v[0:1], v[0:1], v[30:31]
	;; [unrolled: 1-line block ×3, first 2 shown]
	v_mul_f32_e32 v30, 0x3fb8aa3b, v16
	v_mul_f32_e32 v31, 0x3fb8aa3b, v17
	;; [unrolled: 1-line block ×8, first 2 shown]
	v_fma_f32 v38, v16, s43, -v30
	v_rndne_f32_e32 v39, v30
	v_fma_f32 v40, v17, s43, -v31
	v_rndne_f32_e32 v41, v31
	;; [unrolled: 2-line block ×8, first 2 shown]
	v_fmac_f32_e32 v38, 0x32a5705f, v16
	v_sub_f32_e32 v30, v30, v39
	v_fmac_f32_e32 v40, 0x32a5705f, v17
	v_sub_f32_e32 v31, v31, v41
	;; [unrolled: 2-line block ×8, first 2 shown]
	v_add_f32_e32 v30, v30, v38
	v_add_f32_e32 v31, v31, v40
	;; [unrolled: 1-line block ×8, first 2 shown]
	v_cvt_i32_f32_e32 v39, v39
	v_cvt_i32_f32_e32 v41, v41
	;; [unrolled: 1-line block ×8, first 2 shown]
	v_exp_f32_e32 v30, v30
	v_exp_f32_e32 v31, v31
	v_exp_f32_e32 v32, v32
	v_exp_f32_e32 v33, v33
	v_exp_f32_e32 v34, v34
	v_exp_f32_e32 v35, v35
	v_exp_f32_e32 v36, v36
	v_exp_f32_e32 v37, v37
	v_ldexp_f32 v30, v30, v39
	v_ldexp_f32 v31, v31, v41
	v_cmp_ngt_f32_e32 vcc, s44, v17
	v_ldexp_f32 v32, v32, v43
	v_cmp_ngt_f32_e64 s[0:1], s44, v18
	v_ldexp_f32 v33, v33, v45
	v_cmp_ngt_f32_e64 s[2:3], s44, v19
	;; [unrolled: 2-line block ×6, first 2 shown]
	v_cmp_ngt_f32_e64 s[12:13], s44, v16
	v_cndmask_b32_e32 v31, 0, v31, vcc
	v_cmp_nlt_f32_e32 vcc, s45, v17
	v_cndmask_b32_e64 v30, 0, v30, s[12:13]
	v_cndmask_b32_e64 v17, 0, v32, s[0:1]
	v_cmp_nlt_f32_e64 s[0:1], s45, v18
	v_cndmask_b32_e64 v18, 0, v33, s[2:3]
	v_cmp_nlt_f32_e64 s[2:3], s45, v19
	;; [unrolled: 2-line block ×6, first 2 shown]
	v_cmp_nlt_f32_e64 s[12:13], s45, v16
	v_cndmask_b32_e32 v23, v28, v31, vcc
	v_cndmask_b32_e64 v17, v28, v17, s[0:1]
	v_cndmask_b32_e64 v16, v28, v30, s[12:13]
	;; [unrolled: 1-line block ×7, first 2 shown]
	v_add_f32_e32 v16, 1.0, v16
	v_add_f32_e32 v23, 1.0, v23
	;; [unrolled: 1-line block ×8, first 2 shown]
	v_rcp_f32_e32 v16, v16
	v_rcp_f32_e32 v17, v23
	v_rcp_f32_e32 v18, v30
	v_rcp_f32_e32 v19, v31
	v_rcp_f32_e32 v20, v32
	v_rcp_f32_e32 v21, v33
	v_rcp_f32_e32 v22, v34
	v_rcp_f32_e32 v23, v35
	v_med3_f32 v3, v3, s46, v29
	v_med3_f32 v2, v2, s46, v29
	v_med3_f32 v7, v7, s46, v29
	v_med3_f32 v6, v6, s46, v29
	v_med3_f32 v1, v1, s46, v29
	v_med3_f32 v0, v0, s46, v29
	v_med3_f32 v5, v5, s46, v29
	v_med3_f32 v4, v4, s46, v29
	v_pk_add_f32 v[6:7], v[6:7], 1.0 op_sel_hi:[1,0]
	v_pk_add_f32 v[2:3], v[2:3], 1.0 op_sel_hi:[1,0]
	;; [unrolled: 1-line block ×4, first 2 shown]
	v_pk_mul_f32 v[8:9], v[8:9], v[16:17]
	v_pk_mul_f32 v[10:11], v[10:11], v[18:19]
	;; [unrolled: 1-line block ×8, first 2 shown]
	v_perm_b32 v3, v3, v2, s47
	v_perm_b32 v1, v11, v10, s47
	;; [unrolled: 1-line block ×4, first 2 shown]
	buffer_store_dwordx4 v[0:3], v26, s[16:19], 0 offen
	v_add_u32_e32 v26, s33, v26
	s_andn2_b64 exec, exec, s[40:41]
	s_cbranch_execnz .LBB218_8
.LBB218_9:
	s_endpgm
	.section	.rodata,"a",@progbits
	.p2align	6, 0x0
	.amdhsa_kernel _ZN5aiter30swiglu_act_and_mul_bias_kernelIfthfLi8EEEvPT0_PKT_PKT1_PKT2_il
		.amdhsa_group_segment_fixed_size 0
		.amdhsa_private_segment_fixed_size 0
		.amdhsa_kernarg_size 304
		.amdhsa_user_sgpr_count 2
		.amdhsa_user_sgpr_dispatch_ptr 0
		.amdhsa_user_sgpr_queue_ptr 0
		.amdhsa_user_sgpr_kernarg_segment_ptr 1
		.amdhsa_user_sgpr_dispatch_id 0
		.amdhsa_user_sgpr_kernarg_preload_length 0
		.amdhsa_user_sgpr_kernarg_preload_offset 0
		.amdhsa_user_sgpr_private_segment_size 0
		.amdhsa_uses_dynamic_stack 0
		.amdhsa_enable_private_segment 0
		.amdhsa_system_sgpr_workgroup_id_x 1
		.amdhsa_system_sgpr_workgroup_id_y 0
		.amdhsa_system_sgpr_workgroup_id_z 0
		.amdhsa_system_sgpr_workgroup_info 0
		.amdhsa_system_vgpr_workitem_id 0
		.amdhsa_next_free_vgpr 54
		.amdhsa_next_free_sgpr 48
		.amdhsa_accum_offset 56
		.amdhsa_reserve_vcc 1
		.amdhsa_float_round_mode_32 0
		.amdhsa_float_round_mode_16_64 0
		.amdhsa_float_denorm_mode_32 3
		.amdhsa_float_denorm_mode_16_64 3
		.amdhsa_dx10_clamp 1
		.amdhsa_ieee_mode 1
		.amdhsa_fp16_overflow 0
		.amdhsa_tg_split 0
		.amdhsa_exception_fp_ieee_invalid_op 0
		.amdhsa_exception_fp_denorm_src 0
		.amdhsa_exception_fp_ieee_div_zero 0
		.amdhsa_exception_fp_ieee_overflow 0
		.amdhsa_exception_fp_ieee_underflow 0
		.amdhsa_exception_fp_ieee_inexact 0
		.amdhsa_exception_int_div_zero 0
	.end_amdhsa_kernel
	.section	.text._ZN5aiter30swiglu_act_and_mul_bias_kernelIfthfLi8EEEvPT0_PKT_PKT1_PKT2_il,"axG",@progbits,_ZN5aiter30swiglu_act_and_mul_bias_kernelIfthfLi8EEEvPT0_PKT_PKT1_PKT2_il,comdat
.Lfunc_end218:
	.size	_ZN5aiter30swiglu_act_and_mul_bias_kernelIfthfLi8EEEvPT0_PKT_PKT1_PKT2_il, .Lfunc_end218-_ZN5aiter30swiglu_act_and_mul_bias_kernelIfthfLi8EEEvPT0_PKT_PKT1_PKT2_il
                                        ; -- End function
	.section	.AMDGPU.csdata,"",@progbits
; Kernel info:
; codeLenInByte = 1792
; NumSgprs: 54
; NumVgprs: 54
; NumAgprs: 0
; TotalNumVgprs: 54
; ScratchSize: 0
; MemoryBound: 0
; FloatMode: 240
; IeeeMode: 1
; LDSByteSize: 0 bytes/workgroup (compile time only)
; SGPRBlocks: 6
; VGPRBlocks: 6
; NumSGPRsForWavesPerEU: 54
; NumVGPRsForWavesPerEU: 54
; AccumOffset: 56
; Occupancy: 8
; WaveLimiterHint : 0
; COMPUTE_PGM_RSRC2:SCRATCH_EN: 0
; COMPUTE_PGM_RSRC2:USER_SGPR: 2
; COMPUTE_PGM_RSRC2:TRAP_HANDLER: 0
; COMPUTE_PGM_RSRC2:TGID_X_EN: 1
; COMPUTE_PGM_RSRC2:TGID_Y_EN: 0
; COMPUTE_PGM_RSRC2:TGID_Z_EN: 0
; COMPUTE_PGM_RSRC2:TIDIG_COMP_CNT: 0
; COMPUTE_PGM_RSRC3_GFX90A:ACCUM_OFFSET: 13
; COMPUTE_PGM_RSRC3_GFX90A:TG_SPLIT: 0
	.section	.text._ZN5aiter30swiglu_act_and_mul_bias_kernelIfthfLi4EEEvPT0_PKT_PKT1_PKT2_il,"axG",@progbits,_ZN5aiter30swiglu_act_and_mul_bias_kernelIfthfLi4EEEvPT0_PKT_PKT1_PKT2_il,comdat
	.protected	_ZN5aiter30swiglu_act_and_mul_bias_kernelIfthfLi4EEEvPT0_PKT_PKT1_PKT2_il ; -- Begin function _ZN5aiter30swiglu_act_and_mul_bias_kernelIfthfLi4EEEvPT0_PKT_PKT1_PKT2_il
	.globl	_ZN5aiter30swiglu_act_and_mul_bias_kernelIfthfLi4EEEvPT0_PKT_PKT1_PKT2_il
	.p2align	8
	.type	_ZN5aiter30swiglu_act_and_mul_bias_kernelIfthfLi4EEEvPT0_PKT_PKT1_PKT2_il,@function
_ZN5aiter30swiglu_act_and_mul_bias_kernelIfthfLi4EEEvPT0_PKT_PKT1_PKT2_il: ; @_ZN5aiter30swiglu_act_and_mul_bias_kernelIfthfLi4EEEvPT0_PKT_PKT1_PKT2_il
; %bb.0:
	s_load_dwordx2 s[4:5], s[0:1], 0x10
	s_load_dword s6, s[0:1], 0x20
	s_load_dwordx2 s[8:9], s[0:1], 0x28
	v_mov_b32_e32 v1, s2
	s_load_dwordx2 s[10:11], s[0:1], 0x0
	s_waitcnt lgkmcnt(0)
	global_load_ubyte v1, v1, s[4:5]
	s_ashr_i32 s7, s6, 31
	s_mul_hi_u32 s3, s6, s2
	s_mul_i32 s4, s7, s2
	s_mul_i32 s14, s6, s2
	s_add_i32 s15, s3, s4
	v_mov_b64_e32 v[2:3], s[8:9]
	s_lshl_b64 s[8:9], s[14:15], 1
	s_mov_b32 s5, 0
	s_mov_b64 s[12:13], -1
	v_lshlrev_b32_e32 v12, 2, v0
	s_waitcnt vmcnt(0)
	v_readfirstlane_b32 s3, v1
	s_and_b32 s4, s3, 0xffff
	s_add_u32 s8, s10, s8
	v_cmp_lt_i64_e32 vcc, s[4:5], v[2:3]
	s_addc_u32 s3, s11, s9
	s_add_i32 s5, s6, 1
	s_lshr_b32 s10, s5, 31
	s_add_i32 s5, s5, s10
	s_and_b32 s9, s3, 0xffff
	s_lshl_b32 s3, s5, 1
	s_and_b32 s10, s3, -4
	s_cbranch_vccnz .LBB219_5
; %bb.1:
	v_cmp_gt_i32_e32 vcc, s6, v12
	s_and_saveexec_b64 s[12:13], vcc
	s_cbranch_execz .LBB219_4
; %bb.2:
	s_load_dword s3, s[0:1], 0x3c
	v_mov_b32_e32 v13, 0
	s_mov_b32 s15, 0
	v_lshlrev_b32_e32 v1, 3, v0
	s_mov_b64 s[16:17], 0
	s_waitcnt lgkmcnt(0)
	s_and_b32 s3, s3, 0xffff
	s_lshl_b32 s14, s3, 2
	s_lshl_b32 s3, s3, 3
	s_mov_b32 s11, 0x20000
	v_mov_b32_e32 v2, v13
	v_mov_b32_e32 v3, v13
	v_mov_b64_e32 v[4:5], v[12:13]
.LBB219_3:                              ; =>This Inner Loop Header: Depth=1
	v_lshl_add_u64 v[4:5], s[14:15], 0, v[4:5]
	v_cmp_le_i64_e32 vcc, s[6:7], v[4:5]
	buffer_store_dwordx2 v[2:3], v1, s[8:11], 0 offen
	s_or_b64 s[16:17], vcc, s[16:17]
	v_add_u32_e32 v1, s3, v1
	s_andn2_b64 exec, exec, s[16:17]
	s_cbranch_execnz .LBB219_3
.LBB219_4:
	s_or_b64 exec, exec, s[12:13]
	s_mov_b64 s[12:13], 0
.LBB219_5:
	s_andn2_b64 vcc, exec, s[12:13]
	s_cbranch_vccnz .LBB219_9
; %bb.6:
	v_cmp_gt_i32_e32 vcc, s6, v12
	s_and_saveexec_b64 s[12:13], vcc
	s_cbranch_execz .LBB219_9
; %bb.7:
	s_load_dwordx2 s[18:19], s[0:1], 0x8
	s_load_dwordx2 s[12:13], s[0:1], 0x18
	s_mul_hi_i32 s5, s6, s4
	s_mul_i32 s4, s6, s4
	s_lshl_b32 s14, s6, 2
	s_lshl_b64 s[4:5], s[4:5], 3
	s_waitcnt lgkmcnt(0)
	s_add_u32 s12, s12, s4
	s_load_dword s22, s[0:1], 0x3c
	s_addc_u32 s3, s13, s5
	s_lshl_b64 s[0:1], s[6:7], 2
	s_add_u32 s16, s12, s0
	s_addc_u32 s4, s3, s1
	s_and_b32 s13, s3, 0xffff
	s_and_b32 s17, s4, 0xffff
	s_mul_i32 s3, s2, s7
	s_mul_hi_u32 s4, s2, s6
	s_add_i32 s3, s4, s3
	s_mul_i32 s2, s2, s6
	s_lshl_b64 s[2:3], s[2:3], 3
	s_add_u32 s20, s18, s2
	s_addc_u32 s2, s19, s3
	s_add_u32 s24, s20, s0
	s_addc_u32 s0, s2, s1
	s_mov_b32 s11, 0x20000
	s_and_b32 s25, s0, 0xffff
	s_waitcnt lgkmcnt(0)
	s_and_b32 s0, s22, 0xffff
	s_mov_b32 s15, s11
	s_and_b32 s21, s2, 0xffff
	s_mov_b32 s29, 0
	v_mov_b32_e32 v13, 0
	s_lshl_b32 s28, s0, 2
	v_lshlrev_b32_e32 v14, 3, v0
	s_lshl_b32 s33, s0, 3
	v_lshlrev_b32_e32 v15, 4, v0
	s_lshl_b32 s34, s0, 4
	s_mov_b64 s[30:31], 0
	s_mov_b32 s22, s14
	s_mov_b32 s23, s11
	s_mov_b32 s35, 0x3fb8aa3b
	s_mov_b32 s36, 0xc2ce8ed0
	s_mov_b32 s37, 0x42b17218
	v_mov_b32_e32 v16, 0x7f800000
	s_mov_b32 s38, 0xc0e00000
	v_mov_b32_e32 v17, 0x40e00000
	s_mov_b32 s39, 0x7060302
	s_mov_b32 s26, s14
	;; [unrolled: 1-line block ×3, first 2 shown]
.LBB219_8:                              ; =>This Inner Loop Header: Depth=1
	buffer_load_dwordx4 v[4:7], v15, s[12:15], 0 offen
	buffer_load_dwordx4 v[8:11], v15, s[20:23], 0 offen
	;; [unrolled: 1-line block ×3, first 2 shown]
	s_mov_b32 s18, s14
	s_mov_b32 s19, s15
	buffer_load_dwordx4 v[18:21], v15, s[16:19], 0 offen
	v_lshl_add_u64 v[12:13], s[28:29], 0, v[12:13]
	v_cmp_le_i64_e32 vcc, s[6:7], v[12:13]
	s_or_b64 s[30:31], vcc, s[30:31]
	v_add_u32_e32 v15, s34, v15
	s_waitcnt vmcnt(2)
	v_pk_add_f32 v[6:7], v[10:11], v[6:7]
	v_pk_add_f32 v[4:5], v[8:9], v[4:5]
	v_min_f32_e32 v7, 0x40e00000, v7
	v_min_f32_e32 v5, 0x40e00000, v5
	;; [unrolled: 1-line block ×4, first 2 shown]
	v_mul_f32_e32 v8, 0xbfd9db23, v4
	v_mul_f32_e32 v9, 0xbfd9db23, v5
	;; [unrolled: 1-line block ×4, first 2 shown]
	s_waitcnt vmcnt(0)
	v_pk_add_f32 v[2:3], v[2:3], v[20:21]
	v_pk_add_f32 v[0:1], v[0:1], v[18:19]
	v_mul_f32_e32 v18, 0x3fb8aa3b, v8
	v_mul_f32_e32 v19, 0x3fb8aa3b, v9
	;; [unrolled: 1-line block ×4, first 2 shown]
	v_fma_f32 v22, v8, s35, -v18
	v_rndne_f32_e32 v23, v18
	v_fma_f32 v24, v9, s35, -v19
	v_rndne_f32_e32 v25, v19
	;; [unrolled: 2-line block ×4, first 2 shown]
	v_fmac_f32_e32 v22, 0x32a5705f, v8
	v_sub_f32_e32 v18, v18, v23
	v_fmac_f32_e32 v24, 0x32a5705f, v9
	v_sub_f32_e32 v19, v19, v25
	;; [unrolled: 2-line block ×4, first 2 shown]
	v_add_f32_e32 v18, v18, v22
	v_add_f32_e32 v19, v19, v24
	;; [unrolled: 1-line block ×4, first 2 shown]
	v_cvt_i32_f32_e32 v23, v23
	v_cvt_i32_f32_e32 v25, v25
	;; [unrolled: 1-line block ×4, first 2 shown]
	v_exp_f32_e32 v18, v18
	v_exp_f32_e32 v19, v19
	;; [unrolled: 1-line block ×4, first 2 shown]
	v_ldexp_f32 v18, v18, v23
	v_ldexp_f32 v19, v19, v25
	v_cmp_ngt_f32_e32 vcc, s36, v9
	v_ldexp_f32 v20, v20, v27
	v_cmp_ngt_f32_e64 s[0:1], s36, v10
	v_ldexp_f32 v21, v21, v29
	v_cmp_ngt_f32_e64 s[2:3], s36, v11
	v_cmp_ngt_f32_e64 s[4:5], s36, v8
	v_cndmask_b32_e32 v19, 0, v19, vcc
	v_cmp_nlt_f32_e32 vcc, s37, v9
	v_cndmask_b32_e64 v18, 0, v18, s[4:5]
	v_cndmask_b32_e64 v9, 0, v20, s[0:1]
	v_cmp_nlt_f32_e64 s[0:1], s37, v10
	v_cndmask_b32_e64 v10, 0, v21, s[2:3]
	v_cmp_nlt_f32_e64 s[2:3], s37, v11
	v_cmp_nlt_f32_e64 s[4:5], s37, v8
	v_cndmask_b32_e32 v11, v16, v19, vcc
	v_cndmask_b32_e64 v9, v16, v9, s[0:1]
	v_cndmask_b32_e64 v8, v16, v18, s[4:5]
	;; [unrolled: 1-line block ×3, first 2 shown]
	v_add_f32_e32 v8, 1.0, v8
	v_add_f32_e32 v11, 1.0, v11
	;; [unrolled: 1-line block ×4, first 2 shown]
	v_rcp_f32_e32 v8, v8
	v_rcp_f32_e32 v9, v11
	;; [unrolled: 1-line block ×4, first 2 shown]
	v_med3_f32 v3, v3, s38, v17
	v_med3_f32 v2, v2, s38, v17
	;; [unrolled: 1-line block ×4, first 2 shown]
	v_pk_add_f32 v[2:3], v[2:3], 1.0 op_sel_hi:[1,0]
	v_pk_add_f32 v[0:1], v[0:1], 1.0 op_sel_hi:[1,0]
	v_pk_mul_f32 v[4:5], v[4:5], v[8:9]
	v_pk_mul_f32 v[6:7], v[6:7], v[10:11]
	;; [unrolled: 1-line block ×4, first 2 shown]
	s_nop 0
	v_perm_b32 v3, v3, v2, s39
	v_perm_b32 v2, v1, v0, s39
	buffer_store_dwordx2 v[2:3], v14, s[8:11], 0 offen
	v_add_u32_e32 v14, s33, v14
	s_andn2_b64 exec, exec, s[30:31]
	s_cbranch_execnz .LBB219_8
.LBB219_9:
	s_endpgm
	.section	.rodata,"a",@progbits
	.p2align	6, 0x0
	.amdhsa_kernel _ZN5aiter30swiglu_act_and_mul_bias_kernelIfthfLi4EEEvPT0_PKT_PKT1_PKT2_il
		.amdhsa_group_segment_fixed_size 0
		.amdhsa_private_segment_fixed_size 0
		.amdhsa_kernarg_size 304
		.amdhsa_user_sgpr_count 2
		.amdhsa_user_sgpr_dispatch_ptr 0
		.amdhsa_user_sgpr_queue_ptr 0
		.amdhsa_user_sgpr_kernarg_segment_ptr 1
		.amdhsa_user_sgpr_dispatch_id 0
		.amdhsa_user_sgpr_kernarg_preload_length 0
		.amdhsa_user_sgpr_kernarg_preload_offset 0
		.amdhsa_user_sgpr_private_segment_size 0
		.amdhsa_uses_dynamic_stack 0
		.amdhsa_enable_private_segment 0
		.amdhsa_system_sgpr_workgroup_id_x 1
		.amdhsa_system_sgpr_workgroup_id_y 0
		.amdhsa_system_sgpr_workgroup_id_z 0
		.amdhsa_system_sgpr_workgroup_info 0
		.amdhsa_system_vgpr_workitem_id 0
		.amdhsa_next_free_vgpr 30
		.amdhsa_next_free_sgpr 40
		.amdhsa_accum_offset 32
		.amdhsa_reserve_vcc 1
		.amdhsa_float_round_mode_32 0
		.amdhsa_float_round_mode_16_64 0
		.amdhsa_float_denorm_mode_32 3
		.amdhsa_float_denorm_mode_16_64 3
		.amdhsa_dx10_clamp 1
		.amdhsa_ieee_mode 1
		.amdhsa_fp16_overflow 0
		.amdhsa_tg_split 0
		.amdhsa_exception_fp_ieee_invalid_op 0
		.amdhsa_exception_fp_denorm_src 0
		.amdhsa_exception_fp_ieee_div_zero 0
		.amdhsa_exception_fp_ieee_overflow 0
		.amdhsa_exception_fp_ieee_underflow 0
		.amdhsa_exception_fp_ieee_inexact 0
		.amdhsa_exception_int_div_zero 0
	.end_amdhsa_kernel
	.section	.text._ZN5aiter30swiglu_act_and_mul_bias_kernelIfthfLi4EEEvPT0_PKT_PKT1_PKT2_il,"axG",@progbits,_ZN5aiter30swiglu_act_and_mul_bias_kernelIfthfLi4EEEvPT0_PKT_PKT1_PKT2_il,comdat
.Lfunc_end219:
	.size	_ZN5aiter30swiglu_act_and_mul_bias_kernelIfthfLi4EEEvPT0_PKT_PKT1_PKT2_il, .Lfunc_end219-_ZN5aiter30swiglu_act_and_mul_bias_kernelIfthfLi4EEEvPT0_PKT_PKT1_PKT2_il
                                        ; -- End function
	.section	.AMDGPU.csdata,"",@progbits
; Kernel info:
; codeLenInByte = 1188
; NumSgprs: 46
; NumVgprs: 30
; NumAgprs: 0
; TotalNumVgprs: 30
; ScratchSize: 0
; MemoryBound: 0
; FloatMode: 240
; IeeeMode: 1
; LDSByteSize: 0 bytes/workgroup (compile time only)
; SGPRBlocks: 5
; VGPRBlocks: 3
; NumSGPRsForWavesPerEU: 46
; NumVGPRsForWavesPerEU: 30
; AccumOffset: 32
; Occupancy: 8
; WaveLimiterHint : 0
; COMPUTE_PGM_RSRC2:SCRATCH_EN: 0
; COMPUTE_PGM_RSRC2:USER_SGPR: 2
; COMPUTE_PGM_RSRC2:TRAP_HANDLER: 0
; COMPUTE_PGM_RSRC2:TGID_X_EN: 1
; COMPUTE_PGM_RSRC2:TGID_Y_EN: 0
; COMPUTE_PGM_RSRC2:TGID_Z_EN: 0
; COMPUTE_PGM_RSRC2:TIDIG_COMP_CNT: 0
; COMPUTE_PGM_RSRC3_GFX90A:ACCUM_OFFSET: 7
; COMPUTE_PGM_RSRC3_GFX90A:TG_SPLIT: 0
	.section	.text._ZN5aiter30swiglu_act_and_mul_bias_kernelIfthfLi2EEEvPT0_PKT_PKT1_PKT2_il,"axG",@progbits,_ZN5aiter30swiglu_act_and_mul_bias_kernelIfthfLi2EEEvPT0_PKT_PKT1_PKT2_il,comdat
	.protected	_ZN5aiter30swiglu_act_and_mul_bias_kernelIfthfLi2EEEvPT0_PKT_PKT1_PKT2_il ; -- Begin function _ZN5aiter30swiglu_act_and_mul_bias_kernelIfthfLi2EEEvPT0_PKT_PKT1_PKT2_il
	.globl	_ZN5aiter30swiglu_act_and_mul_bias_kernelIfthfLi2EEEvPT0_PKT_PKT1_PKT2_il
	.p2align	8
	.type	_ZN5aiter30swiglu_act_and_mul_bias_kernelIfthfLi2EEEvPT0_PKT_PKT1_PKT2_il,@function
_ZN5aiter30swiglu_act_and_mul_bias_kernelIfthfLi2EEEvPT0_PKT_PKT1_PKT2_il: ; @_ZN5aiter30swiglu_act_and_mul_bias_kernelIfthfLi2EEEvPT0_PKT_PKT1_PKT2_il
; %bb.0:
	s_load_dwordx2 s[4:5], s[0:1], 0x10
	s_load_dword s24, s[0:1], 0x20
	s_load_dwordx2 s[6:7], s[0:1], 0x28
	v_mov_b32_e32 v1, s2
	s_mov_b32 s9, 0
	s_waitcnt lgkmcnt(0)
	global_load_ubyte v1, v1, s[4:5]
	s_load_dwordx2 s[4:5], s[0:1], 0x0
	s_ashr_i32 s25, s24, 31
	s_mul_hi_u32 s3, s24, s2
	v_mov_b64_e32 v[4:5], s[6:7]
	s_mul_i32 s6, s25, s2
	s_mul_i32 s12, s24, s2
	s_add_i32 s13, s3, s6
	s_lshl_b64 s[6:7], s[12:13], 1
	s_mov_b64 s[10:11], -1
	v_lshlrev_b32_e32 v2, 1, v0
	s_waitcnt vmcnt(0)
	v_readfirstlane_b32 s3, v1
	s_and_b32 s8, s3, 0xffff
	s_waitcnt lgkmcnt(0)
	s_add_u32 s4, s4, s6
	s_addc_u32 s3, s5, s7
	s_add_i32 s6, s24, 1
	s_lshr_b32 s7, s6, 31
	s_add_i32 s6, s6, s7
	v_cmp_lt_i64_e32 vcc, s[8:9], v[4:5]
	s_and_b32 s5, s3, 0xffff
	s_lshl_b32 s3, s6, 1
	s_and_b32 s6, s3, -4
	s_cbranch_vccnz .LBB220_5
; %bb.1:
	v_cmp_gt_i32_e32 vcc, s24, v2
	s_and_saveexec_b64 s[10:11], vcc
	s_cbranch_execz .LBB220_4
; %bb.2:
	s_load_dword s3, s[0:1], 0x3c
	v_mov_b32_e32 v3, 0
	s_mov_b32 s13, 0
	v_lshlrev_b32_e32 v1, 2, v0
	s_mov_b64 s[14:15], 0
	s_waitcnt lgkmcnt(0)
	s_and_b32 s3, s3, 0xffff
	s_lshl_b32 s12, s3, 1
	s_lshl_b32 s3, s3, 2
	s_mov_b32 s7, 0x20000
	v_mov_b64_e32 v[4:5], v[2:3]
.LBB220_3:                              ; =>This Inner Loop Header: Depth=1
	v_lshl_add_u64 v[4:5], s[12:13], 0, v[4:5]
	v_cmp_le_i64_e32 vcc, s[24:25], v[4:5]
	buffer_store_dword v3, v1, s[4:7], 0 offen
	s_or_b64 s[14:15], vcc, s[14:15]
	v_add_u32_e32 v1, s3, v1
	s_andn2_b64 exec, exec, s[14:15]
	s_cbranch_execnz .LBB220_3
.LBB220_4:
	s_or_b64 exec, exec, s[10:11]
	s_mov_b64 s[10:11], 0
.LBB220_5:
	s_andn2_b64 vcc, exec, s[10:11]
	s_cbranch_vccnz .LBB220_9
; %bb.6:
	v_cmp_gt_i32_e32 vcc, s24, v2
	s_and_saveexec_b64 s[10:11], vcc
	s_cbranch_execz .LBB220_9
; %bb.7:
	s_load_dwordx2 s[14:15], s[0:1], 0x8
	s_load_dwordx2 s[12:13], s[0:1], 0x18
	s_mul_hi_i32 s9, s24, s8
	s_mul_i32 s8, s24, s8
	s_lshl_b32 s10, s24, 2
	s_lshl_b64 s[8:9], s[8:9], 3
	s_waitcnt lgkmcnt(0)
	s_add_u32 s8, s12, s8
	s_load_dword s18, s[0:1], 0x3c
	s_addc_u32 s3, s13, s9
	s_lshl_b64 s[0:1], s[24:25], 2
	s_add_u32 s12, s8, s0
	s_addc_u32 s13, s3, s1
	s_and_b32 s9, s3, 0xffff
	s_mul_i32 s3, s2, s25
	s_mul_hi_u32 s16, s2, s24
	s_add_i32 s3, s16, s3
	s_mul_i32 s2, s2, s24
	s_and_b32 s13, s13, 0xffff
	s_lshl_b64 s[2:3], s[2:3], 3
	s_add_u32 s16, s14, s2
	s_addc_u32 s2, s15, s3
	s_add_u32 s20, s16, s0
	s_addc_u32 s0, s2, s1
	s_mov_b32 s7, 0x20000
	s_and_b32 s21, s0, 0xffff
	s_waitcnt lgkmcnt(0)
	s_and_b32 s0, s18, 0xffff
	s_mov_b32 s11, s7
	s_and_b32 s17, s2, 0xffff
	s_mov_b32 s3, 0
	v_mov_b32_e32 v3, 0
	s_lshl_b32 s2, s0, 1
	v_lshlrev_b32_e32 v1, 2, v0
	s_lshl_b32 s28, s0, 2
	v_lshlrev_b32_e32 v0, 3, v0
	s_lshl_b32 s29, s0, 3
	s_mov_b64 s[26:27], 0
	s_mov_b32 s18, s10
	s_mov_b32 s19, s7
	;; [unrolled: 1-line block ×5, first 2 shown]
	v_mov_b32_e32 v4, 0x7f800000
	s_mov_b32 s34, 0xc0e00000
	v_mov_b32_e32 v5, 0x40e00000
	s_mov_b32 s35, 0x7060302
	s_mov_b32 s22, s10
	;; [unrolled: 1-line block ×3, first 2 shown]
.LBB220_8:                              ; =>This Inner Loop Header: Depth=1
	buffer_load_dwordx2 v[6:7], v0, s[16:19], 0 offen
	buffer_load_dwordx2 v[8:9], v0, s[20:23], 0 offen
	;; [unrolled: 1-line block ×3, first 2 shown]
	s_mov_b32 s14, s10
	s_mov_b32 s15, s11
	buffer_load_dwordx2 v[12:13], v0, s[12:15], 0 offen
	v_lshl_add_u64 v[2:3], s[2:3], 0, v[2:3]
	v_cmp_le_i64_e32 vcc, s[24:25], v[2:3]
	s_or_b64 s[26:27], vcc, s[26:27]
	v_add_u32_e32 v0, s29, v0
	s_waitcnt vmcnt(1)
	v_pk_add_f32 v[6:7], v[6:7], v[10:11]
	s_nop 0
	v_min_f32_e32 v7, 0x40e00000, v7
	v_min_f32_e32 v6, 0x40e00000, v6
	v_mul_f32_e32 v10, 0xbfd9db23, v6
	v_mul_f32_e32 v11, 0xbfd9db23, v7
	s_waitcnt vmcnt(0)
	v_pk_add_f32 v[8:9], v[8:9], v[12:13]
	v_mul_f32_e32 v12, 0x3fb8aa3b, v10
	v_mul_f32_e32 v13, 0x3fb8aa3b, v11
	v_fma_f32 v14, v10, s30, -v12
	v_rndne_f32_e32 v15, v12
	v_fma_f32 v16, v11, s30, -v13
	v_rndne_f32_e32 v17, v13
	v_fmac_f32_e32 v14, 0x32a5705f, v10
	v_sub_f32_e32 v12, v12, v15
	v_fmac_f32_e32 v16, 0x32a5705f, v11
	v_sub_f32_e32 v13, v13, v17
	v_add_f32_e32 v12, v12, v14
	v_add_f32_e32 v13, v13, v16
	v_cvt_i32_f32_e32 v15, v15
	v_cvt_i32_f32_e32 v17, v17
	v_exp_f32_e32 v12, v12
	v_exp_f32_e32 v13, v13
	v_cmp_ngt_f32_e32 vcc, s31, v11
	v_cmp_ngt_f32_e64 s[0:1], s31, v10
	v_ldexp_f32 v12, v12, v15
	v_ldexp_f32 v13, v13, v17
	v_cndmask_b32_e64 v12, 0, v12, s[0:1]
	v_cndmask_b32_e32 v13, 0, v13, vcc
	v_cmp_nlt_f32_e32 vcc, s33, v11
	v_cmp_nlt_f32_e64 s[0:1], s33, v10
	v_med3_f32 v9, v9, s34, v5
	v_cndmask_b32_e32 v11, v4, v13, vcc
	v_cndmask_b32_e64 v10, v4, v12, s[0:1]
	v_add_f32_e32 v10, 1.0, v10
	v_add_f32_e32 v11, 1.0, v11
	v_rcp_f32_e32 v10, v10
	v_rcp_f32_e32 v11, v11
	v_med3_f32 v8, v8, s34, v5
	v_pk_add_f32 v[8:9], v[8:9], 1.0 op_sel_hi:[1,0]
	v_pk_mul_f32 v[6:7], v[6:7], v[10:11]
	s_nop 0
	v_pk_mul_f32 v[6:7], v[8:9], v[6:7]
	s_nop 0
	v_perm_b32 v6, v7, v6, s35
	buffer_store_dword v6, v1, s[4:7], 0 offen
	v_add_u32_e32 v1, s28, v1
	s_andn2_b64 exec, exec, s[26:27]
	s_cbranch_execnz .LBB220_8
.LBB220_9:
	s_endpgm
	.section	.rodata,"a",@progbits
	.p2align	6, 0x0
	.amdhsa_kernel _ZN5aiter30swiglu_act_and_mul_bias_kernelIfthfLi2EEEvPT0_PKT_PKT1_PKT2_il
		.amdhsa_group_segment_fixed_size 0
		.amdhsa_private_segment_fixed_size 0
		.amdhsa_kernarg_size 304
		.amdhsa_user_sgpr_count 2
		.amdhsa_user_sgpr_dispatch_ptr 0
		.amdhsa_user_sgpr_queue_ptr 0
		.amdhsa_user_sgpr_kernarg_segment_ptr 1
		.amdhsa_user_sgpr_dispatch_id 0
		.amdhsa_user_sgpr_kernarg_preload_length 0
		.amdhsa_user_sgpr_kernarg_preload_offset 0
		.amdhsa_user_sgpr_private_segment_size 0
		.amdhsa_uses_dynamic_stack 0
		.amdhsa_enable_private_segment 0
		.amdhsa_system_sgpr_workgroup_id_x 1
		.amdhsa_system_sgpr_workgroup_id_y 0
		.amdhsa_system_sgpr_workgroup_id_z 0
		.amdhsa_system_sgpr_workgroup_info 0
		.amdhsa_system_vgpr_workitem_id 0
		.amdhsa_next_free_vgpr 18
		.amdhsa_next_free_sgpr 36
		.amdhsa_accum_offset 20
		.amdhsa_reserve_vcc 1
		.amdhsa_float_round_mode_32 0
		.amdhsa_float_round_mode_16_64 0
		.amdhsa_float_denorm_mode_32 3
		.amdhsa_float_denorm_mode_16_64 3
		.amdhsa_dx10_clamp 1
		.amdhsa_ieee_mode 1
		.amdhsa_fp16_overflow 0
		.amdhsa_tg_split 0
		.amdhsa_exception_fp_ieee_invalid_op 0
		.amdhsa_exception_fp_denorm_src 0
		.amdhsa_exception_fp_ieee_div_zero 0
		.amdhsa_exception_fp_ieee_overflow 0
		.amdhsa_exception_fp_ieee_underflow 0
		.amdhsa_exception_fp_ieee_inexact 0
		.amdhsa_exception_int_div_zero 0
	.end_amdhsa_kernel
	.section	.text._ZN5aiter30swiglu_act_and_mul_bias_kernelIfthfLi2EEEvPT0_PKT_PKT1_PKT2_il,"axG",@progbits,_ZN5aiter30swiglu_act_and_mul_bias_kernelIfthfLi2EEEvPT0_PKT_PKT1_PKT2_il,comdat
.Lfunc_end220:
	.size	_ZN5aiter30swiglu_act_and_mul_bias_kernelIfthfLi2EEEvPT0_PKT_PKT1_PKT2_il, .Lfunc_end220-_ZN5aiter30swiglu_act_and_mul_bias_kernelIfthfLi2EEEvPT0_PKT_PKT1_PKT2_il
                                        ; -- End function
	.section	.AMDGPU.csdata,"",@progbits
; Kernel info:
; codeLenInByte = 912
; NumSgprs: 42
; NumVgprs: 18
; NumAgprs: 0
; TotalNumVgprs: 18
; ScratchSize: 0
; MemoryBound: 0
; FloatMode: 240
; IeeeMode: 1
; LDSByteSize: 0 bytes/workgroup (compile time only)
; SGPRBlocks: 5
; VGPRBlocks: 2
; NumSGPRsForWavesPerEU: 42
; NumVGPRsForWavesPerEU: 18
; AccumOffset: 20
; Occupancy: 8
; WaveLimiterHint : 0
; COMPUTE_PGM_RSRC2:SCRATCH_EN: 0
; COMPUTE_PGM_RSRC2:USER_SGPR: 2
; COMPUTE_PGM_RSRC2:TRAP_HANDLER: 0
; COMPUTE_PGM_RSRC2:TGID_X_EN: 1
; COMPUTE_PGM_RSRC2:TGID_Y_EN: 0
; COMPUTE_PGM_RSRC2:TGID_Z_EN: 0
; COMPUTE_PGM_RSRC2:TIDIG_COMP_CNT: 0
; COMPUTE_PGM_RSRC3_GFX90A:ACCUM_OFFSET: 4
; COMPUTE_PGM_RSRC3_GFX90A:TG_SPLIT: 0
	.section	.text._ZN5aiter30swiglu_act_and_mul_bias_kernelIfthfLi1EEEvPT0_PKT_PKT1_PKT2_il,"axG",@progbits,_ZN5aiter30swiglu_act_and_mul_bias_kernelIfthfLi1EEEvPT0_PKT_PKT1_PKT2_il,comdat
	.protected	_ZN5aiter30swiglu_act_and_mul_bias_kernelIfthfLi1EEEvPT0_PKT_PKT1_PKT2_il ; -- Begin function _ZN5aiter30swiglu_act_and_mul_bias_kernelIfthfLi1EEEvPT0_PKT_PKT1_PKT2_il
	.globl	_ZN5aiter30swiglu_act_and_mul_bias_kernelIfthfLi1EEEvPT0_PKT_PKT1_PKT2_il
	.p2align	8
	.type	_ZN5aiter30swiglu_act_and_mul_bias_kernelIfthfLi1EEEvPT0_PKT_PKT1_PKT2_il,@function
_ZN5aiter30swiglu_act_and_mul_bias_kernelIfthfLi1EEEvPT0_PKT_PKT1_PKT2_il: ; @_ZN5aiter30swiglu_act_and_mul_bias_kernelIfthfLi1EEEvPT0_PKT_PKT1_PKT2_il
; %bb.0:
	s_load_dwordx2 s[4:5], s[0:1], 0x10
	s_load_dword s20, s[0:1], 0x20
	s_load_dwordx2 s[8:9], s[0:1], 0x28
	v_mov_b32_e32 v1, s2
	s_load_dwordx2 s[10:11], s[0:1], 0x0
	s_waitcnt lgkmcnt(0)
	global_load_ubyte v1, v1, s[4:5]
	s_ashr_i32 s21, s20, 31
	s_mul_hi_u32 s3, s20, s2
	v_mov_b64_e32 v[2:3], s[8:9]
	s_mul_i32 s8, s21, s2
	s_mul_i32 s14, s20, s2
	s_add_i32 s15, s3, s8
	s_lshl_b64 s[8:9], s[14:15], 1
	s_mov_b32 s13, 0
	s_mov_b64 s[6:7], -1
	v_cmp_gt_i32_e64 s[4:5], s20, v0
	s_waitcnt vmcnt(0)
	v_readfirstlane_b32 s3, v1
	s_and_b32 s12, s3, 0xffff
	s_add_u32 s8, s10, s8
	s_addc_u32 s3, s11, s9
	s_add_i32 s10, s20, 1
	s_lshr_b32 s11, s10, 31
	s_add_i32 s10, s10, s11
	v_cmp_lt_i64_e32 vcc, s[12:13], v[2:3]
	s_and_b32 s9, s3, 0xffff
	s_lshl_b32 s3, s10, 1
	s_and_b32 s10, s3, -4
	s_cbranch_vccnz .LBB221_5
; %bb.1:
	s_and_saveexec_b64 s[6:7], s[4:5]
	s_cbranch_execz .LBB221_4
; %bb.2:
	s_load_dword s3, s[0:1], 0x3c
	v_mov_b32_e32 v1, 0
	s_mov_b32 s5, 0
	v_lshlrev_b32_e32 v4, 1, v0
	s_mov_b64 s[14:15], 0
	s_waitcnt lgkmcnt(0)
	s_and_b32 s4, s3, 0xffff
	s_lshl_b32 s3, s4, 1
	s_mov_b32 s11, 0x20000
	v_mov_b64_e32 v[2:3], v[0:1]
.LBB221_3:                              ; =>This Inner Loop Header: Depth=1
	v_lshl_add_u64 v[2:3], v[2:3], 0, s[4:5]
	v_cmp_le_i64_e32 vcc, s[20:21], v[2:3]
	buffer_store_short v1, v4, s[8:11], 0 offen
	s_or_b64 s[14:15], vcc, s[14:15]
	v_add_u32_e32 v4, s3, v4
	s_andn2_b64 exec, exec, s[14:15]
	s_cbranch_execnz .LBB221_3
.LBB221_4:
	s_or_b64 exec, exec, s[6:7]
	s_mov_b64 s[6:7], 0
.LBB221_5:
	s_andn2_b64 vcc, exec, s[6:7]
	s_cbranch_vccnz .LBB221_9
; %bb.6:
	v_cmp_gt_i32_e32 vcc, s20, v0
	s_and_saveexec_b64 s[4:5], vcc
	s_cbranch_execz .LBB221_9
; %bb.7:
	s_load_dwordx2 s[14:15], s[0:1], 0x8
	s_load_dwordx2 s[4:5], s[0:1], 0x18
	s_mul_hi_i32 s13, s20, s12
	s_mul_i32 s12, s20, s12
	s_lshl_b32 s6, s20, 2
	s_lshl_b64 s[12:13], s[12:13], 3
	s_load_dword s18, s[0:1], 0x3c
	s_waitcnt lgkmcnt(0)
	s_add_u32 s0, s4, s12
	s_addc_u32 s1, s5, s13
	s_lshl_b64 s[16:17], s[20:21], 2
	s_add_u32 s4, s0, s16
	s_addc_u32 s3, s1, s17
	s_and_b32 s5, s3, 0xffff
	s_mul_i32 s3, s2, s21
	s_mul_hi_u32 s12, s2, s20
	s_add_i32 s3, s12, s3
	s_mul_i32 s2, s2, s20
	s_and_b32 s1, s1, 0xffff
	s_lshl_b64 s[2:3], s[2:3], 3
	s_add_u32 s12, s14, s2
	s_addc_u32 s2, s15, s3
	s_add_u32 s16, s12, s16
	s_mov_b32 s11, 0x20000
	s_addc_u32 s3, s2, s17
	s_and_b32 s22, s18, 0xffff
	s_mov_b32 s7, s11
	s_and_b32 s13, s2, 0xffff
	s_and_b32 s17, s3, 0xffff
	s_mov_b32 s23, 0
	v_mov_b32_e32 v1, 0
	v_lshlrev_b32_e32 v2, 1, v0
	s_lshl_b32 s26, s22, 1
	v_lshlrev_b32_e32 v3, 2, v0
	s_lshl_b32 s27, s22, 2
	s_mov_b64 s[24:25], 0
	s_mov_b32 s14, s6
	s_mov_b32 s15, s11
	;; [unrolled: 1-line block ×5, first 2 shown]
	v_mov_b32_e32 v4, 0x7f800000
	s_mov_b32 s18, s6
	s_mov_b32 s19, s11
	;; [unrolled: 1-line block ×4, first 2 shown]
.LBB221_8:                              ; =>This Inner Loop Header: Depth=1
	buffer_load_dword v5, v3, s[12:15], 0 offen
	buffer_load_dword v6, v3, s[16:19], 0 offen
	;; [unrolled: 1-line block ×4, first 2 shown]
	v_lshl_add_u64 v[0:1], v[0:1], 0, s[22:23]
	v_cmp_le_i64_e32 vcc, s[20:21], v[0:1]
	s_or_b64 s[24:25], vcc, s[24:25]
	v_add_u32_e32 v3, s27, v3
	s_waitcnt vmcnt(1)
	v_add_f32_e32 v5, v5, v7
	v_min_f32_e32 v5, 0x40e00000, v5
	v_mul_f32_e32 v7, 0xbfd9db23, v5
	s_waitcnt vmcnt(0)
	v_add_f32_e32 v6, v6, v8
	v_mul_f32_e32 v8, 0x3fb8aa3b, v7
	v_fma_f32 v9, v7, s28, -v8
	v_rndne_f32_e32 v10, v8
	v_fmac_f32_e32 v9, 0x32a5705f, v7
	v_sub_f32_e32 v8, v8, v10
	v_add_f32_e32 v8, v8, v9
	v_cvt_i32_f32_e32 v10, v10
	v_exp_f32_e32 v8, v8
	v_cmp_ngt_f32_e32 vcc, s29, v7
	v_max_f32_e32 v6, 0xc0e00000, v6
	v_min_f32_e32 v6, 0x40e00000, v6
	v_ldexp_f32 v8, v8, v10
	v_cndmask_b32_e32 v8, 0, v8, vcc
	v_cmp_nlt_f32_e32 vcc, s30, v7
	v_add_f32_e32 v6, 1.0, v6
	s_nop 0
	v_cndmask_b32_e32 v7, v4, v8, vcc
	v_add_f32_e32 v7, 1.0, v7
	v_rcp_f32_e32 v7, v7
	s_nop 0
	v_mul_f32_e32 v5, v5, v7
	v_mul_f32_e32 v5, v6, v5
	v_lshrrev_b32_e32 v5, 16, v5
	buffer_store_short v5, v2, s[8:11], 0 offen
	v_add_u32_e32 v2, s26, v2
	s_andn2_b64 exec, exec, s[24:25]
	s_cbranch_execnz .LBB221_8
.LBB221_9:
	s_endpgm
	.section	.rodata,"a",@progbits
	.p2align	6, 0x0
	.amdhsa_kernel _ZN5aiter30swiglu_act_and_mul_bias_kernelIfthfLi1EEEvPT0_PKT_PKT1_PKT2_il
		.amdhsa_group_segment_fixed_size 0
		.amdhsa_private_segment_fixed_size 0
		.amdhsa_kernarg_size 304
		.amdhsa_user_sgpr_count 2
		.amdhsa_user_sgpr_dispatch_ptr 0
		.amdhsa_user_sgpr_queue_ptr 0
		.amdhsa_user_sgpr_kernarg_segment_ptr 1
		.amdhsa_user_sgpr_dispatch_id 0
		.amdhsa_user_sgpr_kernarg_preload_length 0
		.amdhsa_user_sgpr_kernarg_preload_offset 0
		.amdhsa_user_sgpr_private_segment_size 0
		.amdhsa_uses_dynamic_stack 0
		.amdhsa_enable_private_segment 0
		.amdhsa_system_sgpr_workgroup_id_x 1
		.amdhsa_system_sgpr_workgroup_id_y 0
		.amdhsa_system_sgpr_workgroup_id_z 0
		.amdhsa_system_sgpr_workgroup_info 0
		.amdhsa_system_vgpr_workitem_id 0
		.amdhsa_next_free_vgpr 11
		.amdhsa_next_free_sgpr 31
		.amdhsa_accum_offset 12
		.amdhsa_reserve_vcc 1
		.amdhsa_float_round_mode_32 0
		.amdhsa_float_round_mode_16_64 0
		.amdhsa_float_denorm_mode_32 3
		.amdhsa_float_denorm_mode_16_64 3
		.amdhsa_dx10_clamp 1
		.amdhsa_ieee_mode 1
		.amdhsa_fp16_overflow 0
		.amdhsa_tg_split 0
		.amdhsa_exception_fp_ieee_invalid_op 0
		.amdhsa_exception_fp_denorm_src 0
		.amdhsa_exception_fp_ieee_div_zero 0
		.amdhsa_exception_fp_ieee_overflow 0
		.amdhsa_exception_fp_ieee_underflow 0
		.amdhsa_exception_fp_ieee_inexact 0
		.amdhsa_exception_int_div_zero 0
	.end_amdhsa_kernel
	.section	.text._ZN5aiter30swiglu_act_and_mul_bias_kernelIfthfLi1EEEvPT0_PKT_PKT1_PKT2_il,"axG",@progbits,_ZN5aiter30swiglu_act_and_mul_bias_kernelIfthfLi1EEEvPT0_PKT_PKT1_PKT2_il,comdat
.Lfunc_end221:
	.size	_ZN5aiter30swiglu_act_and_mul_bias_kernelIfthfLi1EEEvPT0_PKT_PKT1_PKT2_il, .Lfunc_end221-_ZN5aiter30swiglu_act_and_mul_bias_kernelIfthfLi1EEEvPT0_PKT_PKT1_PKT2_il
                                        ; -- End function
	.section	.AMDGPU.csdata,"",@progbits
; Kernel info:
; codeLenInByte = 736
; NumSgprs: 37
; NumVgprs: 11
; NumAgprs: 0
; TotalNumVgprs: 11
; ScratchSize: 0
; MemoryBound: 0
; FloatMode: 240
; IeeeMode: 1
; LDSByteSize: 0 bytes/workgroup (compile time only)
; SGPRBlocks: 4
; VGPRBlocks: 1
; NumSGPRsForWavesPerEU: 37
; NumVGPRsForWavesPerEU: 11
; AccumOffset: 12
; Occupancy: 8
; WaveLimiterHint : 0
; COMPUTE_PGM_RSRC2:SCRATCH_EN: 0
; COMPUTE_PGM_RSRC2:USER_SGPR: 2
; COMPUTE_PGM_RSRC2:TRAP_HANDLER: 0
; COMPUTE_PGM_RSRC2:TGID_X_EN: 1
; COMPUTE_PGM_RSRC2:TGID_Y_EN: 0
; COMPUTE_PGM_RSRC2:TGID_Z_EN: 0
; COMPUTE_PGM_RSRC2:TIDIG_COMP_CNT: 0
; COMPUTE_PGM_RSRC3_GFX90A:ACCUM_OFFSET: 2
; COMPUTE_PGM_RSRC3_GFX90A:TG_SPLIT: 0
	.section	.text._ZN5aiter30swiglu_act_and_mul_bias_kernelIfDF16_hfLi16EEEvPT0_PKT_PKT1_PKT2_il,"axG",@progbits,_ZN5aiter30swiglu_act_and_mul_bias_kernelIfDF16_hfLi16EEEvPT0_PKT_PKT1_PKT2_il,comdat
	.protected	_ZN5aiter30swiglu_act_and_mul_bias_kernelIfDF16_hfLi16EEEvPT0_PKT_PKT1_PKT2_il ; -- Begin function _ZN5aiter30swiglu_act_and_mul_bias_kernelIfDF16_hfLi16EEEvPT0_PKT_PKT1_PKT2_il
	.globl	_ZN5aiter30swiglu_act_and_mul_bias_kernelIfDF16_hfLi16EEEvPT0_PKT_PKT1_PKT2_il
	.p2align	8
	.type	_ZN5aiter30swiglu_act_and_mul_bias_kernelIfDF16_hfLi16EEEvPT0_PKT_PKT1_PKT2_il,@function
_ZN5aiter30swiglu_act_and_mul_bias_kernelIfDF16_hfLi16EEEvPT0_PKT_PKT1_PKT2_il: ; @_ZN5aiter30swiglu_act_and_mul_bias_kernelIfDF16_hfLi16EEEvPT0_PKT_PKT1_PKT2_il
; %bb.0:
	s_load_dwordx2 s[4:5], s[0:1], 0x10
	s_load_dword s64, s[0:1], 0x20
	s_load_dwordx2 s[8:9], s[0:1], 0x28
	v_mov_b32_e32 v1, s2
	s_load_dwordx2 s[10:11], s[0:1], 0x0
	s_waitcnt lgkmcnt(0)
	global_load_ubyte v1, v1, s[4:5]
	s_ashr_i32 s65, s64, 31
	s_mul_hi_u32 s3, s64, s2
	s_mul_i32 s4, s65, s2
	s_mul_i32 s12, s64, s2
	s_add_i32 s13, s3, s4
	v_mov_b64_e32 v[2:3], s[8:9]
	s_lshl_b64 s[8:9], s[12:13], 1
	s_mov_b32 s5, 0
	s_mov_b64 s[6:7], -1
	v_lshlrev_b32_e32 v36, 4, v0
	s_waitcnt vmcnt(0)
	v_readfirstlane_b32 s3, v1
	s_and_b32 s4, s3, 0xffff
	s_add_u32 s44, s10, s8
	v_cmp_lt_i64_e32 vcc, s[4:5], v[2:3]
	s_addc_u32 s3, s11, s9
	s_add_i32 s5, s64, 1
	s_lshr_b32 s8, s5, 31
	s_add_i32 s5, s5, s8
	s_and_b32 s45, s3, 0xffff
	s_lshl_b32 s3, s5, 1
	s_and_b32 s46, s3, -4
	s_cbranch_vccnz .LBB222_5
; %bb.1:
	v_cmp_gt_i32_e32 vcc, s64, v36
	s_and_saveexec_b64 s[6:7], vcc
	s_cbranch_execz .LBB222_4
; %bb.2:
	s_load_dword s3, s[0:1], 0x3c
	s_mov_b32 s9, 0
	s_mov_b32 s12, s9
	;; [unrolled: 1-line block ×3, first 2 shown]
	v_mov_b32_e32 v37, 0
	s_waitcnt lgkmcnt(0)
	s_and_b32 s3, s3, 0xffff
	s_mov_b32 s14, s9
	s_mov_b32 s15, s9
	v_mov_b64_e32 v[2:3], s[12:13]
	v_lshlrev_b32_e32 v1, 5, v0
	s_lshl_b32 s8, s3, 4
	s_lshl_b32 s3, s3, 5
	s_mov_b64 s[10:11], 0
	s_mov_b32 s47, 0x20000
	v_mov_b64_e32 v[4:5], s[14:15]
	v_mov_b64_e32 v[6:7], v[36:37]
.LBB222_3:                              ; =>This Inner Loop Header: Depth=1
	v_lshl_add_u64 v[6:7], s[8:9], 0, v[6:7]
	v_cmp_le_i64_e32 vcc, s[64:65], v[6:7]
	buffer_store_dwordx4 v[2:5], v1, s[44:47], 0 offen
	buffer_store_dwordx4 v[2:5], v1, s[44:47], 16 offen
	s_or_b64 s[10:11], vcc, s[10:11]
	v_add_u32_e32 v1, s3, v1
	s_andn2_b64 exec, exec, s[10:11]
	s_cbranch_execnz .LBB222_3
.LBB222_4:
	s_or_b64 exec, exec, s[6:7]
	s_mov_b64 s[6:7], 0
.LBB222_5:
	s_andn2_b64 vcc, exec, s[6:7]
	s_cbranch_vccnz .LBB222_9
; %bb.6:
	v_cmp_gt_i32_e32 vcc, s64, v36
	s_and_saveexec_b64 s[6:7], vcc
	s_cbranch_execz .LBB222_9
; %bb.7:
	s_load_dwordx2 s[6:7], s[0:1], 0x8
	s_load_dwordx2 s[8:9], s[0:1], 0x18
	s_mul_hi_i32 s5, s64, s4
	s_mul_i32 s4, s64, s4
	s_lshl_b32 s50, s64, 2
	s_lshl_b64 s[4:5], s[4:5], 3
	s_waitcnt lgkmcnt(0)
	s_add_u32 s52, s8, s4
	s_load_dword s10, s[0:1], 0x3c
	s_addc_u32 s3, s9, s5
	s_lshl_b64 s[0:1], s[64:65], 2
	s_add_u32 s48, s52, s0
	s_addc_u32 s4, s3, s1
	s_and_b32 s53, s3, 0xffff
	s_and_b32 s49, s4, 0xffff
	s_mul_i32 s3, s2, s65
	s_mul_hi_u32 s4, s2, s64
	s_add_i32 s3, s4, s3
	s_mul_i32 s2, s2, s64
	s_lshl_b64 s[2:3], s[2:3], 3
	s_add_u32 s56, s6, s2
	s_addc_u32 s2, s7, s3
	s_add_u32 s60, s56, s0
	s_addc_u32 s0, s2, s1
	s_mov_b32 s47, 0x20000
	s_and_b32 s61, s0, 0xffff
	s_waitcnt lgkmcnt(0)
	s_and_b32 s0, s10, 0xffff
	s_mov_b32 s51, s47
	s_and_b32 s57, s2, 0xffff
	s_mov_b32 s67, 0
	v_mov_b32_e32 v37, 0
	s_lshl_b32 s66, s0, 4
	v_lshlrev_b32_e32 v52, 5, v0
	s_lshl_b32 s33, s0, 5
	v_lshlrev_b32_e32 v53, 6, v0
	s_lshl_b32 s70, s0, 6
	s_mov_b64 s[68:69], 0
	s_mov_b32 s58, s50
	s_mov_b32 s59, s47
	;; [unrolled: 1-line block ×5, first 2 shown]
	v_mov_b32_e32 v54, 0x7f800000
	s_mov_b32 s74, 0xc0e00000
	v_mov_b32_e32 v55, 0x40e00000
	s_mov_b32 s62, s50
	s_mov_b32 s63, s47
	;; [unrolled: 1-line block ×4, first 2 shown]
.LBB222_8:                              ; =>This Inner Loop Header: Depth=1
	buffer_load_dwordx4 v[4:7], v53, s[56:59], 0 offen
	buffer_load_dwordx4 v[8:11], v53, s[52:55], 0 offen
	;; [unrolled: 1-line block ×11, first 2 shown]
	v_lshl_add_u64 v[36:37], s[66:67], 0, v[36:37]
	v_cmp_le_i64_e64 s[40:41], s[64:65], v[36:37]
	s_or_b64 s[68:69], s[40:41], s[68:69]
	s_waitcnt vmcnt(9)
	v_pk_add_f32 v[38:39], v[6:7], v[10:11]
	v_pk_add_f32 v[40:41], v[4:5], v[8:9]
	buffer_load_dwordx4 v[8:11], v53, s[60:63], 32 offen
	buffer_load_dwordx4 v[4:7], v53, s[60:63], 48 offen
	s_waitcnt vmcnt(7)
	v_pk_add_f32 v[34:35], v[30:31], v[34:35]
	v_pk_add_f32 v[32:33], v[28:29], v[32:33]
	buffer_load_dwordx4 v[28:31], v53, s[48:51], 32 offen
	s_waitcnt vmcnt(6)
	v_pk_add_f32 v[26:27], v[22:23], v[26:27]
	v_pk_add_f32 v[24:25], v[20:21], v[24:25]
	buffer_load_dwordx4 v[20:23], v53, s[52:55], 48 offen
	v_pk_add_f32 v[42:43], v[46:47], v[50:51]
	v_pk_add_f32 v[44:45], v[44:45], v[48:49]
	s_waitcnt vmcnt(5)
	v_pk_add_f32 v[46:47], v[14:15], v[18:19]
	v_pk_add_f32 v[48:49], v[12:13], v[16:17]
	buffer_load_dwordx4 v[12:15], v53, s[48:51], 48 offen
	v_med3_f32 v16, v24, s74, v55
	v_med3_f32 v18, v26, s74, v55
	;; [unrolled: 1-line block ×4, first 2 shown]
	v_pk_add_f32 v[16:17], v[16:17], 1.0 op_sel_hi:[1,0]
	v_pk_add_f32 v[18:19], v[18:19], 1.0 op_sel_hi:[1,0]
	v_add_u32_e32 v53, s70, v53
	s_waitcnt vmcnt(2)
	v_pk_add_f32 v[10:11], v[10:11], v[30:31]
	v_min_f32_e32 v30, 0x40e00000, v40
	v_pk_add_f32 v[8:9], v[8:9], v[28:29]
	s_waitcnt vmcnt(1)
	v_pk_add_f32 v[28:29], v[2:3], v[22:23]
	v_min_f32_e32 v31, 0x40e00000, v41
	v_min_f32_e32 v2, 0x40e00000, v32
	v_mul_f32_e32 v32, 0xbfd9db23, v30
	v_min_f32_e32 v3, 0x40e00000, v33
	s_waitcnt vmcnt(0)
	v_pk_add_f32 v[58:59], v[4:5], v[12:13]
	v_min_f32_e32 v5, 0x40e00000, v35
	v_mul_f32_e32 v33, 0xbfd9db23, v31
	v_mul_f32_e32 v35, 0x3fb8aa3b, v32
	v_pk_add_f32 v[56:57], v[0:1], v[20:21]
	v_pk_add_f32 v[50:51], v[6:7], v[14:15]
	v_min_f32_e32 v0, 0x40e00000, v38
	v_med3_f32 v14, v42, s74, v55
	v_mul_f32_e32 v38, 0x3fb8aa3b, v33
	v_fma_f32 v42, v32, s71, -v35
	v_cmp_ngt_f32_e64 s[8:9], s72, v32
	v_cmp_nlt_f32_e64 s[10:11], s73, v32
	v_fmac_f32_e32 v42, 0x32a5705f, v32
	v_fma_f32 v32, v33, s71, -v38
	v_cmp_ngt_f32_e64 s[12:13], s72, v33
	v_cmp_nlt_f32_e64 s[14:15], s73, v33
	v_fmac_f32_e32 v32, 0x32a5705f, v33
	v_rndne_f32_e32 v33, v35
	v_med3_f32 v15, v43, s74, v55
	v_sub_f32_e32 v35, v35, v33
	v_rndne_f32_e32 v43, v38
	v_add_f32_e32 v42, v35, v42
	v_sub_f32_e32 v35, v38, v43
	v_add_f32_e32 v32, v35, v32
	v_cvt_i32_f32_e32 v33, v33
	v_exp_f32_e32 v38, v42
	v_cvt_i32_f32_e32 v42, v43
	v_exp_f32_e32 v32, v32
	v_min_f32_e32 v1, 0x40e00000, v39
	v_ldexp_f32 v38, v38, v33
	v_cndmask_b32_e64 v38, 0, v38, s[8:9]
	v_ldexp_f32 v32, v32, v42
	v_cndmask_b32_e64 v32, 0, v32, s[12:13]
	v_cndmask_b32_e64 v38, v54, v38, s[10:11]
	;; [unrolled: 1-line block ×3, first 2 shown]
	v_add_f32_e32 v38, 1.0, v38
	v_add_f32_e32 v32, 1.0, v32
	v_med3_f32 v12, v44, s74, v55
	v_mul_f32_e32 v44, 0xbfd9db23, v1
	v_rcp_f32_e32 v42, v38
	v_rcp_f32_e32 v43, v32
	v_mul_f32_e32 v39, 0x3fb8aa3b, v44
	v_min_f32_e32 v7, 0x40e00000, v49
	v_med3_f32 v20, v8, s74, v55
	v_min_f32_e32 v8, 0x40e00000, v46
	v_med3_f32 v22, v10, s74, v55
	v_min_f32_e32 v10, 0x40e00000, v56
	v_mul_f32_e32 v46, 0xbfd9db23, v3
	v_fma_f32 v56, v44, s71, -v39
	v_cmp_ngt_f32_e64 s[36:37], s72, v44
	v_cmp_nlt_f32_e64 s[0:1], s73, v44
	v_mul_f32_e32 v35, 0x3fb8aa3b, v46
	v_fmac_f32_e32 v56, 0x32a5705f, v44
	v_mul_f32_e32 v44, 0xbfd9db23, v7
	v_med3_f32 v13, v45, s74, v55
	v_med3_f32 v26, v58, s74, v55
	v_min_f32_e32 v24, 0x40e00000, v28
	v_med3_f32 v28, v50, s74, v55
	v_mul_f32_e32 v45, 0xbfd9db23, v2
	v_mul_f32_e32 v58, 0xbfd9db23, v5
	v_pk_mul_f32 v[30:31], v[30:31], v[42:43]
	v_fma_f32 v50, v46, s71, -v35
	v_mul_f32_e32 v42, 0x3fb8aa3b, v44
	v_min_f32_e32 v4, 0x40e00000, v34
	v_mul_f32_e32 v34, 0x3fb8aa3b, v45
	v_cmp_ngt_f32_e64 s[30:31], s72, v46
	v_cmp_nlt_f32_e64 s[4:5], s73, v46
	v_mul_f32_e32 v38, 0x3fb8aa3b, v58
	v_fmac_f32_e32 v50, 0x32a5705f, v46
	v_fma_f32 v43, v44, s71, -v42
	v_mul_f32_e32 v46, 0xbfd9db23, v8
	v_min_f32_e32 v6, 0x40e00000, v48
	v_med3_f32 v21, v9, s74, v55
	v_min_f32_e32 v9, 0x40e00000, v47
	v_min_f32_e32 v25, 0x40e00000, v29
	v_med3_f32 v29, v51, s74, v55
	v_mul_f32_e32 v47, 0xbfd9db23, v4
	v_fma_f32 v51, v45, s71, -v34
	v_fma_f32 v48, v58, s71, -v38
	v_cmp_ngt_f32_e64 s[24:25], s72, v44
	v_cmp_nlt_f32_e64 s[12:13], s73, v44
	v_fmac_f32_e32 v43, 0x32a5705f, v44
	v_mul_f32_e32 v44, 0x3fb8aa3b, v46
	v_mul_f32_e32 v40, 0xbfd9db23, v0
	v_cmp_ngt_f32_e64 s[28:29], s72, v45
	v_cmp_nlt_f32_e64 s[2:3], s73, v45
	v_mul_f32_e32 v33, 0x3fb8aa3b, v47
	v_cmp_ngt_f32_e64 s[34:35], s72, v58
	v_cmp_nlt_f32_e64 s[8:9], s73, v58
	v_fmac_f32_e32 v51, 0x32a5705f, v45
	v_fmac_f32_e32 v48, 0x32a5705f, v58
	v_fma_f32 v45, v46, s71, -v44
	v_mul_f32_e32 v58, 0xbfd9db23, v9
	v_med3_f32 v27, v59, s74, v55
	v_mul_f32_e32 v59, 0xbfd9db23, v6
	v_mul_f32_e32 v41, 0x3fb8aa3b, v40
	v_fma_f32 v49, v47, s71, -v33
	v_cmp_ngt_f32_e64 s[22:23], s72, v46
	v_cmp_nlt_f32_e64 s[14:15], s73, v46
	v_fmac_f32_e32 v45, 0x32a5705f, v46
	v_mul_f32_e32 v46, 0x3fb8aa3b, v58
	v_med3_f32 v23, v11, s74, v55
	v_min_f32_e32 v11, 0x40e00000, v57
	v_cmp_ngt_f32_e64 s[26:27], s72, v47
	v_cmp_nlt_f32_e64 s[6:7], s73, v47
	v_mul_f32_e32 v32, 0x3fb8aa3b, v59
	v_fma_f32 v57, v40, s71, -v41
	v_fmac_f32_e32 v49, 0x32a5705f, v47
	v_fma_f32 v47, v58, s71, -v46
	v_cmp_ngt_f32_e64 s[38:39], s72, v40
	v_cmp_nlt_f32_e32 vcc, s73, v40
	v_fmac_f32_e32 v57, 0x32a5705f, v40
	v_fma_f32 v40, v59, s71, -v32
	v_cmp_ngt_f32_e64 s[20:21], s72, v58
	v_cmp_nlt_f32_e64 s[16:17], s73, v58
	v_fmac_f32_e32 v47, 0x32a5705f, v58
	v_mul_f32_e32 v58, 0xbfd9db23, v10
	v_cmp_ngt_f32_e64 s[18:19], s72, v59
	v_cmp_nlt_f32_e64 s[10:11], s73, v59
	v_fmac_f32_e32 v40, 0x32a5705f, v59
	v_mul_f32_e32 v59, 0x3fb8aa3b, v58
	v_fma_f32 v60, v58, s71, -v59
	v_cmp_ngt_f32_e64 s[42:43], s72, v58
	v_cmp_nlt_f32_e64 s[40:41], s73, v58
	v_fmac_f32_e32 v60, 0x32a5705f, v58
	v_rndne_f32_e32 v58, v41
	v_sub_f32_e32 v41, v41, v58
	v_add_f32_e32 v41, v41, v57
	v_cvt_i32_f32_e32 v57, v58
	v_rndne_f32_e32 v58, v39
	v_sub_f32_e32 v39, v39, v58
	v_add_f32_e32 v39, v39, v56
	v_cvt_i32_f32_e32 v56, v58
	v_exp_f32_e32 v39, v39
	v_exp_f32_e32 v41, v41
	v_pk_add_f32 v[12:13], v[12:13], 1.0 op_sel_hi:[1,0]
	v_pk_add_f32 v[14:15], v[14:15], 1.0 op_sel_hi:[1,0]
	v_ldexp_f32 v39, v39, v56
	v_mul_f32_e32 v56, 0xbfd9db23, v11
	v_ldexp_f32 v41, v41, v57
	v_mul_f32_e32 v57, 0x3fb8aa3b, v56
	v_fma_f32 v58, v56, s71, -v57
	v_cndmask_b32_e64 v41, 0, v41, s[38:39]
	v_cndmask_b32_e64 v39, 0, v39, s[36:37]
	v_cmp_ngt_f32_e64 s[38:39], s72, v56
	v_cmp_nlt_f32_e64 s[36:37], s73, v56
	v_fmac_f32_e32 v58, 0x32a5705f, v56
	v_rndne_f32_e32 v56, v34
	v_sub_f32_e32 v34, v34, v56
	v_add_f32_e32 v34, v34, v51
	v_cvt_i32_f32_e32 v51, v56
	v_rndne_f32_e32 v56, v35
	v_sub_f32_e32 v35, v35, v56
	v_add_f32_e32 v35, v35, v50
	v_cvt_i32_f32_e32 v50, v56
	v_exp_f32_e32 v35, v35
	v_exp_f32_e32 v34, v34
	v_cndmask_b32_e32 v41, v54, v41, vcc
	v_cndmask_b32_e64 v39, v54, v39, s[0:1]
	v_ldexp_f32 v35, v35, v50
	v_mul_f32_e32 v50, 0xbfd9db23, v24
	v_ldexp_f32 v34, v34, v51
	v_mul_f32_e32 v51, 0x3fb8aa3b, v50
	v_fma_f32 v56, v50, s71, -v51
	v_cndmask_b32_e64 v34, 0, v34, s[28:29]
	v_cndmask_b32_e64 v35, 0, v35, s[30:31]
	v_cmp_ngt_f32_e64 s[28:29], s72, v50
	v_cmp_nlt_f32_e64 s[30:31], s73, v50
	v_fmac_f32_e32 v56, 0x32a5705f, v50
	v_rndne_f32_e32 v50, v33
	v_sub_f32_e32 v33, v33, v50
	v_add_f32_e32 v33, v33, v49
	v_cvt_i32_f32_e32 v49, v50
	v_rndne_f32_e32 v50, v38
	v_sub_f32_e32 v38, v38, v50
	v_add_f32_e32 v38, v38, v48
	v_cvt_i32_f32_e32 v48, v50
	v_exp_f32_e32 v38, v38
	v_exp_f32_e32 v33, v33
	v_cndmask_b32_e64 v34, v54, v34, s[2:3]
	v_cndmask_b32_e64 v35, v54, v35, s[4:5]
	v_ldexp_f32 v38, v38, v48
	v_mul_f32_e32 v48, 0xbfd9db23, v25
	v_ldexp_f32 v33, v33, v49
	v_mul_f32_e32 v49, 0x3fb8aa3b, v48
	v_fma_f32 v50, v48, s71, -v49
	v_cndmask_b32_e64 v33, 0, v33, s[26:27]
	v_cndmask_b32_e64 v38, 0, v38, s[34:35]
	v_cmp_ngt_f32_e64 s[26:27], s72, v48
	v_cmp_nlt_f32_e64 s[34:35], s73, v48
	v_fmac_f32_e32 v50, 0x32a5705f, v48
	v_rndne_f32_e32 v48, v32
	v_sub_f32_e32 v32, v32, v48
	v_add_f32_e32 v32, v32, v40
	v_rndne_f32_e32 v40, v42
	v_sub_f32_e32 v42, v42, v40
	v_add_f32_e32 v42, v42, v43
	v_cvt_i32_f32_e32 v40, v40
	v_exp_f32_e32 v42, v42
	v_rndne_f32_e32 v43, v44
	v_sub_f32_e32 v44, v44, v43
	v_add_f32_e32 v44, v44, v45
	v_ldexp_f32 v40, v42, v40
	v_cvt_i32_f32_e32 v42, v43
	v_exp_f32_e32 v43, v44
	v_rndne_f32_e32 v45, v46
	v_sub_f32_e32 v46, v46, v45
	v_add_f32_e32 v46, v46, v47
	v_ldexp_f32 v42, v43, v42
	;; [unrolled: 6-line block ×4, first 2 shown]
	v_cvt_i32_f32_e32 v45, v60
	v_exp_f32_e32 v46, v57
	v_rndne_f32_e32 v58, v51
	v_sub_f32_e32 v51, v51, v58
	v_cvt_i32_f32_e32 v48, v48
	v_exp_f32_e32 v32, v32
	v_add_f32_e32 v51, v51, v56
	v_ldexp_f32 v45, v46, v45
	v_cvt_i32_f32_e32 v46, v58
	v_exp_f32_e32 v47, v51
	v_rndne_f32_e32 v56, v49
	v_ldexp_f32 v32, v32, v48
	v_sub_f32_e32 v48, v49, v56
	v_add_f32_e32 v48, v48, v50
	v_ldexp_f32 v46, v47, v46
	v_cvt_i32_f32_e32 v47, v56
	v_exp_f32_e32 v48, v48
	v_cndmask_b32_e64 v32, 0, v32, s[18:19]
	v_cndmask_b32_e64 v40, 0, v40, s[24:25]
	;; [unrolled: 1-line block ×3, first 2 shown]
	v_ldexp_f32 v47, v48, v47
	v_cndmask_b32_e64 v43, 0, v43, s[20:21]
	v_cndmask_b32_e64 v44, 0, v44, s[42:43]
	;; [unrolled: 1-line block ×15, first 2 shown]
	v_add_f32_e32 v41, 1.0, v41
	v_add_f32_e32 v39, 1.0, v39
	;; [unrolled: 1-line block ×14, first 2 shown]
	v_rcp_f32_e32 v32, v41
	v_rcp_f32_e32 v33, v39
	;; [unrolled: 1-line block ×14, first 2 shown]
	v_pk_mul_f32 v[0:1], v[0:1], v[32:33]
	v_pk_mul_f32 v[2:3], v[2:3], v[34:35]
	;; [unrolled: 1-line block ×3, first 2 shown]
	v_pk_add_f32 v[20:21], v[20:21], 1.0 op_sel_hi:[1,0]
	v_pk_add_f32 v[22:23], v[22:23], 1.0 op_sel_hi:[1,0]
	;; [unrolled: 1-line block ×4, first 2 shown]
	v_pk_mul_f32 v[6:7], v[6:7], v[40:41]
	v_pk_mul_f32 v[8:9], v[8:9], v[42:43]
	v_pk_mul_f32 v[10:11], v[10:11], v[44:45]
	v_pk_mul_f32 v[24:25], v[24:25], v[46:47]
	v_pk_mul_f32 v[12:13], v[12:13], v[30:31]
	v_pk_mul_f32 v[0:1], v[14:15], v[0:1]
	v_pk_mul_f32 v[2:3], v[16:17], v[2:3]
	v_pk_mul_f32 v[4:5], v[18:19], v[4:5]
	v_pk_mul_f32 v[6:7], v[20:21], v[6:7]
	v_pk_mul_f32 v[8:9], v[22:23], v[8:9]
	v_pk_mul_f32 v[10:11], v[26:27], v[10:11]
	v_pk_mul_f32 v[14:15], v[28:29], v[24:25]
	v_cvt_f16_f32_e32 v13, v13
	v_cvt_f16_f32_e32 v12, v12
	;; [unrolled: 1-line block ×16, first 2 shown]
	v_pack_b32_f16 v3, v4, v3
	v_pack_b32_f16 v1, v0, v1
	;; [unrolled: 1-line block ×8, first 2 shown]
	buffer_store_dwordx4 v[0:3], v52, s[44:47], 0 offen
	buffer_store_dwordx4 v[4:7], v52, s[44:47], 16 offen
	v_add_u32_e32 v52, s33, v52
	s_andn2_b64 exec, exec, s[68:69]
	s_cbranch_execnz .LBB222_8
.LBB222_9:
	s_endpgm
	.section	.rodata,"a",@progbits
	.p2align	6, 0x0
	.amdhsa_kernel _ZN5aiter30swiglu_act_and_mul_bias_kernelIfDF16_hfLi16EEEvPT0_PKT_PKT1_PKT2_il
		.amdhsa_group_segment_fixed_size 0
		.amdhsa_private_segment_fixed_size 0
		.amdhsa_kernarg_size 304
		.amdhsa_user_sgpr_count 2
		.amdhsa_user_sgpr_dispatch_ptr 0
		.amdhsa_user_sgpr_queue_ptr 0
		.amdhsa_user_sgpr_kernarg_segment_ptr 1
		.amdhsa_user_sgpr_dispatch_id 0
		.amdhsa_user_sgpr_kernarg_preload_length 0
		.amdhsa_user_sgpr_kernarg_preload_offset 0
		.amdhsa_user_sgpr_private_segment_size 0
		.amdhsa_uses_dynamic_stack 0
		.amdhsa_enable_private_segment 0
		.amdhsa_system_sgpr_workgroup_id_x 1
		.amdhsa_system_sgpr_workgroup_id_y 0
		.amdhsa_system_sgpr_workgroup_id_z 0
		.amdhsa_system_sgpr_workgroup_info 0
		.amdhsa_system_vgpr_workitem_id 0
		.amdhsa_next_free_vgpr 61
		.amdhsa_next_free_sgpr 75
		.amdhsa_accum_offset 64
		.amdhsa_reserve_vcc 1
		.amdhsa_float_round_mode_32 0
		.amdhsa_float_round_mode_16_64 0
		.amdhsa_float_denorm_mode_32 3
		.amdhsa_float_denorm_mode_16_64 3
		.amdhsa_dx10_clamp 1
		.amdhsa_ieee_mode 1
		.amdhsa_fp16_overflow 0
		.amdhsa_tg_split 0
		.amdhsa_exception_fp_ieee_invalid_op 0
		.amdhsa_exception_fp_denorm_src 0
		.amdhsa_exception_fp_ieee_div_zero 0
		.amdhsa_exception_fp_ieee_overflow 0
		.amdhsa_exception_fp_ieee_underflow 0
		.amdhsa_exception_fp_ieee_inexact 0
		.amdhsa_exception_int_div_zero 0
	.end_amdhsa_kernel
	.section	.text._ZN5aiter30swiglu_act_and_mul_bias_kernelIfDF16_hfLi16EEEvPT0_PKT_PKT1_PKT2_il,"axG",@progbits,_ZN5aiter30swiglu_act_and_mul_bias_kernelIfDF16_hfLi16EEEvPT0_PKT_PKT1_PKT2_il,comdat
.Lfunc_end222:
	.size	_ZN5aiter30swiglu_act_and_mul_bias_kernelIfDF16_hfLi16EEEvPT0_PKT_PKT1_PKT2_il, .Lfunc_end222-_ZN5aiter30swiglu_act_and_mul_bias_kernelIfDF16_hfLi16EEEvPT0_PKT_PKT1_PKT2_il
                                        ; -- End function
	.section	.AMDGPU.csdata,"",@progbits
; Kernel info:
; codeLenInByte = 3080
; NumSgprs: 81
; NumVgprs: 61
; NumAgprs: 0
; TotalNumVgprs: 61
; ScratchSize: 0
; MemoryBound: 0
; FloatMode: 240
; IeeeMode: 1
; LDSByteSize: 0 bytes/workgroup (compile time only)
; SGPRBlocks: 10
; VGPRBlocks: 7
; NumSGPRsForWavesPerEU: 81
; NumVGPRsForWavesPerEU: 61
; AccumOffset: 64
; Occupancy: 8
; WaveLimiterHint : 0
; COMPUTE_PGM_RSRC2:SCRATCH_EN: 0
; COMPUTE_PGM_RSRC2:USER_SGPR: 2
; COMPUTE_PGM_RSRC2:TRAP_HANDLER: 0
; COMPUTE_PGM_RSRC2:TGID_X_EN: 1
; COMPUTE_PGM_RSRC2:TGID_Y_EN: 0
; COMPUTE_PGM_RSRC2:TGID_Z_EN: 0
; COMPUTE_PGM_RSRC2:TIDIG_COMP_CNT: 0
; COMPUTE_PGM_RSRC3_GFX90A:ACCUM_OFFSET: 15
; COMPUTE_PGM_RSRC3_GFX90A:TG_SPLIT: 0
	.section	.text._ZN5aiter30swiglu_act_and_mul_bias_kernelIfDF16_hfLi8EEEvPT0_PKT_PKT1_PKT2_il,"axG",@progbits,_ZN5aiter30swiglu_act_and_mul_bias_kernelIfDF16_hfLi8EEEvPT0_PKT_PKT1_PKT2_il,comdat
	.protected	_ZN5aiter30swiglu_act_and_mul_bias_kernelIfDF16_hfLi8EEEvPT0_PKT_PKT1_PKT2_il ; -- Begin function _ZN5aiter30swiglu_act_and_mul_bias_kernelIfDF16_hfLi8EEEvPT0_PKT_PKT1_PKT2_il
	.globl	_ZN5aiter30swiglu_act_and_mul_bias_kernelIfDF16_hfLi8EEEvPT0_PKT_PKT1_PKT2_il
	.p2align	8
	.type	_ZN5aiter30swiglu_act_and_mul_bias_kernelIfDF16_hfLi8EEEvPT0_PKT_PKT1_PKT2_il,@function
_ZN5aiter30swiglu_act_and_mul_bias_kernelIfDF16_hfLi8EEEvPT0_PKT_PKT1_PKT2_il: ; @_ZN5aiter30swiglu_act_and_mul_bias_kernelIfDF16_hfLi8EEEvPT0_PKT_PKT1_PKT2_il
; %bb.0:
	s_load_dwordx2 s[4:5], s[0:1], 0x10
	s_load_dword s14, s[0:1], 0x20
	s_load_dwordx2 s[8:9], s[0:1], 0x28
	v_mov_b32_e32 v1, s2
	s_load_dwordx2 s[10:11], s[0:1], 0x0
	s_waitcnt lgkmcnt(0)
	global_load_ubyte v1, v1, s[4:5]
	s_ashr_i32 s15, s14, 31
	s_mul_hi_u32 s3, s14, s2
	s_mul_i32 s4, s15, s2
	s_mul_i32 s12, s14, s2
	s_add_i32 s13, s3, s4
	v_mov_b64_e32 v[2:3], s[8:9]
	s_lshl_b64 s[8:9], s[12:13], 1
	s_mov_b32 s5, 0
	s_mov_b64 s[6:7], -1
	v_lshlrev_b32_e32 v32, 3, v0
	s_waitcnt vmcnt(0)
	v_readfirstlane_b32 s3, v1
	s_and_b32 s4, s3, 0xffff
	s_add_u32 s16, s10, s8
	v_cmp_lt_i64_e32 vcc, s[4:5], v[2:3]
	s_addc_u32 s3, s11, s9
	s_add_i32 s5, s14, 1
	s_lshr_b32 s8, s5, 31
	s_add_i32 s5, s5, s8
	s_and_b32 s17, s3, 0xffff
	s_lshl_b32 s3, s5, 1
	s_and_b32 s18, s3, -4
	s_cbranch_vccnz .LBB223_5
; %bb.1:
	v_cmp_gt_i32_e32 vcc, s14, v32
	s_and_saveexec_b64 s[6:7], vcc
	s_cbranch_execz .LBB223_4
; %bb.2:
	s_load_dword s3, s[0:1], 0x3c
	v_mov_b32_e32 v33, 0
	s_mov_b32 s9, 0
	v_lshlrev_b32_e32 v1, 4, v0
	s_mov_b64 s[10:11], 0
	s_waitcnt lgkmcnt(0)
	s_and_b32 s3, s3, 0xffff
	s_lshl_b32 s8, s3, 3
	s_lshl_b32 s3, s3, 4
	s_mov_b32 s19, 0x20000
	v_mov_b32_e32 v2, v33
	v_mov_b32_e32 v3, v33
	;; [unrolled: 1-line block ×4, first 2 shown]
	v_mov_b64_e32 v[6:7], v[32:33]
.LBB223_3:                              ; =>This Inner Loop Header: Depth=1
	v_lshl_add_u64 v[6:7], s[8:9], 0, v[6:7]
	v_cmp_le_i64_e32 vcc, s[14:15], v[6:7]
	buffer_store_dwordx4 v[2:5], v1, s[16:19], 0 offen
	s_or_b64 s[10:11], vcc, s[10:11]
	v_add_u32_e32 v1, s3, v1
	s_andn2_b64 exec, exec, s[10:11]
	s_cbranch_execnz .LBB223_3
.LBB223_4:
	s_or_b64 exec, exec, s[6:7]
	s_mov_b64 s[6:7], 0
.LBB223_5:
	s_andn2_b64 vcc, exec, s[6:7]
	s_cbranch_vccnz .LBB223_9
; %bb.6:
	v_cmp_gt_i32_e32 vcc, s14, v32
	s_and_saveexec_b64 s[6:7], vcc
	s_cbranch_execz .LBB223_9
; %bb.7:
	s_load_dwordx2 s[6:7], s[0:1], 0x8
	s_load_dwordx2 s[8:9], s[0:1], 0x18
	s_mul_hi_i32 s5, s14, s4
	s_mul_i32 s4, s14, s4
	s_lshl_b32 s22, s14, 2
	s_lshl_b64 s[4:5], s[4:5], 3
	s_waitcnt lgkmcnt(0)
	s_add_u32 s24, s8, s4
	s_load_dword s10, s[0:1], 0x3c
	s_addc_u32 s3, s9, s5
	s_lshl_b64 s[0:1], s[14:15], 2
	s_add_u32 s20, s24, s0
	s_addc_u32 s4, s3, s1
	s_and_b32 s25, s3, 0xffff
	s_and_b32 s21, s4, 0xffff
	s_mul_i32 s3, s2, s15
	s_mul_hi_u32 s4, s2, s14
	s_add_i32 s3, s4, s3
	s_mul_i32 s2, s2, s14
	s_lshl_b64 s[2:3], s[2:3], 3
	s_add_u32 s28, s6, s2
	s_addc_u32 s2, s7, s3
	s_add_u32 s36, s28, s0
	s_addc_u32 s0, s2, s1
	s_mov_b32 s19, 0x20000
	s_and_b32 s37, s0, 0xffff
	s_waitcnt lgkmcnt(0)
	s_and_b32 s0, s10, 0xffff
	s_mov_b32 s23, s19
	s_and_b32 s29, s2, 0xffff
	s_mov_b32 s35, 0
	v_mov_b32_e32 v33, 0
	s_lshl_b32 s34, s0, 3
	v_lshlrev_b32_e32 v34, 4, v0
	s_lshl_b32 s33, s0, 4
	v_lshlrev_b32_e32 v35, 5, v0
	s_lshl_b32 s42, s0, 5
	s_mov_b64 s[40:41], 0
	s_mov_b32 s30, s22
	s_mov_b32 s31, s19
	;; [unrolled: 1-line block ×5, first 2 shown]
	v_mov_b32_e32 v36, 0x7f800000
	s_mov_b32 s46, 0xc0e00000
	v_mov_b32_e32 v37, 0x40e00000
	s_mov_b32 s38, s22
	s_mov_b32 s39, s19
	;; [unrolled: 1-line block ×4, first 2 shown]
.LBB223_8:                              ; =>This Inner Loop Header: Depth=1
	buffer_load_dwordx4 v[4:7], v35, s[24:27], 0 offen
	buffer_load_dwordx4 v[8:11], v35, s[28:31], 0 offen
	;; [unrolled: 1-line block ×8, first 2 shown]
	v_lshl_add_u64 v[32:33], s[34:35], 0, v[32:33]
	v_cmp_le_i64_e32 vcc, s[14:15], v[32:33]
	s_or_b64 s[40:41], vcc, s[40:41]
	v_add_u32_e32 v35, s42, v35
	s_waitcnt vmcnt(6)
	v_pk_add_f32 v[6:7], v[10:11], v[6:7]
	v_pk_add_f32 v[4:5], v[8:9], v[4:5]
	s_waitcnt vmcnt(4)
	v_pk_add_f32 v[8:9], v[2:3], v[26:27]
	v_pk_add_f32 v[2:3], v[0:1], v[24:25]
	;; [unrolled: 3-line block ×4, first 2 shown]
	v_min_f32_e32 v1, 0x40e00000, v5
	v_min_f32_e32 v0, 0x40e00000, v4
	v_med3_f32 v19, v3, s46, v37
	v_med3_f32 v18, v2, s46, v37
	v_min_f32_e32 v3, 0x40e00000, v7
	v_min_f32_e32 v2, 0x40e00000, v6
	v_med3_f32 v21, v9, s46, v37
	v_med3_f32 v20, v8, s46, v37
	v_min_f32_e32 v5, 0x40e00000, v13
	v_min_f32_e32 v4, 0x40e00000, v12
	;; [unrolled: 1-line block ×4, first 2 shown]
	v_med3_f32 v13, v17, s46, v37
	v_med3_f32 v12, v16, s46, v37
	v_mul_f32_e32 v16, 0xbfd9db23, v0
	v_mul_f32_e32 v17, 0xbfd9db23, v1
	v_pk_add_f32 v[8:9], v[18:19], 1.0 op_sel_hi:[1,0]
	v_mul_f32_e32 v18, 0xbfd9db23, v2
	v_mul_f32_e32 v19, 0xbfd9db23, v3
	v_pk_add_f32 v[10:11], v[20:21], 1.0 op_sel_hi:[1,0]
	v_mul_f32_e32 v20, 0xbfd9db23, v4
	v_mul_f32_e32 v21, 0xbfd9db23, v5
	;; [unrolled: 1-line block ×12, first 2 shown]
	v_fma_f32 v38, v16, s43, -v24
	v_rndne_f32_e32 v39, v24
	v_fma_f32 v40, v17, s43, -v25
	v_rndne_f32_e32 v41, v25
	;; [unrolled: 2-line block ×8, first 2 shown]
	v_fmac_f32_e32 v38, 0x32a5705f, v16
	v_sub_f32_e32 v24, v24, v39
	v_fmac_f32_e32 v40, 0x32a5705f, v17
	v_sub_f32_e32 v25, v25, v41
	;; [unrolled: 2-line block ×8, first 2 shown]
	v_add_f32_e32 v24, v24, v38
	v_add_f32_e32 v25, v25, v40
	;; [unrolled: 1-line block ×8, first 2 shown]
	v_cvt_i32_f32_e32 v39, v39
	v_cvt_i32_f32_e32 v41, v41
	;; [unrolled: 1-line block ×8, first 2 shown]
	v_exp_f32_e32 v24, v24
	v_exp_f32_e32 v25, v25
	v_exp_f32_e32 v26, v26
	v_exp_f32_e32 v27, v27
	v_exp_f32_e32 v28, v28
	v_exp_f32_e32 v29, v29
	v_exp_f32_e32 v30, v30
	v_exp_f32_e32 v31, v31
	v_ldexp_f32 v24, v24, v39
	v_ldexp_f32 v25, v25, v41
	v_cmp_ngt_f32_e32 vcc, s44, v17
	v_ldexp_f32 v26, v26, v43
	v_cmp_ngt_f32_e64 s[0:1], s44, v18
	v_ldexp_f32 v27, v27, v45
	v_cmp_ngt_f32_e64 s[2:3], s44, v19
	;; [unrolled: 2-line block ×6, first 2 shown]
	v_cmp_ngt_f32_e64 s[12:13], s44, v16
	v_cndmask_b32_e32 v25, 0, v25, vcc
	v_cmp_nlt_f32_e32 vcc, s45, v17
	v_cndmask_b32_e64 v24, 0, v24, s[12:13]
	v_cndmask_b32_e64 v17, 0, v26, s[0:1]
	v_cmp_nlt_f32_e64 s[0:1], s45, v18
	v_cndmask_b32_e64 v18, 0, v27, s[2:3]
	v_cmp_nlt_f32_e64 s[2:3], s45, v19
	;; [unrolled: 2-line block ×6, first 2 shown]
	v_cmp_nlt_f32_e64 s[12:13], s45, v16
	v_cndmask_b32_e32 v23, v36, v25, vcc
	v_cndmask_b32_e64 v17, v36, v17, s[0:1]
	v_cndmask_b32_e64 v16, v36, v24, s[12:13]
	;; [unrolled: 1-line block ×7, first 2 shown]
	v_add_f32_e32 v16, 1.0, v16
	v_add_f32_e32 v23, 1.0, v23
	;; [unrolled: 1-line block ×8, first 2 shown]
	v_rcp_f32_e32 v16, v16
	v_rcp_f32_e32 v17, v23
	;; [unrolled: 1-line block ×8, first 2 shown]
	v_med3_f32 v15, v15, s46, v37
	v_med3_f32 v14, v14, s46, v37
	v_pk_add_f32 v[12:13], v[12:13], 1.0 op_sel_hi:[1,0]
	v_pk_add_f32 v[14:15], v[14:15], 1.0 op_sel_hi:[1,0]
	v_pk_mul_f32 v[0:1], v[0:1], v[16:17]
	v_pk_mul_f32 v[2:3], v[2:3], v[18:19]
	;; [unrolled: 1-line block ×8, first 2 shown]
	v_cvt_f16_f32_e32 v8, v1
	v_cvt_f16_f32_e32 v1, v3
	;; [unrolled: 1-line block ×8, first 2 shown]
	v_pack_b32_f16 v3, v6, v3
	v_pack_b32_f16 v1, v2, v1
	;; [unrolled: 1-line block ×4, first 2 shown]
	buffer_store_dwordx4 v[0:3], v34, s[16:19], 0 offen
	v_add_u32_e32 v34, s33, v34
	s_andn2_b64 exec, exec, s[40:41]
	s_cbranch_execnz .LBB223_8
.LBB223_9:
	s_endpgm
	.section	.rodata,"a",@progbits
	.p2align	6, 0x0
	.amdhsa_kernel _ZN5aiter30swiglu_act_and_mul_bias_kernelIfDF16_hfLi8EEEvPT0_PKT_PKT1_PKT2_il
		.amdhsa_group_segment_fixed_size 0
		.amdhsa_private_segment_fixed_size 0
		.amdhsa_kernarg_size 304
		.amdhsa_user_sgpr_count 2
		.amdhsa_user_sgpr_dispatch_ptr 0
		.amdhsa_user_sgpr_queue_ptr 0
		.amdhsa_user_sgpr_kernarg_segment_ptr 1
		.amdhsa_user_sgpr_dispatch_id 0
		.amdhsa_user_sgpr_kernarg_preload_length 0
		.amdhsa_user_sgpr_kernarg_preload_offset 0
		.amdhsa_user_sgpr_private_segment_size 0
		.amdhsa_uses_dynamic_stack 0
		.amdhsa_enable_private_segment 0
		.amdhsa_system_sgpr_workgroup_id_x 1
		.amdhsa_system_sgpr_workgroup_id_y 0
		.amdhsa_system_sgpr_workgroup_id_z 0
		.amdhsa_system_sgpr_workgroup_info 0
		.amdhsa_system_vgpr_workitem_id 0
		.amdhsa_next_free_vgpr 54
		.amdhsa_next_free_sgpr 47
		.amdhsa_accum_offset 56
		.amdhsa_reserve_vcc 1
		.amdhsa_float_round_mode_32 0
		.amdhsa_float_round_mode_16_64 0
		.amdhsa_float_denorm_mode_32 3
		.amdhsa_float_denorm_mode_16_64 3
		.amdhsa_dx10_clamp 1
		.amdhsa_ieee_mode 1
		.amdhsa_fp16_overflow 0
		.amdhsa_tg_split 0
		.amdhsa_exception_fp_ieee_invalid_op 0
		.amdhsa_exception_fp_denorm_src 0
		.amdhsa_exception_fp_ieee_div_zero 0
		.amdhsa_exception_fp_ieee_overflow 0
		.amdhsa_exception_fp_ieee_underflow 0
		.amdhsa_exception_fp_ieee_inexact 0
		.amdhsa_exception_int_div_zero 0
	.end_amdhsa_kernel
	.section	.text._ZN5aiter30swiglu_act_and_mul_bias_kernelIfDF16_hfLi8EEEvPT0_PKT_PKT1_PKT2_il,"axG",@progbits,_ZN5aiter30swiglu_act_and_mul_bias_kernelIfDF16_hfLi8EEEvPT0_PKT_PKT1_PKT2_il,comdat
.Lfunc_end223:
	.size	_ZN5aiter30swiglu_act_and_mul_bias_kernelIfDF16_hfLi8EEEvPT0_PKT_PKT1_PKT2_il, .Lfunc_end223-_ZN5aiter30swiglu_act_and_mul_bias_kernelIfDF16_hfLi8EEEvPT0_PKT_PKT1_PKT2_il
                                        ; -- End function
	.section	.AMDGPU.csdata,"",@progbits
; Kernel info:
; codeLenInByte = 1816
; NumSgprs: 53
; NumVgprs: 54
; NumAgprs: 0
; TotalNumVgprs: 54
; ScratchSize: 0
; MemoryBound: 0
; FloatMode: 240
; IeeeMode: 1
; LDSByteSize: 0 bytes/workgroup (compile time only)
; SGPRBlocks: 6
; VGPRBlocks: 6
; NumSGPRsForWavesPerEU: 53
; NumVGPRsForWavesPerEU: 54
; AccumOffset: 56
; Occupancy: 8
; WaveLimiterHint : 0
; COMPUTE_PGM_RSRC2:SCRATCH_EN: 0
; COMPUTE_PGM_RSRC2:USER_SGPR: 2
; COMPUTE_PGM_RSRC2:TRAP_HANDLER: 0
; COMPUTE_PGM_RSRC2:TGID_X_EN: 1
; COMPUTE_PGM_RSRC2:TGID_Y_EN: 0
; COMPUTE_PGM_RSRC2:TGID_Z_EN: 0
; COMPUTE_PGM_RSRC2:TIDIG_COMP_CNT: 0
; COMPUTE_PGM_RSRC3_GFX90A:ACCUM_OFFSET: 13
; COMPUTE_PGM_RSRC3_GFX90A:TG_SPLIT: 0
	.section	.text._ZN5aiter30swiglu_act_and_mul_bias_kernelIfDF16_hfLi4EEEvPT0_PKT_PKT1_PKT2_il,"axG",@progbits,_ZN5aiter30swiglu_act_and_mul_bias_kernelIfDF16_hfLi4EEEvPT0_PKT_PKT1_PKT2_il,comdat
	.protected	_ZN5aiter30swiglu_act_and_mul_bias_kernelIfDF16_hfLi4EEEvPT0_PKT_PKT1_PKT2_il ; -- Begin function _ZN5aiter30swiglu_act_and_mul_bias_kernelIfDF16_hfLi4EEEvPT0_PKT_PKT1_PKT2_il
	.globl	_ZN5aiter30swiglu_act_and_mul_bias_kernelIfDF16_hfLi4EEEvPT0_PKT_PKT1_PKT2_il
	.p2align	8
	.type	_ZN5aiter30swiglu_act_and_mul_bias_kernelIfDF16_hfLi4EEEvPT0_PKT_PKT1_PKT2_il,@function
_ZN5aiter30swiglu_act_and_mul_bias_kernelIfDF16_hfLi4EEEvPT0_PKT_PKT1_PKT2_il: ; @_ZN5aiter30swiglu_act_and_mul_bias_kernelIfDF16_hfLi4EEEvPT0_PKT_PKT1_PKT2_il
; %bb.0:
	s_load_dwordx2 s[4:5], s[0:1], 0x10
	s_load_dword s28, s[0:1], 0x20
	s_load_dwordx2 s[8:9], s[0:1], 0x28
	v_mov_b32_e32 v1, s2
	s_load_dwordx2 s[10:11], s[0:1], 0x0
	s_waitcnt lgkmcnt(0)
	global_load_ubyte v1, v1, s[4:5]
	s_ashr_i32 s29, s28, 31
	s_mul_hi_u32 s3, s28, s2
	s_mul_i32 s4, s29, s2
	s_mul_i32 s12, s28, s2
	s_add_i32 s13, s3, s4
	v_mov_b64_e32 v[2:3], s[8:9]
	s_lshl_b64 s[8:9], s[12:13], 1
	s_mov_b32 s5, 0
	s_mov_b64 s[6:7], -1
	v_lshlrev_b32_e32 v16, 2, v0
	s_waitcnt vmcnt(0)
	v_readfirstlane_b32 s3, v1
	s_and_b32 s4, s3, 0xffff
	s_add_u32 s8, s10, s8
	v_cmp_lt_i64_e32 vcc, s[4:5], v[2:3]
	s_addc_u32 s3, s11, s9
	s_add_i32 s5, s28, 1
	s_lshr_b32 s10, s5, 31
	s_add_i32 s5, s5, s10
	s_and_b32 s9, s3, 0xffff
	s_lshl_b32 s3, s5, 1
	s_and_b32 s10, s3, -4
	s_cbranch_vccnz .LBB224_5
; %bb.1:
	v_cmp_gt_i32_e32 vcc, s28, v16
	s_and_saveexec_b64 s[6:7], vcc
	s_cbranch_execz .LBB224_4
; %bb.2:
	s_load_dword s3, s[0:1], 0x3c
	v_mov_b32_e32 v17, 0
	s_mov_b32 s13, 0
	v_lshlrev_b32_e32 v1, 3, v0
	s_mov_b64 s[14:15], 0
	s_waitcnt lgkmcnt(0)
	s_and_b32 s3, s3, 0xffff
	s_lshl_b32 s12, s3, 2
	s_lshl_b32 s3, s3, 3
	s_mov_b32 s11, 0x20000
	v_mov_b32_e32 v2, v17
	v_mov_b32_e32 v3, v17
	v_mov_b64_e32 v[4:5], v[16:17]
.LBB224_3:                              ; =>This Inner Loop Header: Depth=1
	v_lshl_add_u64 v[4:5], s[12:13], 0, v[4:5]
	v_cmp_le_i64_e32 vcc, s[28:29], v[4:5]
	buffer_store_dwordx2 v[2:3], v1, s[8:11], 0 offen
	s_or_b64 s[14:15], vcc, s[14:15]
	v_add_u32_e32 v1, s3, v1
	s_andn2_b64 exec, exec, s[14:15]
	s_cbranch_execnz .LBB224_3
.LBB224_4:
	s_or_b64 exec, exec, s[6:7]
	s_mov_b64 s[6:7], 0
.LBB224_5:
	s_andn2_b64 vcc, exec, s[6:7]
	s_cbranch_vccnz .LBB224_9
; %bb.6:
	v_cmp_gt_i32_e32 vcc, s28, v16
	s_and_saveexec_b64 s[6:7], vcc
	s_cbranch_execz .LBB224_9
; %bb.7:
	s_load_dwordx2 s[6:7], s[0:1], 0x8
	s_load_dwordx2 s[12:13], s[0:1], 0x18
	s_mul_hi_i32 s5, s28, s4
	s_mul_i32 s4, s28, s4
	s_lshl_b32 s14, s28, 2
	s_lshl_b64 s[4:5], s[4:5], 3
	s_waitcnt lgkmcnt(0)
	s_add_u32 s16, s12, s4
	s_load_dword s18, s[0:1], 0x3c
	s_addc_u32 s3, s13, s5
	s_lshl_b64 s[0:1], s[28:29], 2
	s_add_u32 s12, s16, s0
	s_addc_u32 s4, s3, s1
	s_and_b32 s17, s3, 0xffff
	s_and_b32 s13, s4, 0xffff
	s_mul_i32 s3, s2, s29
	s_mul_hi_u32 s4, s2, s28
	s_add_i32 s3, s4, s3
	s_mul_i32 s2, s2, s28
	s_lshl_b64 s[2:3], s[2:3], 3
	s_add_u32 s20, s6, s2
	s_addc_u32 s2, s7, s3
	s_add_u32 s24, s20, s0
	s_addc_u32 s0, s2, s1
	s_mov_b32 s11, 0x20000
	s_and_b32 s25, s0, 0xffff
	s_waitcnt lgkmcnt(0)
	s_and_b32 s0, s18, 0xffff
	s_mov_b32 s15, s11
	s_and_b32 s21, s2, 0xffff
	s_mov_b32 s31, 0
	v_mov_b32_e32 v17, 0
	s_lshl_b32 s30, s0, 2
	v_lshlrev_b32_e32 v18, 3, v0
	s_lshl_b32 s33, s0, 3
	v_lshlrev_b32_e32 v19, 4, v0
	s_lshl_b32 s36, s0, 4
	s_mov_b64 s[34:35], 0
	s_mov_b32 s22, s14
	s_mov_b32 s23, s11
	;; [unrolled: 1-line block ×5, first 2 shown]
	v_mov_b32_e32 v20, 0x7f800000
	s_mov_b32 s40, 0xc0e00000
	v_mov_b32_e32 v21, 0x40e00000
	s_mov_b32 s26, s14
	s_mov_b32 s27, s11
	;; [unrolled: 1-line block ×4, first 2 shown]
.LBB224_8:                              ; =>This Inner Loop Header: Depth=1
	buffer_load_dwordx4 v[4:7], v19, s[16:19], 0 offen
	buffer_load_dwordx4 v[8:11], v19, s[20:23], 0 offen
	;; [unrolled: 1-line block ×4, first 2 shown]
	v_lshl_add_u64 v[16:17], s[30:31], 0, v[16:17]
	v_cmp_le_i64_e32 vcc, s[28:29], v[16:17]
	v_add_u32_e32 v19, s36, v19
	s_or_b64 s[34:35], vcc, s[34:35]
	s_waitcnt vmcnt(2)
	v_pk_add_f32 v[6:7], v[10:11], v[6:7]
	v_pk_add_f32 v[4:5], v[8:9], v[4:5]
	v_min_f32_e32 v7, 0x40e00000, v7
	v_min_f32_e32 v5, 0x40e00000, v5
	;; [unrolled: 1-line block ×4, first 2 shown]
	v_mul_f32_e32 v8, 0xbfd9db23, v4
	v_mul_f32_e32 v9, 0xbfd9db23, v5
	v_mul_f32_e32 v10, 0xbfd9db23, v6
	v_mul_f32_e32 v11, 0xbfd9db23, v7
	s_waitcnt vmcnt(0)
	v_pk_add_f32 v[2:3], v[2:3], v[14:15]
	v_pk_add_f32 v[0:1], v[0:1], v[12:13]
	v_mul_f32_e32 v12, 0x3fb8aa3b, v8
	v_mul_f32_e32 v13, 0x3fb8aa3b, v9
	;; [unrolled: 1-line block ×4, first 2 shown]
	v_fma_f32 v22, v8, s37, -v12
	v_rndne_f32_e32 v23, v12
	v_fma_f32 v24, v9, s37, -v13
	v_rndne_f32_e32 v25, v13
	;; [unrolled: 2-line block ×4, first 2 shown]
	v_fmac_f32_e32 v22, 0x32a5705f, v8
	v_sub_f32_e32 v12, v12, v23
	v_fmac_f32_e32 v24, 0x32a5705f, v9
	v_sub_f32_e32 v13, v13, v25
	;; [unrolled: 2-line block ×4, first 2 shown]
	v_add_f32_e32 v12, v12, v22
	v_add_f32_e32 v13, v13, v24
	;; [unrolled: 1-line block ×4, first 2 shown]
	v_cvt_i32_f32_e32 v23, v23
	v_cvt_i32_f32_e32 v25, v25
	;; [unrolled: 1-line block ×4, first 2 shown]
	v_exp_f32_e32 v12, v12
	v_exp_f32_e32 v13, v13
	;; [unrolled: 1-line block ×4, first 2 shown]
	v_ldexp_f32 v12, v12, v23
	v_ldexp_f32 v13, v13, v25
	v_cmp_ngt_f32_e64 s[0:1], s38, v9
	v_ldexp_f32 v14, v14, v27
	v_cmp_ngt_f32_e64 s[2:3], s38, v10
	;; [unrolled: 2-line block ×3, first 2 shown]
	v_cmp_ngt_f32_e64 s[6:7], s38, v8
	v_cndmask_b32_e64 v13, 0, v13, s[0:1]
	v_cmp_nlt_f32_e64 s[0:1], s39, v9
	v_cndmask_b32_e64 v12, 0, v12, s[6:7]
	v_cndmask_b32_e64 v9, 0, v14, s[2:3]
	v_cmp_nlt_f32_e64 s[2:3], s39, v10
	v_cndmask_b32_e64 v10, 0, v15, s[4:5]
	v_cmp_nlt_f32_e64 s[4:5], s39, v11
	v_cmp_nlt_f32_e64 s[6:7], s39, v8
	v_cndmask_b32_e64 v11, v20, v13, s[0:1]
	v_cndmask_b32_e64 v9, v20, v9, s[2:3]
	;; [unrolled: 1-line block ×4, first 2 shown]
	v_add_f32_e32 v8, 1.0, v8
	v_add_f32_e32 v11, 1.0, v11
	;; [unrolled: 1-line block ×4, first 2 shown]
	v_rcp_f32_e32 v8, v8
	v_rcp_f32_e32 v9, v11
	;; [unrolled: 1-line block ×4, first 2 shown]
	v_med3_f32 v1, v1, s40, v21
	v_med3_f32 v0, v0, s40, v21
	;; [unrolled: 1-line block ×4, first 2 shown]
	v_pk_add_f32 v[0:1], v[0:1], 1.0 op_sel_hi:[1,0]
	v_pk_add_f32 v[2:3], v[2:3], 1.0 op_sel_hi:[1,0]
	v_pk_mul_f32 v[4:5], v[4:5], v[8:9]
	v_pk_mul_f32 v[6:7], v[6:7], v[10:11]
	v_pk_mul_f32 v[0:1], v[0:1], v[4:5]
	v_pk_mul_f32 v[2:3], v[2:3], v[6:7]
	v_cvt_f16_f32_e32 v4, v1
	v_cvt_f16_f32_e32 v1, v3
	v_cvt_f16_f32_e32 v2, v2
	v_cvt_f16_f32_e32 v0, v0
	v_pack_b32_f16 v1, v2, v1
	v_pack_b32_f16 v0, v0, v4
	buffer_store_dwordx2 v[0:1], v18, s[8:11], 0 offen
	v_add_u32_e32 v18, s33, v18
	s_andn2_b64 exec, exec, s[34:35]
	s_cbranch_execnz .LBB224_8
.LBB224_9:
	s_endpgm
	.section	.rodata,"a",@progbits
	.p2align	6, 0x0
	.amdhsa_kernel _ZN5aiter30swiglu_act_and_mul_bias_kernelIfDF16_hfLi4EEEvPT0_PKT_PKT1_PKT2_il
		.amdhsa_group_segment_fixed_size 0
		.amdhsa_private_segment_fixed_size 0
		.amdhsa_kernarg_size 304
		.amdhsa_user_sgpr_count 2
		.amdhsa_user_sgpr_dispatch_ptr 0
		.amdhsa_user_sgpr_queue_ptr 0
		.amdhsa_user_sgpr_kernarg_segment_ptr 1
		.amdhsa_user_sgpr_dispatch_id 0
		.amdhsa_user_sgpr_kernarg_preload_length 0
		.amdhsa_user_sgpr_kernarg_preload_offset 0
		.amdhsa_user_sgpr_private_segment_size 0
		.amdhsa_uses_dynamic_stack 0
		.amdhsa_enable_private_segment 0
		.amdhsa_system_sgpr_workgroup_id_x 1
		.amdhsa_system_sgpr_workgroup_id_y 0
		.amdhsa_system_sgpr_workgroup_id_z 0
		.amdhsa_system_sgpr_workgroup_info 0
		.amdhsa_system_vgpr_workitem_id 0
		.amdhsa_next_free_vgpr 30
		.amdhsa_next_free_sgpr 41
		.amdhsa_accum_offset 32
		.amdhsa_reserve_vcc 1
		.amdhsa_float_round_mode_32 0
		.amdhsa_float_round_mode_16_64 0
		.amdhsa_float_denorm_mode_32 3
		.amdhsa_float_denorm_mode_16_64 3
		.amdhsa_dx10_clamp 1
		.amdhsa_ieee_mode 1
		.amdhsa_fp16_overflow 0
		.amdhsa_tg_split 0
		.amdhsa_exception_fp_ieee_invalid_op 0
		.amdhsa_exception_fp_denorm_src 0
		.amdhsa_exception_fp_ieee_div_zero 0
		.amdhsa_exception_fp_ieee_overflow 0
		.amdhsa_exception_fp_ieee_underflow 0
		.amdhsa_exception_fp_ieee_inexact 0
		.amdhsa_exception_int_div_zero 0
	.end_amdhsa_kernel
	.section	.text._ZN5aiter30swiglu_act_and_mul_bias_kernelIfDF16_hfLi4EEEvPT0_PKT_PKT1_PKT2_il,"axG",@progbits,_ZN5aiter30swiglu_act_and_mul_bias_kernelIfDF16_hfLi4EEEvPT0_PKT_PKT1_PKT2_il,comdat
.Lfunc_end224:
	.size	_ZN5aiter30swiglu_act_and_mul_bias_kernelIfDF16_hfLi4EEEvPT0_PKT_PKT1_PKT2_il, .Lfunc_end224-_ZN5aiter30swiglu_act_and_mul_bias_kernelIfDF16_hfLi4EEEvPT0_PKT_PKT1_PKT2_il
                                        ; -- End function
	.section	.AMDGPU.csdata,"",@progbits
; Kernel info:
; codeLenInByte = 1208
; NumSgprs: 47
; NumVgprs: 30
; NumAgprs: 0
; TotalNumVgprs: 30
; ScratchSize: 0
; MemoryBound: 0
; FloatMode: 240
; IeeeMode: 1
; LDSByteSize: 0 bytes/workgroup (compile time only)
; SGPRBlocks: 5
; VGPRBlocks: 3
; NumSGPRsForWavesPerEU: 47
; NumVGPRsForWavesPerEU: 30
; AccumOffset: 32
; Occupancy: 8
; WaveLimiterHint : 0
; COMPUTE_PGM_RSRC2:SCRATCH_EN: 0
; COMPUTE_PGM_RSRC2:USER_SGPR: 2
; COMPUTE_PGM_RSRC2:TRAP_HANDLER: 0
; COMPUTE_PGM_RSRC2:TGID_X_EN: 1
; COMPUTE_PGM_RSRC2:TGID_Y_EN: 0
; COMPUTE_PGM_RSRC2:TGID_Z_EN: 0
; COMPUTE_PGM_RSRC2:TIDIG_COMP_CNT: 0
; COMPUTE_PGM_RSRC3_GFX90A:ACCUM_OFFSET: 7
; COMPUTE_PGM_RSRC3_GFX90A:TG_SPLIT: 0
	.section	.text._ZN5aiter30swiglu_act_and_mul_bias_kernelIfDF16_hfLi2EEEvPT0_PKT_PKT1_PKT2_il,"axG",@progbits,_ZN5aiter30swiglu_act_and_mul_bias_kernelIfDF16_hfLi2EEEvPT0_PKT_PKT1_PKT2_il,comdat
	.protected	_ZN5aiter30swiglu_act_and_mul_bias_kernelIfDF16_hfLi2EEEvPT0_PKT_PKT1_PKT2_il ; -- Begin function _ZN5aiter30swiglu_act_and_mul_bias_kernelIfDF16_hfLi2EEEvPT0_PKT_PKT1_PKT2_il
	.globl	_ZN5aiter30swiglu_act_and_mul_bias_kernelIfDF16_hfLi2EEEvPT0_PKT_PKT1_PKT2_il
	.p2align	8
	.type	_ZN5aiter30swiglu_act_and_mul_bias_kernelIfDF16_hfLi2EEEvPT0_PKT_PKT1_PKT2_il,@function
_ZN5aiter30swiglu_act_and_mul_bias_kernelIfDF16_hfLi2EEEvPT0_PKT_PKT1_PKT2_il: ; @_ZN5aiter30swiglu_act_and_mul_bias_kernelIfDF16_hfLi2EEEvPT0_PKT_PKT1_PKT2_il
; %bb.0:
	s_load_dwordx2 s[4:5], s[0:1], 0x10
	s_load_dword s24, s[0:1], 0x20
	s_load_dwordx2 s[6:7], s[0:1], 0x28
	v_mov_b32_e32 v1, s2
	s_mov_b32 s9, 0
	s_waitcnt lgkmcnt(0)
	global_load_ubyte v1, v1, s[4:5]
	s_load_dwordx2 s[4:5], s[0:1], 0x0
	s_ashr_i32 s25, s24, 31
	s_mul_hi_u32 s3, s24, s2
	v_mov_b64_e32 v[4:5], s[6:7]
	s_mul_i32 s6, s25, s2
	s_mul_i32 s12, s24, s2
	s_add_i32 s13, s3, s6
	s_lshl_b64 s[6:7], s[12:13], 1
	s_mov_b64 s[10:11], -1
	v_lshlrev_b32_e32 v2, 1, v0
	s_waitcnt vmcnt(0)
	v_readfirstlane_b32 s3, v1
	s_and_b32 s8, s3, 0xffff
	s_waitcnt lgkmcnt(0)
	s_add_u32 s4, s4, s6
	s_addc_u32 s3, s5, s7
	s_add_i32 s6, s24, 1
	s_lshr_b32 s7, s6, 31
	s_add_i32 s6, s6, s7
	v_cmp_lt_i64_e32 vcc, s[8:9], v[4:5]
	s_and_b32 s5, s3, 0xffff
	s_lshl_b32 s3, s6, 1
	s_and_b32 s6, s3, -4
	s_cbranch_vccnz .LBB225_5
; %bb.1:
	v_cmp_gt_i32_e32 vcc, s24, v2
	s_and_saveexec_b64 s[10:11], vcc
	s_cbranch_execz .LBB225_4
; %bb.2:
	s_load_dword s3, s[0:1], 0x3c
	v_mov_b32_e32 v3, 0
	s_mov_b32 s13, 0
	v_lshlrev_b32_e32 v1, 2, v0
	s_mov_b64 s[14:15], 0
	s_waitcnt lgkmcnt(0)
	s_and_b32 s3, s3, 0xffff
	s_lshl_b32 s12, s3, 1
	s_lshl_b32 s3, s3, 2
	s_mov_b32 s7, 0x20000
	v_mov_b64_e32 v[4:5], v[2:3]
.LBB225_3:                              ; =>This Inner Loop Header: Depth=1
	v_lshl_add_u64 v[4:5], s[12:13], 0, v[4:5]
	v_cmp_le_i64_e32 vcc, s[24:25], v[4:5]
	buffer_store_dword v3, v1, s[4:7], 0 offen
	s_or_b64 s[14:15], vcc, s[14:15]
	v_add_u32_e32 v1, s3, v1
	s_andn2_b64 exec, exec, s[14:15]
	s_cbranch_execnz .LBB225_3
.LBB225_4:
	s_or_b64 exec, exec, s[10:11]
	s_mov_b64 s[10:11], 0
.LBB225_5:
	s_andn2_b64 vcc, exec, s[10:11]
	s_cbranch_vccnz .LBB225_9
; %bb.6:
	v_cmp_gt_i32_e32 vcc, s24, v2
	s_and_saveexec_b64 s[10:11], vcc
	s_cbranch_execz .LBB225_9
; %bb.7:
	s_load_dwordx2 s[14:15], s[0:1], 0x8
	s_load_dwordx2 s[12:13], s[0:1], 0x18
	s_mul_hi_i32 s9, s24, s8
	s_mul_i32 s8, s24, s8
	s_lshl_b32 s10, s24, 2
	s_lshl_b64 s[8:9], s[8:9], 3
	s_waitcnt lgkmcnt(0)
	s_add_u32 s12, s12, s8
	s_load_dword s18, s[0:1], 0x3c
	s_addc_u32 s3, s13, s9
	s_lshl_b64 s[0:1], s[24:25], 2
	s_add_u32 s8, s12, s0
	s_addc_u32 s9, s3, s1
	s_and_b32 s13, s3, 0xffff
	s_mul_i32 s3, s2, s25
	s_mul_hi_u32 s16, s2, s24
	s_add_i32 s3, s16, s3
	s_mul_i32 s2, s2, s24
	s_and_b32 s9, s9, 0xffff
	s_lshl_b64 s[2:3], s[2:3], 3
	s_add_u32 s16, s14, s2
	s_addc_u32 s2, s15, s3
	s_add_u32 s20, s16, s0
	s_addc_u32 s0, s2, s1
	s_mov_b32 s7, 0x20000
	s_and_b32 s21, s0, 0xffff
	s_waitcnt lgkmcnt(0)
	s_and_b32 s0, s18, 0xffff
	s_mov_b32 s11, s7
	s_and_b32 s17, s2, 0xffff
	s_mov_b32 s3, 0
	v_mov_b32_e32 v3, 0
	s_lshl_b32 s2, s0, 1
	v_lshlrev_b32_e32 v1, 2, v0
	s_lshl_b32 s28, s0, 2
	v_lshlrev_b32_e32 v0, 3, v0
	s_lshl_b32 s29, s0, 3
	s_mov_b64 s[26:27], 0
	s_mov_b32 s18, s10
	s_mov_b32 s19, s7
	;; [unrolled: 1-line block ×5, first 2 shown]
	v_mov_b32_e32 v4, 0x7f800000
	s_mov_b32 s34, 0xc0e00000
	v_mov_b32_e32 v5, 0x40e00000
	s_mov_b32 s22, s10
	s_mov_b32 s23, s7
	;; [unrolled: 1-line block ×4, first 2 shown]
.LBB225_8:                              ; =>This Inner Loop Header: Depth=1
	buffer_load_dwordx2 v[6:7], v0, s[16:19], 0 offen
	buffer_load_dwordx2 v[8:9], v0, s[20:23], 0 offen
	;; [unrolled: 1-line block ×4, first 2 shown]
	v_lshl_add_u64 v[2:3], s[2:3], 0, v[2:3]
	v_add_u32_e32 v0, s29, v0
	s_waitcnt vmcnt(1)
	v_pk_add_f32 v[6:7], v[6:7], v[10:11]
	s_nop 0
	v_min_f32_e32 v7, 0x40e00000, v7
	v_min_f32_e32 v6, 0x40e00000, v6
	v_mul_f32_e32 v10, 0xbfd9db23, v6
	v_mul_f32_e32 v11, 0xbfd9db23, v7
	s_waitcnt vmcnt(0)
	v_pk_add_f32 v[8:9], v[8:9], v[12:13]
	v_mul_f32_e32 v12, 0x3fb8aa3b, v10
	v_mul_f32_e32 v13, 0x3fb8aa3b, v11
	v_fma_f32 v14, v10, s30, -v12
	v_rndne_f32_e32 v15, v12
	v_fma_f32 v16, v11, s30, -v13
	v_rndne_f32_e32 v17, v13
	v_fmac_f32_e32 v14, 0x32a5705f, v10
	v_sub_f32_e32 v12, v12, v15
	v_fmac_f32_e32 v16, 0x32a5705f, v11
	v_sub_f32_e32 v13, v13, v17
	v_add_f32_e32 v12, v12, v14
	v_add_f32_e32 v13, v13, v16
	v_cvt_i32_f32_e32 v15, v15
	v_cvt_i32_f32_e32 v17, v17
	v_exp_f32_e32 v12, v12
	v_exp_f32_e32 v13, v13
	v_cmp_ngt_f32_e32 vcc, s31, v11
	v_cmp_ngt_f32_e64 s[0:1], s31, v10
	v_ldexp_f32 v12, v12, v15
	v_ldexp_f32 v13, v13, v17
	v_cndmask_b32_e64 v12, 0, v12, s[0:1]
	v_cndmask_b32_e32 v13, 0, v13, vcc
	v_cmp_nlt_f32_e32 vcc, s33, v11
	v_cmp_nlt_f32_e64 s[0:1], s33, v10
	v_med3_f32 v9, v9, s34, v5
	v_cndmask_b32_e32 v11, v4, v13, vcc
	v_cndmask_b32_e64 v10, v4, v12, s[0:1]
	v_add_f32_e32 v10, 1.0, v10
	v_add_f32_e32 v11, 1.0, v11
	v_rcp_f32_e32 v10, v10
	v_rcp_f32_e32 v11, v11
	v_med3_f32 v8, v8, s34, v5
	v_pk_add_f32 v[8:9], v[8:9], 1.0 op_sel_hi:[1,0]
	v_cmp_le_i64_e32 vcc, s[24:25], v[2:3]
	v_pk_mul_f32 v[6:7], v[6:7], v[10:11]
	s_or_b64 s[26:27], vcc, s[26:27]
	v_pk_mul_f32 v[6:7], v[8:9], v[6:7]
	s_nop 0
	v_cvt_f16_f32_e32 v7, v7
	v_cvt_f16_f32_e32 v6, v6
	v_pack_b32_f16 v6, v6, v7
	buffer_store_dword v6, v1, s[4:7], 0 offen
	v_add_u32_e32 v1, s28, v1
	s_andn2_b64 exec, exec, s[26:27]
	s_cbranch_execnz .LBB225_8
.LBB225_9:
	s_endpgm
	.section	.rodata,"a",@progbits
	.p2align	6, 0x0
	.amdhsa_kernel _ZN5aiter30swiglu_act_and_mul_bias_kernelIfDF16_hfLi2EEEvPT0_PKT_PKT1_PKT2_il
		.amdhsa_group_segment_fixed_size 0
		.amdhsa_private_segment_fixed_size 0
		.amdhsa_kernarg_size 304
		.amdhsa_user_sgpr_count 2
		.amdhsa_user_sgpr_dispatch_ptr 0
		.amdhsa_user_sgpr_queue_ptr 0
		.amdhsa_user_sgpr_kernarg_segment_ptr 1
		.amdhsa_user_sgpr_dispatch_id 0
		.amdhsa_user_sgpr_kernarg_preload_length 0
		.amdhsa_user_sgpr_kernarg_preload_offset 0
		.amdhsa_user_sgpr_private_segment_size 0
		.amdhsa_uses_dynamic_stack 0
		.amdhsa_enable_private_segment 0
		.amdhsa_system_sgpr_workgroup_id_x 1
		.amdhsa_system_sgpr_workgroup_id_y 0
		.amdhsa_system_sgpr_workgroup_id_z 0
		.amdhsa_system_sgpr_workgroup_info 0
		.amdhsa_system_vgpr_workitem_id 0
		.amdhsa_next_free_vgpr 18
		.amdhsa_next_free_sgpr 35
		.amdhsa_accum_offset 20
		.amdhsa_reserve_vcc 1
		.amdhsa_float_round_mode_32 0
		.amdhsa_float_round_mode_16_64 0
		.amdhsa_float_denorm_mode_32 3
		.amdhsa_float_denorm_mode_16_64 3
		.amdhsa_dx10_clamp 1
		.amdhsa_ieee_mode 1
		.amdhsa_fp16_overflow 0
		.amdhsa_tg_split 0
		.amdhsa_exception_fp_ieee_invalid_op 0
		.amdhsa_exception_fp_denorm_src 0
		.amdhsa_exception_fp_ieee_div_zero 0
		.amdhsa_exception_fp_ieee_overflow 0
		.amdhsa_exception_fp_ieee_underflow 0
		.amdhsa_exception_fp_ieee_inexact 0
		.amdhsa_exception_int_div_zero 0
	.end_amdhsa_kernel
	.section	.text._ZN5aiter30swiglu_act_and_mul_bias_kernelIfDF16_hfLi2EEEvPT0_PKT_PKT1_PKT2_il,"axG",@progbits,_ZN5aiter30swiglu_act_and_mul_bias_kernelIfDF16_hfLi2EEEvPT0_PKT_PKT1_PKT2_il,comdat
.Lfunc_end225:
	.size	_ZN5aiter30swiglu_act_and_mul_bias_kernelIfDF16_hfLi2EEEvPT0_PKT_PKT1_PKT2_il, .Lfunc_end225-_ZN5aiter30swiglu_act_and_mul_bias_kernelIfDF16_hfLi2EEEvPT0_PKT_PKT1_PKT2_il
                                        ; -- End function
	.section	.AMDGPU.csdata,"",@progbits
; Kernel info:
; codeLenInByte = 908
; NumSgprs: 41
; NumVgprs: 18
; NumAgprs: 0
; TotalNumVgprs: 18
; ScratchSize: 0
; MemoryBound: 0
; FloatMode: 240
; IeeeMode: 1
; LDSByteSize: 0 bytes/workgroup (compile time only)
; SGPRBlocks: 5
; VGPRBlocks: 2
; NumSGPRsForWavesPerEU: 41
; NumVGPRsForWavesPerEU: 18
; AccumOffset: 20
; Occupancy: 8
; WaveLimiterHint : 0
; COMPUTE_PGM_RSRC2:SCRATCH_EN: 0
; COMPUTE_PGM_RSRC2:USER_SGPR: 2
; COMPUTE_PGM_RSRC2:TRAP_HANDLER: 0
; COMPUTE_PGM_RSRC2:TGID_X_EN: 1
; COMPUTE_PGM_RSRC2:TGID_Y_EN: 0
; COMPUTE_PGM_RSRC2:TGID_Z_EN: 0
; COMPUTE_PGM_RSRC2:TIDIG_COMP_CNT: 0
; COMPUTE_PGM_RSRC3_GFX90A:ACCUM_OFFSET: 4
; COMPUTE_PGM_RSRC3_GFX90A:TG_SPLIT: 0
	.section	.text._ZN5aiter30swiglu_act_and_mul_bias_kernelIfDF16_hfLi1EEEvPT0_PKT_PKT1_PKT2_il,"axG",@progbits,_ZN5aiter30swiglu_act_and_mul_bias_kernelIfDF16_hfLi1EEEvPT0_PKT_PKT1_PKT2_il,comdat
	.protected	_ZN5aiter30swiglu_act_and_mul_bias_kernelIfDF16_hfLi1EEEvPT0_PKT_PKT1_PKT2_il ; -- Begin function _ZN5aiter30swiglu_act_and_mul_bias_kernelIfDF16_hfLi1EEEvPT0_PKT_PKT1_PKT2_il
	.globl	_ZN5aiter30swiglu_act_and_mul_bias_kernelIfDF16_hfLi1EEEvPT0_PKT_PKT1_PKT2_il
	.p2align	8
	.type	_ZN5aiter30swiglu_act_and_mul_bias_kernelIfDF16_hfLi1EEEvPT0_PKT_PKT1_PKT2_il,@function
_ZN5aiter30swiglu_act_and_mul_bias_kernelIfDF16_hfLi1EEEvPT0_PKT_PKT1_PKT2_il: ; @_ZN5aiter30swiglu_act_and_mul_bias_kernelIfDF16_hfLi1EEEvPT0_PKT_PKT1_PKT2_il
; %bb.0:
	s_load_dwordx2 s[4:5], s[0:1], 0x10
	s_load_dword s20, s[0:1], 0x20
	s_load_dwordx2 s[8:9], s[0:1], 0x28
	v_mov_b32_e32 v1, s2
	s_load_dwordx2 s[10:11], s[0:1], 0x0
	s_waitcnt lgkmcnt(0)
	global_load_ubyte v1, v1, s[4:5]
	s_ashr_i32 s21, s20, 31
	s_mul_hi_u32 s3, s20, s2
	v_mov_b64_e32 v[2:3], s[8:9]
	s_mul_i32 s8, s21, s2
	s_mul_i32 s14, s20, s2
	s_add_i32 s15, s3, s8
	s_lshl_b64 s[8:9], s[14:15], 1
	s_mov_b32 s13, 0
	s_mov_b64 s[6:7], -1
	v_cmp_gt_i32_e64 s[4:5], s20, v0
	s_waitcnt vmcnt(0)
	v_readfirstlane_b32 s3, v1
	s_and_b32 s12, s3, 0xffff
	s_add_u32 s8, s10, s8
	s_addc_u32 s3, s11, s9
	s_add_i32 s10, s20, 1
	s_lshr_b32 s11, s10, 31
	s_add_i32 s10, s10, s11
	v_cmp_lt_i64_e32 vcc, s[12:13], v[2:3]
	s_and_b32 s9, s3, 0xffff
	s_lshl_b32 s3, s10, 1
	s_and_b32 s10, s3, -4
	s_cbranch_vccnz .LBB226_5
; %bb.1:
	s_and_saveexec_b64 s[6:7], s[4:5]
	s_cbranch_execz .LBB226_4
; %bb.2:
	s_load_dword s3, s[0:1], 0x3c
	v_mov_b32_e32 v1, 0
	s_mov_b32 s5, 0
	v_lshlrev_b32_e32 v4, 1, v0
	s_mov_b64 s[14:15], 0
	s_waitcnt lgkmcnt(0)
	s_and_b32 s4, s3, 0xffff
	s_lshl_b32 s3, s4, 1
	s_mov_b32 s11, 0x20000
	v_mov_b64_e32 v[2:3], v[0:1]
.LBB226_3:                              ; =>This Inner Loop Header: Depth=1
	v_lshl_add_u64 v[2:3], v[2:3], 0, s[4:5]
	v_cmp_le_i64_e32 vcc, s[20:21], v[2:3]
	buffer_store_short v1, v4, s[8:11], 0 offen
	s_or_b64 s[14:15], vcc, s[14:15]
	v_add_u32_e32 v4, s3, v4
	s_andn2_b64 exec, exec, s[14:15]
	s_cbranch_execnz .LBB226_3
.LBB226_4:
	s_or_b64 exec, exec, s[6:7]
	s_mov_b64 s[6:7], 0
.LBB226_5:
	s_andn2_b64 vcc, exec, s[6:7]
	s_cbranch_vccnz .LBB226_9
; %bb.6:
	v_cmp_gt_i32_e32 vcc, s20, v0
	s_and_saveexec_b64 s[4:5], vcc
	s_cbranch_execz .LBB226_9
; %bb.7:
	s_load_dwordx2 s[14:15], s[0:1], 0x8
	s_load_dwordx2 s[4:5], s[0:1], 0x18
	s_mul_hi_i32 s13, s20, s12
	s_mul_i32 s12, s20, s12
	s_lshl_b32 s6, s20, 2
	s_lshl_b64 s[12:13], s[12:13], 3
	s_load_dword s18, s[0:1], 0x3c
	s_waitcnt lgkmcnt(0)
	s_add_u32 s0, s4, s12
	s_addc_u32 s1, s5, s13
	s_lshl_b64 s[16:17], s[20:21], 2
	s_add_u32 s4, s0, s16
	s_addc_u32 s3, s1, s17
	s_and_b32 s5, s3, 0xffff
	s_mul_i32 s3, s2, s21
	s_mul_hi_u32 s12, s2, s20
	s_add_i32 s3, s12, s3
	s_mul_i32 s2, s2, s20
	s_and_b32 s1, s1, 0xffff
	s_lshl_b64 s[2:3], s[2:3], 3
	s_add_u32 s12, s14, s2
	s_addc_u32 s2, s15, s3
	s_add_u32 s16, s12, s16
	s_mov_b32 s11, 0x20000
	s_addc_u32 s3, s2, s17
	s_and_b32 s22, s18, 0xffff
	s_mov_b32 s7, s11
	s_and_b32 s13, s2, 0xffff
	s_and_b32 s17, s3, 0xffff
	s_mov_b32 s23, 0
	v_mov_b32_e32 v1, 0
	v_lshlrev_b32_e32 v2, 1, v0
	s_lshl_b32 s26, s22, 1
	v_lshlrev_b32_e32 v3, 2, v0
	s_lshl_b32 s27, s22, 2
	s_mov_b64 s[24:25], 0
	s_mov_b32 s14, s6
	s_mov_b32 s15, s11
	;; [unrolled: 1-line block ×5, first 2 shown]
	v_mov_b32_e32 v4, 0x7f800000
	s_mov_b32 s18, s6
	s_mov_b32 s19, s11
	;; [unrolled: 1-line block ×4, first 2 shown]
.LBB226_8:                              ; =>This Inner Loop Header: Depth=1
	buffer_load_dword v5, v3, s[12:15], 0 offen
	buffer_load_dword v6, v3, s[16:19], 0 offen
	;; [unrolled: 1-line block ×4, first 2 shown]
	v_lshl_add_u64 v[0:1], v[0:1], 0, s[22:23]
	v_cmp_le_i64_e32 vcc, s[20:21], v[0:1]
	s_or_b64 s[24:25], vcc, s[24:25]
	v_add_u32_e32 v3, s27, v3
	s_waitcnt vmcnt(1)
	v_add_f32_e32 v5, v5, v7
	v_min_f32_e32 v5, 0x40e00000, v5
	v_mul_f32_e32 v7, 0xbfd9db23, v5
	s_waitcnt vmcnt(0)
	v_add_f32_e32 v6, v6, v8
	v_mul_f32_e32 v8, 0x3fb8aa3b, v7
	v_fma_f32 v9, v7, s28, -v8
	v_rndne_f32_e32 v10, v8
	v_fmac_f32_e32 v9, 0x32a5705f, v7
	v_sub_f32_e32 v8, v8, v10
	v_add_f32_e32 v8, v8, v9
	v_cvt_i32_f32_e32 v10, v10
	v_exp_f32_e32 v8, v8
	v_cmp_ngt_f32_e32 vcc, s29, v7
	v_max_f32_e32 v6, 0xc0e00000, v6
	v_min_f32_e32 v6, 0x40e00000, v6
	v_ldexp_f32 v8, v8, v10
	v_cndmask_b32_e32 v8, 0, v8, vcc
	v_cmp_nlt_f32_e32 vcc, s30, v7
	v_add_f32_e32 v6, 1.0, v6
	s_nop 0
	v_cndmask_b32_e32 v7, v4, v8, vcc
	v_add_f32_e32 v7, 1.0, v7
	v_rcp_f32_e32 v7, v7
	s_nop 0
	v_mul_f32_e32 v5, v5, v7
	v_fma_mixlo_f16 v5, v6, v5, 0
	buffer_store_short v5, v2, s[8:11], 0 offen
	v_add_u32_e32 v2, s26, v2
	s_andn2_b64 exec, exec, s[24:25]
	s_cbranch_execnz .LBB226_8
.LBB226_9:
	s_endpgm
	.section	.rodata,"a",@progbits
	.p2align	6, 0x0
	.amdhsa_kernel _ZN5aiter30swiglu_act_and_mul_bias_kernelIfDF16_hfLi1EEEvPT0_PKT_PKT1_PKT2_il
		.amdhsa_group_segment_fixed_size 0
		.amdhsa_private_segment_fixed_size 0
		.amdhsa_kernarg_size 304
		.amdhsa_user_sgpr_count 2
		.amdhsa_user_sgpr_dispatch_ptr 0
		.amdhsa_user_sgpr_queue_ptr 0
		.amdhsa_user_sgpr_kernarg_segment_ptr 1
		.amdhsa_user_sgpr_dispatch_id 0
		.amdhsa_user_sgpr_kernarg_preload_length 0
		.amdhsa_user_sgpr_kernarg_preload_offset 0
		.amdhsa_user_sgpr_private_segment_size 0
		.amdhsa_uses_dynamic_stack 0
		.amdhsa_enable_private_segment 0
		.amdhsa_system_sgpr_workgroup_id_x 1
		.amdhsa_system_sgpr_workgroup_id_y 0
		.amdhsa_system_sgpr_workgroup_id_z 0
		.amdhsa_system_sgpr_workgroup_info 0
		.amdhsa_system_vgpr_workitem_id 0
		.amdhsa_next_free_vgpr 11
		.amdhsa_next_free_sgpr 31
		.amdhsa_accum_offset 12
		.amdhsa_reserve_vcc 1
		.amdhsa_float_round_mode_32 0
		.amdhsa_float_round_mode_16_64 0
		.amdhsa_float_denorm_mode_32 3
		.amdhsa_float_denorm_mode_16_64 3
		.amdhsa_dx10_clamp 1
		.amdhsa_ieee_mode 1
		.amdhsa_fp16_overflow 0
		.amdhsa_tg_split 0
		.amdhsa_exception_fp_ieee_invalid_op 0
		.amdhsa_exception_fp_denorm_src 0
		.amdhsa_exception_fp_ieee_div_zero 0
		.amdhsa_exception_fp_ieee_overflow 0
		.amdhsa_exception_fp_ieee_underflow 0
		.amdhsa_exception_fp_ieee_inexact 0
		.amdhsa_exception_int_div_zero 0
	.end_amdhsa_kernel
	.section	.text._ZN5aiter30swiglu_act_and_mul_bias_kernelIfDF16_hfLi1EEEvPT0_PKT_PKT1_PKT2_il,"axG",@progbits,_ZN5aiter30swiglu_act_and_mul_bias_kernelIfDF16_hfLi1EEEvPT0_PKT_PKT1_PKT2_il,comdat
.Lfunc_end226:
	.size	_ZN5aiter30swiglu_act_and_mul_bias_kernelIfDF16_hfLi1EEEvPT0_PKT_PKT1_PKT2_il, .Lfunc_end226-_ZN5aiter30swiglu_act_and_mul_bias_kernelIfDF16_hfLi1EEEvPT0_PKT_PKT1_PKT2_il
                                        ; -- End function
	.section	.AMDGPU.csdata,"",@progbits
; Kernel info:
; codeLenInByte = 736
; NumSgprs: 37
; NumVgprs: 11
; NumAgprs: 0
; TotalNumVgprs: 11
; ScratchSize: 0
; MemoryBound: 0
; FloatMode: 240
; IeeeMode: 1
; LDSByteSize: 0 bytes/workgroup (compile time only)
; SGPRBlocks: 4
; VGPRBlocks: 1
; NumSGPRsForWavesPerEU: 37
; NumVGPRsForWavesPerEU: 11
; AccumOffset: 12
; Occupancy: 8
; WaveLimiterHint : 0
; COMPUTE_PGM_RSRC2:SCRATCH_EN: 0
; COMPUTE_PGM_RSRC2:USER_SGPR: 2
; COMPUTE_PGM_RSRC2:TRAP_HANDLER: 0
; COMPUTE_PGM_RSRC2:TGID_X_EN: 1
; COMPUTE_PGM_RSRC2:TGID_Y_EN: 0
; COMPUTE_PGM_RSRC2:TGID_Z_EN: 0
; COMPUTE_PGM_RSRC2:TIDIG_COMP_CNT: 0
; COMPUTE_PGM_RSRC3_GFX90A:ACCUM_OFFSET: 2
; COMPUTE_PGM_RSRC3_GFX90A:TG_SPLIT: 0
	.section	.text._ZN5aiter30swiglu_act_and_mul_bias_kernelIffhfLi16EEEvPT0_PKT_PKT1_PKT2_il,"axG",@progbits,_ZN5aiter30swiglu_act_and_mul_bias_kernelIffhfLi16EEEvPT0_PKT_PKT1_PKT2_il,comdat
	.protected	_ZN5aiter30swiglu_act_and_mul_bias_kernelIffhfLi16EEEvPT0_PKT_PKT1_PKT2_il ; -- Begin function _ZN5aiter30swiglu_act_and_mul_bias_kernelIffhfLi16EEEvPT0_PKT_PKT1_PKT2_il
	.globl	_ZN5aiter30swiglu_act_and_mul_bias_kernelIffhfLi16EEEvPT0_PKT_PKT1_PKT2_il
	.p2align	8
	.type	_ZN5aiter30swiglu_act_and_mul_bias_kernelIffhfLi16EEEvPT0_PKT_PKT1_PKT2_il,@function
_ZN5aiter30swiglu_act_and_mul_bias_kernelIffhfLi16EEEvPT0_PKT_PKT1_PKT2_il: ; @_ZN5aiter30swiglu_act_and_mul_bias_kernelIffhfLi16EEEvPT0_PKT_PKT1_PKT2_il
; %bb.0:
	s_load_dwordx2 s[4:5], s[0:1], 0x10
	s_load_dword s24, s[0:1], 0x20
	s_load_dwordx2 s[12:13], s[0:1], 0x28
	v_mov_b32_e32 v1, s2
	s_mov_b32 s9, 0
	s_waitcnt lgkmcnt(0)
	global_load_ubyte v1, v1, s[4:5]
	s_load_dwordx2 s[4:5], s[0:1], 0x0
	s_ashr_i32 s25, s24, 31
	s_mul_hi_u32 s3, s24, s2
	s_mul_i32 s7, s25, s2
	s_mul_i32 s14, s24, s2
	s_add_i32 s15, s3, s7
	s_lshl_b32 s6, s24, 2
	v_mov_b64_e32 v[2:3], s[12:13]
	s_lshl_b64 s[12:13], s[14:15], 2
	s_mov_b64 s[10:11], -1
	v_lshlrev_b32_e32 v44, 4, v0
	s_waitcnt vmcnt(0)
	v_readfirstlane_b32 s3, v1
	s_and_b32 s8, s3, 0xffff
	s_waitcnt lgkmcnt(0)
	s_add_u32 s4, s4, s12
	v_cmp_lt_i64_e32 vcc, s[8:9], v[2:3]
	s_addc_u32 s3, s5, s13
	s_and_b32 s5, s3, 0xffff
	s_cbranch_vccnz .LBB227_5
; %bb.1:
	v_cmp_gt_i32_e32 vcc, s24, v44
	s_and_saveexec_b64 s[10:11], vcc
	s_cbranch_execz .LBB227_4
; %bb.2:
	s_load_dword s3, s[0:1], 0x3c
	s_mov_b32 s13, 0
	s_mov_b32 s16, s13
	s_mov_b32 s17, s13
	v_mov_b32_e32 v45, 0
	s_waitcnt lgkmcnt(0)
	s_and_b32 s3, s3, 0xffff
	s_mov_b32 s18, s13
	s_mov_b32 s19, s13
	v_mov_b64_e32 v[2:3], s[16:17]
	v_lshlrev_b32_e32 v1, 6, v0
	s_lshl_b32 s12, s3, 4
	s_lshl_b32 s3, s3, 6
	s_mov_b64 s[14:15], 0
	s_mov_b32 s7, 0x20000
	v_mov_b64_e32 v[4:5], s[18:19]
	v_mov_b64_e32 v[6:7], v[44:45]
.LBB227_3:                              ; =>This Inner Loop Header: Depth=1
	v_lshl_add_u64 v[6:7], s[12:13], 0, v[6:7]
	v_cmp_le_i64_e32 vcc, s[24:25], v[6:7]
	buffer_store_dwordx4 v[2:5], v1, s[4:7], 0 offen
	buffer_store_dwordx4 v[2:5], v1, s[4:7], 16 offen
	buffer_store_dwordx4 v[2:5], v1, s[4:7], 32 offen
	buffer_store_dwordx4 v[2:5], v1, s[4:7], 48 offen
	s_or_b64 s[14:15], vcc, s[14:15]
	v_add_u32_e32 v1, s3, v1
	s_andn2_b64 exec, exec, s[14:15]
	s_cbranch_execnz .LBB227_3
.LBB227_4:
	s_or_b64 exec, exec, s[10:11]
	s_mov_b64 s[10:11], 0
.LBB227_5:
	s_andn2_b64 vcc, exec, s[10:11]
	s_cbranch_vccnz .LBB227_9
; %bb.6:
	v_cmp_gt_i32_e32 vcc, s24, v44
	s_and_saveexec_b64 s[10:11], vcc
	s_cbranch_execz .LBB227_9
; %bb.7:
	s_load_dwordx2 s[10:11], s[0:1], 0x8
	s_load_dwordx2 s[12:13], s[0:1], 0x18
	s_mul_hi_i32 s9, s24, s8
	s_mul_i32 s8, s24, s8
	s_lshl_b64 s[8:9], s[8:9], 3
	s_load_dword s14, s[0:1], 0x3c
	s_waitcnt lgkmcnt(0)
	s_add_u32 s8, s12, s8
	s_addc_u32 s3, s13, s9
	s_lshl_b64 s[0:1], s[24:25], 2
	s_add_u32 s12, s8, s0
	s_addc_u32 s13, s3, s1
	s_and_b32 s9, s3, 0xffff
	s_mul_i32 s3, s2, s25
	s_mul_hi_u32 s15, s2, s24
	s_add_i32 s3, s15, s3
	s_mul_i32 s2, s2, s24
	s_and_b32 s13, s13, 0xffff
	s_lshl_b64 s[2:3], s[2:3], 3
	s_add_u32 s16, s10, s2
	s_addc_u32 s2, s11, s3
	s_add_u32 s20, s16, s0
	s_addc_u32 s0, s2, s1
	s_mov_b32 s7, 0x20000
	s_and_b32 s21, s0, 0xffff
	s_and_b32 s0, s14, 0xffff
	s_and_b32 s17, s2, 0xffff
	s_mov_b32 s3, 0
	v_mov_b32_e32 v45, 0
	s_lshl_b32 s2, s0, 4
	v_lshlrev_b32_e32 v48, 6, v0
	s_lshl_b32 s28, s0, 6
	s_mov_b64 s[26:27], 0
	s_mov_b32 s15, s7
	s_mov_b32 s14, s6
	;; [unrolled: 1-line block ×7, first 2 shown]
	v_mov_b32_e32 v49, 0x7f800000
	s_mov_b32 s33, 0xc0e00000
	v_mov_b32_e32 v50, 0x40e00000
	s_mov_b32 s22, s6
	s_mov_b32 s23, s7
	;; [unrolled: 1-line block ×4, first 2 shown]
.LBB227_8:                              ; =>This Inner Loop Header: Depth=1
	buffer_load_dwordx4 v[12:15], v48, s[8:11], 0 offen
	buffer_load_dwordx4 v[38:41], v48, s[16:19], 0 offen
	;; [unrolled: 1-line block ×12, first 2 shown]
	v_lshl_add_u64 v[44:45], s[2:3], 0, v[44:45]
	s_waitcnt vmcnt(10)
	v_pk_add_f32 v[12:13], v[38:39], v[12:13]
	s_nop 0
	v_min_f32_e32 v12, 0x40e00000, v12
	s_waitcnt vmcnt(8)
	v_pk_add_f32 v[32:33], v[54:55], v[58:59]
	v_pk_add_f32 v[38:39], v[52:53], v[56:57]
	v_med3_f32 v52, v32, s33, v50
	v_mul_f32_e32 v32, 0xbfd9db23, v12
	v_pk_add_f32 v[14:15], v[40:41], v[14:15]
	v_min_f32_e32 v13, 0x40e00000, v13
	v_mul_f32_e32 v40, 0x3fb8aa3b, v32
	v_med3_f32 v53, v33, s33, v50
	v_mul_f32_e32 v33, 0xbfd9db23, v13
	v_fma_f32 v46, v32, s29, -v40
	v_rndne_f32_e32 v47, v40
	v_min_f32_e32 v15, 0x40e00000, v15
	v_min_f32_e32 v14, 0x40e00000, v14
	v_mul_f32_e32 v41, 0x3fb8aa3b, v33
	v_fmac_f32_e32 v46, 0x32a5705f, v32
	v_sub_f32_e32 v40, v40, v47
	s_waitcnt vmcnt(6)
	v_pk_add_f32 v[28:29], v[28:29], v[34:35]
	v_mul_f32_e32 v34, 0xbfd9db23, v14
	v_mul_f32_e32 v35, 0xbfd9db23, v15
	v_fma_f32 v51, v33, s29, -v41
	v_rndne_f32_e32 v54, v41
	v_add_f32_e32 v40, v40, v46
	v_mul_f32_e32 v42, 0x3fb8aa3b, v34
	v_mul_f32_e32 v43, 0x3fb8aa3b, v35
	v_fmac_f32_e32 v51, 0x32a5705f, v33
	v_sub_f32_e32 v41, v41, v54
	v_cvt_i32_f32_e32 v47, v47
	v_exp_f32_e32 v40, v40
	v_fma_f32 v55, v34, s29, -v42
	v_rndne_f32_e32 v56, v42
	v_add_f32_e32 v41, v41, v51
	v_fma_f32 v46, v35, s29, -v43
	v_rndne_f32_e32 v51, v43
	v_fmac_f32_e32 v55, 0x32a5705f, v34
	v_sub_f32_e32 v42, v42, v56
	v_fmac_f32_e32 v46, 0x32a5705f, v35
	v_sub_f32_e32 v43, v43, v51
	v_add_f32_e32 v42, v42, v55
	v_add_f32_e32 v43, v43, v46
	v_min_f32_e32 v46, 0x40e00000, v28
	v_cvt_i32_f32_e32 v28, v54
	v_exp_f32_e32 v41, v41
	v_ldexp_f32 v40, v40, v47
	v_cvt_i32_f32_e32 v47, v56
	v_exp_f32_e32 v42, v42
	v_cvt_i32_f32_e32 v51, v51
	v_exp_f32_e32 v43, v43
	v_cmp_ngt_f32_e32 vcc, s30, v32
	v_ldexp_f32 v28, v41, v28
	v_cmp_ngt_f32_e64 s[0:1], s30, v33
	v_cndmask_b32_e32 v40, 0, v40, vcc
	v_cmp_nlt_f32_e32 vcc, s31, v32
	v_ldexp_f32 v41, v42, v47
	v_cndmask_b32_e64 v28, 0, v28, s[0:1]
	v_cmp_ngt_f32_e64 s[0:1], s30, v34
	v_cndmask_b32_e32 v40, v49, v40, vcc
	v_cmp_nlt_f32_e32 vcc, s31, v33
	v_ldexp_f32 v43, v43, v51
	v_cndmask_b32_e64 v32, 0, v41, s[0:1]
	v_cmp_ngt_f32_e64 s[0:1], s30, v35
	v_cndmask_b32_e32 v28, v49, v28, vcc
	v_cmp_nlt_f32_e32 vcc, s31, v34
	v_cndmask_b32_e64 v41, 0, v43, s[0:1]
	v_add_f32_e32 v34, 1.0, v40
	v_cndmask_b32_e32 v32, v49, v32, vcc
	v_cmp_nlt_f32_e32 vcc, s31, v35
	v_add_f32_e32 v28, 1.0, v28
	v_add_f32_e32 v35, 1.0, v32
	v_cndmask_b32_e32 v33, v49, v41, vcc
	v_add_f32_e32 v40, 1.0, v33
	v_rcp_f32_e32 v32, v34
	v_rcp_f32_e32 v33, v28
	;; [unrolled: 1-line block ×4, first 2 shown]
	v_mul_f32_e32 v54, 0xbfd9db23, v46
	v_mul_f32_e32 v42, 0x3fb8aa3b, v54
	v_rndne_f32_e32 v51, v42
	v_fma_f32 v47, v54, s29, -v42
	v_sub_f32_e32 v28, v42, v51
	v_pk_mul_f32 v[12:13], v[12:13], v[32:33]
	v_pk_mul_f32 v[14:15], v[14:15], v[34:35]
	buffer_load_dwordx4 v[40:43], v48, s[8:11], 32 offen
	buffer_load_dwordx4 v[32:35], v48, s[8:11], 48 offen
	v_fmac_f32_e32 v47, 0x32a5705f, v54
	v_add_f32_e32 v28, v28, v47
	v_min_f32_e32 v47, 0x40e00000, v29
	v_med3_f32 v39, v39, s33, v50
	v_med3_f32 v38, v38, s33, v50
	v_mul_f32_e32 v29, 0xbfd9db23, v47
	v_pk_add_f32 v[38:39], v[38:39], 1.0 op_sel_hi:[1,0]
	v_exp_f32_e32 v28, v28
	v_cvt_i32_f32_e32 v51, v51
	v_pk_add_f32 v[30:31], v[30:31], v[36:37]
	v_mul_f32_e32 v36, 0x3fb8aa3b, v29
	v_pk_mul_f32 v[12:13], v[38:39], v[12:13]
	v_fma_f32 v37, v29, s29, -v36
	v_rndne_f32_e32 v38, v36
	v_fmac_f32_e32 v37, 0x32a5705f, v29
	v_sub_f32_e32 v36, v36, v38
	v_add_f32_e32 v36, v36, v37
	v_ldexp_f32 v28, v28, v51
	v_cmp_ngt_f32_e32 vcc, s30, v54
	v_exp_f32_e32 v36, v36
	v_cvt_i32_f32_e32 v37, v38
	v_cndmask_b32_e32 v28, 0, v28, vcc
	v_cmp_nlt_f32_e32 vcc, s31, v54
	v_pk_add_f32 v[52:53], v[52:53], 1.0 op_sel_hi:[1,0]
	v_min_f32_e32 v54, 0x40e00000, v30
	v_cndmask_b32_e32 v28, v49, v28, vcc
	v_add_f32_e32 v28, 1.0, v28
	v_pk_mul_f32 v[14:15], v[52:53], v[14:15]
	v_rcp_f32_e32 v52, v28
	v_ldexp_f32 v28, v36, v37
	v_cmp_ngt_f32_e32 vcc, s30, v29
	v_mul_f32_e32 v51, 0xbfd9db23, v54
	v_min_f32_e32 v55, 0x40e00000, v31
	v_cndmask_b32_e32 v28, 0, v28, vcc
	v_cmp_nlt_f32_e32 vcc, s31, v29
	v_mul_f32_e32 v29, 0x3fb8aa3b, v51
	v_fma_f32 v30, v51, s29, -v29
	v_rndne_f32_e32 v36, v29
	v_fmac_f32_e32 v30, 0x32a5705f, v51
	v_sub_f32_e32 v29, v29, v36
	v_add_f32_e32 v29, v29, v30
	v_exp_f32_e32 v29, v29
	v_cvt_i32_f32_e32 v30, v36
	v_cndmask_b32_e32 v28, v49, v28, vcc
	v_add_f32_e32 v28, 1.0, v28
	v_mul_f32_e32 v57, 0xbfd9db23, v55
	v_rcp_f32_e32 v53, v28
	v_mul_f32_e32 v28, 0x3fb8aa3b, v57
	v_ldexp_f32 v56, v29, v30
	v_fma_f32 v29, v57, s29, -v28
	v_rndne_f32_e32 v58, v28
	v_fmac_f32_e32 v29, 0x32a5705f, v57
	v_sub_f32_e32 v28, v28, v58
	v_add_f32_e32 v59, v28, v29
	buffer_load_dwordx4 v[36:39], v48, s[12:15], 32 offen
	buffer_load_dwordx4 v[28:31], v48, s[12:15], 48 offen
	v_cmp_ngt_f32_e32 vcc, s30, v51
	v_exp_f32_e32 v59, v59
	v_cvt_i32_f32_e32 v58, v58
	v_cndmask_b32_e32 v56, 0, v56, vcc
	v_cmp_nlt_f32_e32 vcc, s31, v51
	s_waitcnt vmcnt(4)
	v_pk_add_f32 v[22:23], v[22:23], v[26:27]
	v_pk_add_f32 v[20:21], v[20:21], v[24:25]
	v_cndmask_b32_e32 v51, v49, v56, vcc
	v_add_f32_e32 v51, 1.0, v51
	v_rcp_f32_e32 v56, v51
	v_ldexp_f32 v51, v59, v58
	v_cmp_ngt_f32_e32 vcc, s30, v57
	v_med3_f32 v23, v23, s33, v50
	v_med3_f32 v22, v22, s33, v50
	v_cndmask_b32_e32 v51, 0, v51, vcc
	v_cmp_nlt_f32_e32 vcc, s31, v57
	v_pk_add_f32 v[22:23], v[22:23], 1.0 op_sel_hi:[1,0]
	v_med3_f32 v21, v21, s33, v50
	v_cndmask_b32_e32 v51, v49, v51, vcc
	v_add_f32_e32 v51, 1.0, v51
	v_rcp_f32_e32 v57, v51
	v_med3_f32 v20, v20, s33, v50
	v_pk_add_f32 v[20:21], v[20:21], 1.0 op_sel_hi:[1,0]
	s_waitcnt vmcnt(3)
	v_pk_add_f32 v[16:17], v[16:17], v[40:41]
	v_pk_mul_f32 v[26:27], v[54:55], v[56:57]
	v_min_f32_e32 v16, 0x40e00000, v16
	v_pk_mul_f32 v[22:23], v[22:23], v[26:27]
	v_mul_f32_e32 v26, 0xbfd9db23, v16
	v_mul_f32_e32 v27, 0x3fb8aa3b, v26
	v_fma_f32 v40, v26, s29, -v27
	v_rndne_f32_e32 v41, v27
	v_fmac_f32_e32 v40, 0x32a5705f, v26
	v_sub_f32_e32 v27, v27, v41
	v_add_f32_e32 v27, v27, v40
	v_exp_f32_e32 v27, v27
	v_cvt_i32_f32_e32 v40, v41
	v_pk_mul_f32 v[24:25], v[46:47], v[52:53]
	v_min_f32_e32 v17, 0x40e00000, v17
	v_pk_mul_f32 v[20:21], v[20:21], v[24:25]
	v_mul_f32_e32 v25, 0xbfd9db23, v17
	v_ldexp_f32 v24, v27, v40
	v_mul_f32_e32 v27, 0x3fb8aa3b, v25
	v_fma_f32 v40, v25, s29, -v27
	v_rndne_f32_e32 v41, v27
	v_fmac_f32_e32 v40, 0x32a5705f, v25
	v_sub_f32_e32 v27, v27, v41
	v_add_f32_e32 v27, v27, v40
	v_exp_f32_e32 v27, v27
	v_cvt_i32_f32_e32 v40, v41
	v_cmp_ngt_f32_e32 vcc, s30, v26
	v_pk_add_f32 v[18:19], v[18:19], v[42:43]
	s_waitcnt vmcnt(2)
	v_pk_add_f32 v[4:5], v[4:5], v[32:33]
	v_cndmask_b32_e32 v24, 0, v24, vcc
	v_cmp_nlt_f32_e32 vcc, s31, v26
	v_ldexp_f32 v26, v27, v40
	v_min_f32_e32 v18, 0x40e00000, v18
	v_cndmask_b32_e32 v24, v49, v24, vcc
	v_cmp_ngt_f32_e32 vcc, s30, v25
	v_min_f32_e32 v19, 0x40e00000, v19
	v_add_f32_e32 v24, 1.0, v24
	v_cndmask_b32_e32 v26, 0, v26, vcc
	v_cmp_nlt_f32_e32 vcc, s31, v25
	v_rcp_f32_e32 v24, v24
	v_min_f32_e32 v4, 0x40e00000, v4
	v_cndmask_b32_e32 v25, v49, v26, vcc
	v_mul_f32_e32 v26, 0xbfd9db23, v18
	v_mul_f32_e32 v27, 0x3fb8aa3b, v26
	v_fma_f32 v40, v26, s29, -v27
	v_rndne_f32_e32 v41, v27
	v_fmac_f32_e32 v40, 0x32a5705f, v26
	v_sub_f32_e32 v27, v27, v41
	v_add_f32_e32 v27, v27, v40
	v_exp_f32_e32 v27, v27
	v_cvt_i32_f32_e32 v40, v41
	v_cmp_ngt_f32_e32 vcc, s30, v26
	v_add_f32_e32 v25, 1.0, v25
	v_rcp_f32_e32 v25, v25
	v_ldexp_f32 v27, v27, v40
	v_mul_f32_e32 v40, 0xbfd9db23, v19
	v_mul_f32_e32 v41, 0x3fb8aa3b, v40
	v_fma_f32 v42, v40, s29, -v41
	v_rndne_f32_e32 v43, v41
	v_fmac_f32_e32 v42, 0x32a5705f, v40
	v_sub_f32_e32 v41, v41, v43
	v_add_f32_e32 v41, v41, v42
	v_exp_f32_e32 v41, v41
	v_cvt_i32_f32_e32 v42, v43
	v_cndmask_b32_e32 v27, 0, v27, vcc
	v_cmp_nlt_f32_e32 vcc, s31, v26
	s_waitcnt vmcnt(1)
	v_pk_add_f32 v[10:11], v[10:11], v[38:39]
	v_pk_mul_f32 v[16:17], v[16:17], v[24:25]
	v_cndmask_b32_e32 v26, v49, v27, vcc
	v_ldexp_f32 v27, v41, v42
	v_cmp_ngt_f32_e32 vcc, s30, v40
	v_add_f32_e32 v26, 1.0, v26
	v_rcp_f32_e32 v26, v26
	v_cndmask_b32_e32 v27, 0, v27, vcc
	v_cmp_nlt_f32_e32 vcc, s31, v40
	v_med3_f32 v11, v11, s33, v50
	v_med3_f32 v10, v10, s33, v50
	v_cndmask_b32_e32 v27, v49, v27, vcc
	v_add_f32_e32 v27, 1.0, v27
	v_rcp_f32_e32 v27, v27
	v_pk_add_f32 v[10:11], v[10:11], 1.0 op_sel_hi:[1,0]
	v_pk_add_f32 v[8:9], v[8:9], v[36:37]
	v_min_f32_e32 v5, 0x40e00000, v5
	v_pk_mul_f32 v[18:19], v[18:19], v[26:27]
	v_med3_f32 v9, v9, s33, v50
	v_pk_mul_f32 v[10:11], v[10:11], v[18:19]
	v_mul_f32_e32 v18, 0xbfd9db23, v4
	v_mul_f32_e32 v19, 0x3fb8aa3b, v18
	v_fma_f32 v24, v18, s29, -v19
	v_rndne_f32_e32 v25, v19
	v_fmac_f32_e32 v24, 0x32a5705f, v18
	v_sub_f32_e32 v19, v19, v25
	v_add_f32_e32 v19, v19, v24
	v_exp_f32_e32 v19, v19
	v_cvt_i32_f32_e32 v24, v25
	v_med3_f32 v8, v8, s33, v50
	v_pk_add_f32 v[8:9], v[8:9], 1.0 op_sel_hi:[1,0]
	v_cmp_ngt_f32_e32 vcc, s30, v18
	v_pk_mul_f32 v[8:9], v[8:9], v[16:17]
	v_mul_f32_e32 v17, 0xbfd9db23, v5
	v_ldexp_f32 v16, v19, v24
	v_mul_f32_e32 v19, 0x3fb8aa3b, v17
	v_fma_f32 v24, v17, s29, -v19
	v_rndne_f32_e32 v25, v19
	v_fmac_f32_e32 v24, 0x32a5705f, v17
	v_sub_f32_e32 v19, v19, v25
	v_add_f32_e32 v19, v19, v24
	v_exp_f32_e32 v19, v19
	v_cvt_i32_f32_e32 v24, v25
	v_cndmask_b32_e32 v16, 0, v16, vcc
	v_cmp_nlt_f32_e32 vcc, s31, v18
	v_pk_add_f32 v[6:7], v[6:7], v[34:35]
	v_ldexp_f32 v18, v19, v24
	v_cndmask_b32_e32 v16, v49, v16, vcc
	v_cmp_ngt_f32_e32 vcc, s30, v17
	v_min_f32_e32 v6, 0x40e00000, v6
	v_min_f32_e32 v7, 0x40e00000, v7
	v_cndmask_b32_e32 v18, 0, v18, vcc
	v_cmp_nlt_f32_e32 vcc, s31, v17
	v_add_f32_e32 v16, 1.0, v16
	v_rcp_f32_e32 v16, v16
	v_cndmask_b32_e32 v17, v49, v18, vcc
	v_mul_f32_e32 v18, 0xbfd9db23, v6
	v_mul_f32_e32 v19, 0x3fb8aa3b, v18
	v_fma_f32 v24, v18, s29, -v19
	v_rndne_f32_e32 v25, v19
	v_fmac_f32_e32 v24, 0x32a5705f, v18
	v_sub_f32_e32 v19, v19, v25
	v_add_f32_e32 v19, v19, v24
	v_exp_f32_e32 v19, v19
	v_cvt_i32_f32_e32 v24, v25
	v_cmp_ngt_f32_e32 vcc, s30, v18
	v_add_f32_e32 v17, 1.0, v17
	v_rcp_f32_e32 v17, v17
	v_ldexp_f32 v19, v19, v24
	v_mul_f32_e32 v24, 0xbfd9db23, v7
	v_mul_f32_e32 v25, 0x3fb8aa3b, v24
	v_fma_f32 v26, v24, s29, -v25
	v_rndne_f32_e32 v27, v25
	v_fmac_f32_e32 v26, 0x32a5705f, v24
	v_sub_f32_e32 v25, v25, v27
	v_add_f32_e32 v25, v25, v26
	v_exp_f32_e32 v25, v25
	v_cvt_i32_f32_e32 v26, v27
	v_cndmask_b32_e32 v19, 0, v19, vcc
	v_cmp_nlt_f32_e32 vcc, s31, v18
	s_waitcnt vmcnt(0)
	v_pk_add_f32 v[2:3], v[2:3], v[30:31]
	v_pk_add_f32 v[0:1], v[0:1], v[28:29]
	v_cndmask_b32_e32 v18, v49, v19, vcc
	v_ldexp_f32 v19, v25, v26
	v_cmp_ngt_f32_e32 vcc, s30, v24
	v_add_f32_e32 v18, 1.0, v18
	v_rcp_f32_e32 v18, v18
	v_cndmask_b32_e32 v19, 0, v19, vcc
	v_cmp_nlt_f32_e32 vcc, s31, v24
	v_med3_f32 v3, v3, s33, v50
	v_med3_f32 v2, v2, s33, v50
	v_cndmask_b32_e32 v19, v49, v19, vcc
	v_add_f32_e32 v19, 1.0, v19
	v_rcp_f32_e32 v19, v19
	v_med3_f32 v1, v1, s33, v50
	v_med3_f32 v0, v0, s33, v50
	v_pk_add_f32 v[2:3], v[2:3], 1.0 op_sel_hi:[1,0]
	v_pk_add_f32 v[0:1], v[0:1], 1.0 op_sel_hi:[1,0]
	v_pk_mul_f32 v[4:5], v[4:5], v[16:17]
	v_pk_mul_f32 v[6:7], v[6:7], v[18:19]
	v_cmp_le_i64_e32 vcc, s[24:25], v[44:45]
	v_pk_mul_f32 v[2:3], v[2:3], v[6:7]
	v_pk_mul_f32 v[0:1], v[0:1], v[4:5]
	buffer_store_dwordx4 v[12:15], v48, s[4:7], 0 offen
	buffer_store_dwordx4 v[20:23], v48, s[4:7], 16 offen
	;; [unrolled: 1-line block ×4, first 2 shown]
	s_or_b64 s[26:27], vcc, s[26:27]
	v_add_u32_e32 v48, s28, v48
	s_andn2_b64 exec, exec, s[26:27]
	s_cbranch_execnz .LBB227_8
.LBB227_9:
	s_endpgm
	.section	.rodata,"a",@progbits
	.p2align	6, 0x0
	.amdhsa_kernel _ZN5aiter30swiglu_act_and_mul_bias_kernelIffhfLi16EEEvPT0_PKT_PKT1_PKT2_il
		.amdhsa_group_segment_fixed_size 0
		.amdhsa_private_segment_fixed_size 0
		.amdhsa_kernarg_size 304
		.amdhsa_user_sgpr_count 2
		.amdhsa_user_sgpr_dispatch_ptr 0
		.amdhsa_user_sgpr_queue_ptr 0
		.amdhsa_user_sgpr_kernarg_segment_ptr 1
		.amdhsa_user_sgpr_dispatch_id 0
		.amdhsa_user_sgpr_kernarg_preload_length 0
		.amdhsa_user_sgpr_kernarg_preload_offset 0
		.amdhsa_user_sgpr_private_segment_size 0
		.amdhsa_uses_dynamic_stack 0
		.amdhsa_enable_private_segment 0
		.amdhsa_system_sgpr_workgroup_id_x 1
		.amdhsa_system_sgpr_workgroup_id_y 0
		.amdhsa_system_sgpr_workgroup_id_z 0
		.amdhsa_system_sgpr_workgroup_info 0
		.amdhsa_system_vgpr_workitem_id 0
		.amdhsa_next_free_vgpr 60
		.amdhsa_next_free_sgpr 34
		.amdhsa_accum_offset 60
		.amdhsa_reserve_vcc 1
		.amdhsa_float_round_mode_32 0
		.amdhsa_float_round_mode_16_64 0
		.amdhsa_float_denorm_mode_32 3
		.amdhsa_float_denorm_mode_16_64 3
		.amdhsa_dx10_clamp 1
		.amdhsa_ieee_mode 1
		.amdhsa_fp16_overflow 0
		.amdhsa_tg_split 0
		.amdhsa_exception_fp_ieee_invalid_op 0
		.amdhsa_exception_fp_denorm_src 0
		.amdhsa_exception_fp_ieee_div_zero 0
		.amdhsa_exception_fp_ieee_overflow 0
		.amdhsa_exception_fp_ieee_underflow 0
		.amdhsa_exception_fp_ieee_inexact 0
		.amdhsa_exception_int_div_zero 0
	.end_amdhsa_kernel
	.section	.text._ZN5aiter30swiglu_act_and_mul_bias_kernelIffhfLi16EEEvPT0_PKT_PKT1_PKT2_il,"axG",@progbits,_ZN5aiter30swiglu_act_and_mul_bias_kernelIffhfLi16EEEvPT0_PKT_PKT1_PKT2_il,comdat
.Lfunc_end227:
	.size	_ZN5aiter30swiglu_act_and_mul_bias_kernelIffhfLi16EEEvPT0_PKT_PKT1_PKT2_il, .Lfunc_end227-_ZN5aiter30swiglu_act_and_mul_bias_kernelIffhfLi16EEEvPT0_PKT_PKT1_PKT2_il
                                        ; -- End function
	.section	.AMDGPU.csdata,"",@progbits
; Kernel info:
; codeLenInByte = 2736
; NumSgprs: 40
; NumVgprs: 60
; NumAgprs: 0
; TotalNumVgprs: 60
; ScratchSize: 0
; MemoryBound: 0
; FloatMode: 240
; IeeeMode: 1
; LDSByteSize: 0 bytes/workgroup (compile time only)
; SGPRBlocks: 4
; VGPRBlocks: 7
; NumSGPRsForWavesPerEU: 40
; NumVGPRsForWavesPerEU: 60
; AccumOffset: 60
; Occupancy: 8
; WaveLimiterHint : 0
; COMPUTE_PGM_RSRC2:SCRATCH_EN: 0
; COMPUTE_PGM_RSRC2:USER_SGPR: 2
; COMPUTE_PGM_RSRC2:TRAP_HANDLER: 0
; COMPUTE_PGM_RSRC2:TGID_X_EN: 1
; COMPUTE_PGM_RSRC2:TGID_Y_EN: 0
; COMPUTE_PGM_RSRC2:TGID_Z_EN: 0
; COMPUTE_PGM_RSRC2:TIDIG_COMP_CNT: 0
; COMPUTE_PGM_RSRC3_GFX90A:ACCUM_OFFSET: 14
; COMPUTE_PGM_RSRC3_GFX90A:TG_SPLIT: 0
	.section	.text._ZN5aiter30swiglu_act_and_mul_bias_kernelIffhfLi8EEEvPT0_PKT_PKT1_PKT2_il,"axG",@progbits,_ZN5aiter30swiglu_act_and_mul_bias_kernelIffhfLi8EEEvPT0_PKT_PKT1_PKT2_il,comdat
	.protected	_ZN5aiter30swiglu_act_and_mul_bias_kernelIffhfLi8EEEvPT0_PKT_PKT1_PKT2_il ; -- Begin function _ZN5aiter30swiglu_act_and_mul_bias_kernelIffhfLi8EEEvPT0_PKT_PKT1_PKT2_il
	.globl	_ZN5aiter30swiglu_act_and_mul_bias_kernelIffhfLi8EEEvPT0_PKT_PKT1_PKT2_il
	.p2align	8
	.type	_ZN5aiter30swiglu_act_and_mul_bias_kernelIffhfLi8EEEvPT0_PKT_PKT1_PKT2_il,@function
_ZN5aiter30swiglu_act_and_mul_bias_kernelIffhfLi8EEEvPT0_PKT_PKT1_PKT2_il: ; @_ZN5aiter30swiglu_act_and_mul_bias_kernelIffhfLi8EEEvPT0_PKT_PKT1_PKT2_il
; %bb.0:
	s_load_dwordx2 s[4:5], s[0:1], 0x10
	s_load_dword s20, s[0:1], 0x20
	s_load_dwordx2 s[12:13], s[0:1], 0x28
	v_mov_b32_e32 v1, s2
	s_mov_b32 s9, 0
	s_waitcnt lgkmcnt(0)
	global_load_ubyte v1, v1, s[4:5]
	s_load_dwordx2 s[4:5], s[0:1], 0x0
	s_ashr_i32 s21, s20, 31
	s_mul_hi_u32 s3, s20, s2
	s_mul_i32 s7, s21, s2
	s_mul_i32 s14, s20, s2
	s_add_i32 s15, s3, s7
	s_lshl_b32 s6, s20, 2
	v_mov_b64_e32 v[2:3], s[12:13]
	s_lshl_b64 s[12:13], s[14:15], 2
	s_mov_b64 s[10:11], -1
	v_lshlrev_b32_e32 v16, 3, v0
	s_waitcnt vmcnt(0)
	v_readfirstlane_b32 s3, v1
	s_and_b32 s8, s3, 0xffff
	s_waitcnt lgkmcnt(0)
	s_add_u32 s4, s4, s12
	v_cmp_lt_i64_e32 vcc, s[8:9], v[2:3]
	s_addc_u32 s3, s5, s13
	s_and_b32 s5, s3, 0xffff
	s_cbranch_vccnz .LBB228_5
; %bb.1:
	v_cmp_gt_i32_e32 vcc, s20, v16
	s_and_saveexec_b64 s[10:11], vcc
	s_cbranch_execz .LBB228_4
; %bb.2:
	s_load_dword s3, s[0:1], 0x3c
	s_mov_b32 s13, 0
	s_mov_b32 s16, s13
	;; [unrolled: 1-line block ×3, first 2 shown]
	v_mov_b32_e32 v17, 0
	s_waitcnt lgkmcnt(0)
	s_and_b32 s3, s3, 0xffff
	s_mov_b32 s18, s13
	s_mov_b32 s19, s13
	v_mov_b64_e32 v[2:3], s[16:17]
	v_lshlrev_b32_e32 v1, 5, v0
	s_lshl_b32 s12, s3, 3
	s_lshl_b32 s3, s3, 5
	s_mov_b64 s[14:15], 0
	s_mov_b32 s7, 0x20000
	v_mov_b64_e32 v[4:5], s[18:19]
	v_mov_b64_e32 v[6:7], v[16:17]
.LBB228_3:                              ; =>This Inner Loop Header: Depth=1
	v_lshl_add_u64 v[6:7], s[12:13], 0, v[6:7]
	v_cmp_le_i64_e32 vcc, s[20:21], v[6:7]
	buffer_store_dwordx4 v[2:5], v1, s[4:7], 0 offen
	buffer_store_dwordx4 v[2:5], v1, s[4:7], 16 offen
	s_or_b64 s[14:15], vcc, s[14:15]
	v_add_u32_e32 v1, s3, v1
	s_andn2_b64 exec, exec, s[14:15]
	s_cbranch_execnz .LBB228_3
.LBB228_4:
	s_or_b64 exec, exec, s[10:11]
	s_mov_b64 s[10:11], 0
.LBB228_5:
	s_andn2_b64 vcc, exec, s[10:11]
	s_cbranch_vccnz .LBB228_9
; %bb.6:
	v_cmp_gt_i32_e32 vcc, s20, v16
	s_and_saveexec_b64 s[10:11], vcc
	s_cbranch_execz .LBB228_9
; %bb.7:
	s_load_dwordx2 s[10:11], s[0:1], 0x8
	s_load_dwordx2 s[12:13], s[0:1], 0x18
	s_mul_hi_i32 s9, s20, s8
	s_mul_i32 s8, s20, s8
	s_lshl_b64 s[8:9], s[8:9], 3
	s_load_dword s18, s[0:1], 0x3c
	s_waitcnt lgkmcnt(0)
	s_add_u32 s0, s12, s8
	s_addc_u32 s1, s13, s9
	s_lshl_b64 s[14:15], s[20:21], 2
	s_add_u32 s8, s0, s14
	s_addc_u32 s3, s1, s15
	s_and_b32 s9, s3, 0xffff
	s_mul_i32 s3, s2, s21
	s_mul_hi_u32 s12, s2, s20
	s_add_i32 s3, s12, s3
	s_mul_i32 s2, s2, s20
	s_and_b32 s1, s1, 0xffff
	s_lshl_b64 s[2:3], s[2:3], 3
	s_add_u32 s12, s10, s2
	s_addc_u32 s2, s11, s3
	s_add_u32 s16, s12, s14
	s_mov_b32 s7, 0x20000
	s_addc_u32 s3, s2, s15
	s_and_b32 s13, s2, 0xffff
	s_and_b32 s2, s18, 0xffff
	;; [unrolled: 1-line block ×3, first 2 shown]
	s_mov_b32 s23, 0
	v_mov_b32_e32 v17, 0
	s_lshl_b32 s22, s2, 3
	v_lshlrev_b32_e32 v18, 5, v0
	s_lshl_b32 s26, s2, 5
	s_mov_b64 s[24:25], 0
	s_mov_b32 s11, s7
	s_mov_b32 s10, s6
	;; [unrolled: 1-line block ×7, first 2 shown]
	v_mov_b32_e32 v19, 0x7f800000
	s_mov_b32 s30, 0xc0e00000
	v_mov_b32_e32 v20, 0x40e00000
	s_mov_b32 s18, s6
	s_mov_b32 s19, s7
	;; [unrolled: 1-line block ×4, first 2 shown]
.LBB228_8:                              ; =>This Inner Loop Header: Depth=1
	buffer_load_dwordx4 v[22:25], v18, s[0:3], 0 offen
	buffer_load_dwordx4 v[26:29], v18, s[12:15], 0 offen
	;; [unrolled: 1-line block ×8, first 2 shown]
	v_lshl_add_u64 v[16:17], s[22:23], 0, v[16:17]
	s_waitcnt vmcnt(6)
	v_pk_add_f32 v[22:23], v[26:27], v[22:23]
	v_pk_add_f32 v[24:25], v[28:29], v[24:25]
	s_waitcnt vmcnt(4)
	v_pk_add_f32 v[26:27], v[32:33], v[36:37]
	v_pk_add_f32 v[28:29], v[30:31], v[34:35]
	s_waitcnt vmcnt(2)
	v_pk_add_f32 v[8:9], v[8:9], v[12:13]
	v_min_f32_e32 v12, 0x40e00000, v22
	v_min_f32_e32 v13, 0x40e00000, v23
	v_mul_f32_e32 v21, 0xbfd9db23, v12
	v_min_f32_e32 v22, 0x40e00000, v24
	v_med3_f32 v24, v26, s30, v20
	v_med3_f32 v26, v28, s30, v20
	v_mul_f32_e32 v28, 0xbfd9db23, v13
	v_mul_f32_e32 v31, 0x3fb8aa3b, v21
	v_min_f32_e32 v23, 0x40e00000, v25
	v_med3_f32 v25, v27, s30, v20
	v_med3_f32 v27, v29, s30, v20
	v_mul_f32_e32 v29, 0xbfd9db23, v22
	v_mul_f32_e32 v33, 0x3fb8aa3b, v28
	v_fma_f32 v37, v21, s27, -v31
	v_rndne_f32_e32 v38, v31
	v_mul_f32_e32 v30, 0xbfd9db23, v23
	v_mul_f32_e32 v34, 0x3fb8aa3b, v29
	v_fma_f32 v39, v28, s27, -v33
	v_rndne_f32_e32 v40, v33
	v_fmac_f32_e32 v37, 0x32a5705f, v21
	v_sub_f32_e32 v31, v31, v38
	v_mul_f32_e32 v35, 0x3fb8aa3b, v30
	v_fma_f32 v41, v29, s27, -v34
	v_rndne_f32_e32 v42, v34
	v_fmac_f32_e32 v39, 0x32a5705f, v28
	v_sub_f32_e32 v33, v33, v40
	v_add_f32_e32 v31, v31, v37
	v_fma_f32 v43, v30, s27, -v35
	v_rndne_f32_e32 v44, v35
	v_cvt_i32_f32_e32 v38, v38
	v_fmac_f32_e32 v41, 0x32a5705f, v29
	v_sub_f32_e32 v34, v34, v42
	v_add_f32_e32 v33, v33, v39
	v_exp_f32_e32 v31, v31
	v_cvt_i32_f32_e32 v40, v40
	v_fmac_f32_e32 v43, 0x32a5705f, v30
	v_sub_f32_e32 v35, v35, v44
	v_add_f32_e32 v34, v34, v41
	v_exp_f32_e32 v33, v33
	v_cvt_i32_f32_e32 v42, v42
	v_add_f32_e32 v35, v35, v43
	v_exp_f32_e32 v34, v34
	v_cvt_i32_f32_e32 v44, v44
	v_exp_f32_e32 v35, v35
	v_ldexp_f32 v31, v31, v38
	v_cmp_ngt_f32_e32 vcc, s28, v21
	v_ldexp_f32 v33, v33, v40
	v_ldexp_f32 v34, v34, v42
	v_cndmask_b32_e32 v31, 0, v31, vcc
	v_cmp_ngt_f32_e32 vcc, s28, v28
	v_ldexp_f32 v35, v35, v44
	v_min_f32_e32 v8, 0x40e00000, v8
	v_cndmask_b32_e32 v33, 0, v33, vcc
	v_cmp_ngt_f32_e32 vcc, s28, v29
	v_mul_f32_e32 v32, 0xbfd9db23, v8
	v_mul_f32_e32 v36, 0x3fb8aa3b, v32
	v_cndmask_b32_e32 v34, 0, v34, vcc
	v_cmp_ngt_f32_e32 vcc, s28, v30
	v_fma_f32 v45, v32, s27, -v36
	v_rndne_f32_e32 v46, v36
	v_cndmask_b32_e32 v35, 0, v35, vcc
	v_cmp_nlt_f32_e32 vcc, s29, v21
	v_fmac_f32_e32 v45, 0x32a5705f, v32
	v_sub_f32_e32 v36, v36, v46
	v_cndmask_b32_e32 v21, v19, v31, vcc
	v_cmp_nlt_f32_e32 vcc, s29, v28
	v_add_f32_e32 v21, 1.0, v21
	v_cvt_i32_f32_e32 v46, v46
	v_cndmask_b32_e32 v28, v19, v33, vcc
	v_cmp_nlt_f32_e32 vcc, s29, v29
	v_add_f32_e32 v31, 1.0, v28
	v_rcp_f32_e32 v28, v21
	v_cndmask_b32_e32 v29, v19, v34, vcc
	v_cmp_nlt_f32_e32 vcc, s29, v30
	v_add_f32_e32 v33, 1.0, v29
	v_rcp_f32_e32 v29, v31
	v_cndmask_b32_e32 v30, v19, v35, vcc
	v_add_f32_e32 v34, 1.0, v30
	v_rcp_f32_e32 v30, v33
	v_rcp_f32_e32 v31, v34
	v_add_f32_e32 v21, v36, v45
	v_exp_f32_e32 v21, v21
	v_pk_add_f32 v[24:25], v[24:25], 1.0 op_sel_hi:[1,0]
	v_pk_add_f32 v[26:27], v[26:27], 1.0 op_sel_hi:[1,0]
	v_pk_mul_f32 v[12:13], v[12:13], v[28:29]
	v_pk_mul_f32 v[22:23], v[22:23], v[30:31]
	v_min_f32_e32 v9, 0x40e00000, v9
	v_pk_mul_f32 v[24:25], v[24:25], v[22:23]
	v_pk_mul_f32 v[22:23], v[26:27], v[12:13]
	v_mul_f32_e32 v13, 0xbfd9db23, v9
	v_pk_add_f32 v[10:11], v[10:11], v[14:15]
	v_mul_f32_e32 v14, 0x3fb8aa3b, v13
	v_ldexp_f32 v12, v21, v46
	v_fma_f32 v15, v13, s27, -v14
	v_rndne_f32_e32 v21, v14
	v_fmac_f32_e32 v15, 0x32a5705f, v13
	v_sub_f32_e32 v14, v14, v21
	v_add_f32_e32 v14, v14, v15
	v_exp_f32_e32 v14, v14
	v_cvt_i32_f32_e32 v15, v21
	v_cmp_ngt_f32_e32 vcc, s28, v32
	v_min_f32_e32 v10, 0x40e00000, v10
	v_min_f32_e32 v11, 0x40e00000, v11
	v_cndmask_b32_e32 v12, 0, v12, vcc
	v_cmp_nlt_f32_e32 vcc, s29, v32
	v_ldexp_f32 v14, v14, v15
	s_waitcnt vmcnt(0)
	v_pk_add_f32 v[2:3], v[2:3], v[6:7]
	v_cndmask_b32_e32 v12, v19, v12, vcc
	v_cmp_ngt_f32_e32 vcc, s28, v13
	v_add_f32_e32 v12, 1.0, v12
	v_rcp_f32_e32 v12, v12
	v_cndmask_b32_e32 v14, 0, v14, vcc
	v_cmp_nlt_f32_e32 vcc, s29, v13
	v_pk_add_f32 v[0:1], v[0:1], v[4:5]
	v_med3_f32 v3, v3, s30, v20
	v_cndmask_b32_e32 v13, v19, v14, vcc
	v_mul_f32_e32 v14, 0xbfd9db23, v10
	v_mul_f32_e32 v15, 0x3fb8aa3b, v14
	v_fma_f32 v21, v14, s27, -v15
	v_rndne_f32_e32 v26, v15
	v_fmac_f32_e32 v21, 0x32a5705f, v14
	v_sub_f32_e32 v15, v15, v26
	v_add_f32_e32 v15, v15, v21
	v_exp_f32_e32 v15, v15
	v_cvt_i32_f32_e32 v21, v26
	v_cmp_ngt_f32_e32 vcc, s28, v14
	v_add_f32_e32 v13, 1.0, v13
	v_rcp_f32_e32 v13, v13
	v_ldexp_f32 v15, v15, v21
	v_mul_f32_e32 v21, 0xbfd9db23, v11
	v_mul_f32_e32 v26, 0x3fb8aa3b, v21
	v_fma_f32 v27, v21, s27, -v26
	v_rndne_f32_e32 v28, v26
	v_fmac_f32_e32 v27, 0x32a5705f, v21
	v_sub_f32_e32 v26, v26, v28
	v_add_f32_e32 v26, v26, v27
	v_exp_f32_e32 v26, v26
	v_cvt_i32_f32_e32 v27, v28
	v_cndmask_b32_e32 v15, 0, v15, vcc
	v_cmp_nlt_f32_e32 vcc, s29, v14
	v_med3_f32 v2, v2, s30, v20
	v_med3_f32 v1, v1, s30, v20
	v_cndmask_b32_e32 v14, v19, v15, vcc
	v_ldexp_f32 v15, v26, v27
	v_cmp_ngt_f32_e32 vcc, s28, v21
	v_add_f32_e32 v14, 1.0, v14
	v_rcp_f32_e32 v14, v14
	v_cndmask_b32_e32 v15, 0, v15, vcc
	v_cmp_nlt_f32_e32 vcc, s29, v21
	v_med3_f32 v0, v0, s30, v20
	v_pk_add_f32 v[2:3], v[2:3], 1.0 op_sel_hi:[1,0]
	v_cndmask_b32_e32 v15, v19, v15, vcc
	v_add_f32_e32 v15, 1.0, v15
	v_rcp_f32_e32 v15, v15
	v_pk_add_f32 v[0:1], v[0:1], 1.0 op_sel_hi:[1,0]
	v_pk_mul_f32 v[4:5], v[8:9], v[12:13]
	v_cmp_le_i64_e32 vcc, s[20:21], v[16:17]
	v_pk_mul_f32 v[6:7], v[10:11], v[14:15]
	v_pk_mul_f32 v[0:1], v[0:1], v[4:5]
	v_pk_mul_f32 v[2:3], v[2:3], v[6:7]
	buffer_store_dwordx4 v[22:25], v18, s[4:7], 0 offen
	buffer_store_dwordx4 v[0:3], v18, s[4:7], 16 offen
	s_or_b64 s[24:25], vcc, s[24:25]
	v_add_u32_e32 v18, s26, v18
	s_andn2_b64 exec, exec, s[24:25]
	s_cbranch_execnz .LBB228_8
.LBB228_9:
	s_endpgm
	.section	.rodata,"a",@progbits
	.p2align	6, 0x0
	.amdhsa_kernel _ZN5aiter30swiglu_act_and_mul_bias_kernelIffhfLi8EEEvPT0_PKT_PKT1_PKT2_il
		.amdhsa_group_segment_fixed_size 0
		.amdhsa_private_segment_fixed_size 0
		.amdhsa_kernarg_size 304
		.amdhsa_user_sgpr_count 2
		.amdhsa_user_sgpr_dispatch_ptr 0
		.amdhsa_user_sgpr_queue_ptr 0
		.amdhsa_user_sgpr_kernarg_segment_ptr 1
		.amdhsa_user_sgpr_dispatch_id 0
		.amdhsa_user_sgpr_kernarg_preload_length 0
		.amdhsa_user_sgpr_kernarg_preload_offset 0
		.amdhsa_user_sgpr_private_segment_size 0
		.amdhsa_uses_dynamic_stack 0
		.amdhsa_enable_private_segment 0
		.amdhsa_system_sgpr_workgroup_id_x 1
		.amdhsa_system_sgpr_workgroup_id_y 0
		.amdhsa_system_sgpr_workgroup_id_z 0
		.amdhsa_system_sgpr_workgroup_info 0
		.amdhsa_system_vgpr_workitem_id 0
		.amdhsa_next_free_vgpr 47
		.amdhsa_next_free_sgpr 31
		.amdhsa_accum_offset 48
		.amdhsa_reserve_vcc 1
		.amdhsa_float_round_mode_32 0
		.amdhsa_float_round_mode_16_64 0
		.amdhsa_float_denorm_mode_32 3
		.amdhsa_float_denorm_mode_16_64 3
		.amdhsa_dx10_clamp 1
		.amdhsa_ieee_mode 1
		.amdhsa_fp16_overflow 0
		.amdhsa_tg_split 0
		.amdhsa_exception_fp_ieee_invalid_op 0
		.amdhsa_exception_fp_denorm_src 0
		.amdhsa_exception_fp_ieee_div_zero 0
		.amdhsa_exception_fp_ieee_overflow 0
		.amdhsa_exception_fp_ieee_underflow 0
		.amdhsa_exception_fp_ieee_inexact 0
		.amdhsa_exception_int_div_zero 0
	.end_amdhsa_kernel
	.section	.text._ZN5aiter30swiglu_act_and_mul_bias_kernelIffhfLi8EEEvPT0_PKT_PKT1_PKT2_il,"axG",@progbits,_ZN5aiter30swiglu_act_and_mul_bias_kernelIffhfLi8EEEvPT0_PKT_PKT1_PKT2_il,comdat
.Lfunc_end228:
	.size	_ZN5aiter30swiglu_act_and_mul_bias_kernelIffhfLi8EEEvPT0_PKT_PKT1_PKT2_il, .Lfunc_end228-_ZN5aiter30swiglu_act_and_mul_bias_kernelIffhfLi8EEEvPT0_PKT_PKT1_PKT2_il
                                        ; -- End function
	.section	.AMDGPU.csdata,"",@progbits
; Kernel info:
; codeLenInByte = 1636
; NumSgprs: 37
; NumVgprs: 47
; NumAgprs: 0
; TotalNumVgprs: 47
; ScratchSize: 0
; MemoryBound: 0
; FloatMode: 240
; IeeeMode: 1
; LDSByteSize: 0 bytes/workgroup (compile time only)
; SGPRBlocks: 4
; VGPRBlocks: 5
; NumSGPRsForWavesPerEU: 37
; NumVGPRsForWavesPerEU: 47
; AccumOffset: 48
; Occupancy: 8
; WaveLimiterHint : 0
; COMPUTE_PGM_RSRC2:SCRATCH_EN: 0
; COMPUTE_PGM_RSRC2:USER_SGPR: 2
; COMPUTE_PGM_RSRC2:TRAP_HANDLER: 0
; COMPUTE_PGM_RSRC2:TGID_X_EN: 1
; COMPUTE_PGM_RSRC2:TGID_Y_EN: 0
; COMPUTE_PGM_RSRC2:TGID_Z_EN: 0
; COMPUTE_PGM_RSRC2:TIDIG_COMP_CNT: 0
; COMPUTE_PGM_RSRC3_GFX90A:ACCUM_OFFSET: 11
; COMPUTE_PGM_RSRC3_GFX90A:TG_SPLIT: 0
	.section	.text._ZN5aiter30swiglu_act_and_mul_bias_kernelIffhfLi4EEEvPT0_PKT_PKT1_PKT2_il,"axG",@progbits,_ZN5aiter30swiglu_act_and_mul_bias_kernelIffhfLi4EEEvPT0_PKT_PKT1_PKT2_il,comdat
	.protected	_ZN5aiter30swiglu_act_and_mul_bias_kernelIffhfLi4EEEvPT0_PKT_PKT1_PKT2_il ; -- Begin function _ZN5aiter30swiglu_act_and_mul_bias_kernelIffhfLi4EEEvPT0_PKT_PKT1_PKT2_il
	.globl	_ZN5aiter30swiglu_act_and_mul_bias_kernelIffhfLi4EEEvPT0_PKT_PKT1_PKT2_il
	.p2align	8
	.type	_ZN5aiter30swiglu_act_and_mul_bias_kernelIffhfLi4EEEvPT0_PKT_PKT1_PKT2_il,@function
_ZN5aiter30swiglu_act_and_mul_bias_kernelIffhfLi4EEEvPT0_PKT_PKT1_PKT2_il: ; @_ZN5aiter30swiglu_act_and_mul_bias_kernelIffhfLi4EEEvPT0_PKT_PKT1_PKT2_il
; %bb.0:
	s_load_dwordx2 s[4:5], s[0:1], 0x10
	s_load_dword s20, s[0:1], 0x20
	s_load_dwordx2 s[12:13], s[0:1], 0x28
	v_mov_b32_e32 v1, s2
	s_mov_b32 s9, 0
	s_waitcnt lgkmcnt(0)
	global_load_ubyte v1, v1, s[4:5]
	s_load_dwordx2 s[4:5], s[0:1], 0x0
	s_ashr_i32 s21, s20, 31
	s_mul_hi_u32 s3, s20, s2
	s_mul_i32 s7, s21, s2
	s_mul_i32 s14, s20, s2
	s_add_i32 s15, s3, s7
	s_lshl_b32 s6, s20, 2
	v_mov_b64_e32 v[2:3], s[12:13]
	s_lshl_b64 s[12:13], s[14:15], 2
	s_mov_b64 s[10:11], -1
	v_lshlrev_b32_e32 v16, 2, v0
	s_waitcnt vmcnt(0)
	v_readfirstlane_b32 s3, v1
	s_and_b32 s8, s3, 0xffff
	s_waitcnt lgkmcnt(0)
	s_add_u32 s4, s4, s12
	v_cmp_lt_i64_e32 vcc, s[8:9], v[2:3]
	s_addc_u32 s3, s5, s13
	s_and_b32 s5, s3, 0xffff
	s_cbranch_vccnz .LBB229_5
; %bb.1:
	v_cmp_gt_i32_e32 vcc, s20, v16
	s_and_saveexec_b64 s[10:11], vcc
	s_cbranch_execz .LBB229_4
; %bb.2:
	s_load_dword s3, s[0:1], 0x3c
	v_mov_b32_e32 v17, 0
	s_mov_b32 s13, 0
	v_lshlrev_b32_e32 v1, 4, v0
	s_mov_b64 s[14:15], 0
	s_waitcnt lgkmcnt(0)
	s_and_b32 s3, s3, 0xffff
	s_lshl_b32 s12, s3, 2
	s_lshl_b32 s3, s3, 4
	s_mov_b32 s7, 0x20000
	v_mov_b32_e32 v2, v17
	v_mov_b32_e32 v3, v17
	;; [unrolled: 1-line block ×4, first 2 shown]
	v_mov_b64_e32 v[6:7], v[16:17]
.LBB229_3:                              ; =>This Inner Loop Header: Depth=1
	v_lshl_add_u64 v[6:7], s[12:13], 0, v[6:7]
	v_cmp_le_i64_e32 vcc, s[20:21], v[6:7]
	buffer_store_dwordx4 v[2:5], v1, s[4:7], 0 offen
	s_or_b64 s[14:15], vcc, s[14:15]
	v_add_u32_e32 v1, s3, v1
	s_andn2_b64 exec, exec, s[14:15]
	s_cbranch_execnz .LBB229_3
.LBB229_4:
	s_or_b64 exec, exec, s[10:11]
	s_mov_b64 s[10:11], 0
.LBB229_5:
	s_andn2_b64 vcc, exec, s[10:11]
	s_cbranch_vccnz .LBB229_9
; %bb.6:
	v_cmp_gt_i32_e32 vcc, s20, v16
	s_and_saveexec_b64 s[10:11], vcc
	s_cbranch_execz .LBB229_9
; %bb.7:
	s_load_dwordx2 s[10:11], s[0:1], 0x8
	s_load_dwordx2 s[12:13], s[0:1], 0x18
	s_mul_hi_i32 s9, s20, s8
	s_mul_i32 s8, s20, s8
	s_lshl_b64 s[8:9], s[8:9], 3
	s_load_dword s18, s[0:1], 0x3c
	s_waitcnt lgkmcnt(0)
	s_add_u32 s0, s12, s8
	s_addc_u32 s1, s13, s9
	s_lshl_b64 s[14:15], s[20:21], 2
	s_add_u32 s8, s0, s14
	s_addc_u32 s3, s1, s15
	s_and_b32 s9, s3, 0xffff
	s_mul_i32 s3, s2, s21
	s_mul_hi_u32 s12, s2, s20
	s_add_i32 s3, s12, s3
	s_mul_i32 s2, s2, s20
	s_and_b32 s1, s1, 0xffff
	s_lshl_b64 s[2:3], s[2:3], 3
	s_add_u32 s12, s10, s2
	s_addc_u32 s2, s11, s3
	s_add_u32 s16, s12, s14
	s_mov_b32 s7, 0x20000
	s_addc_u32 s3, s2, s15
	s_and_b32 s13, s2, 0xffff
	s_and_b32 s2, s18, 0xffff
	;; [unrolled: 1-line block ×3, first 2 shown]
	s_mov_b32 s23, 0
	v_mov_b32_e32 v17, 0
	s_lshl_b32 s22, s2, 2
	v_lshlrev_b32_e32 v18, 4, v0
	s_lshl_b32 s26, s2, 4
	s_mov_b64 s[24:25], 0
	s_mov_b32 s11, s7
	s_mov_b32 s10, s6
	;; [unrolled: 1-line block ×7, first 2 shown]
	v_mov_b32_e32 v19, 0x7f800000
	s_mov_b32 s30, 0xc0e00000
	v_mov_b32_e32 v20, 0x40e00000
	s_mov_b32 s18, s6
	s_mov_b32 s19, s7
	;; [unrolled: 1-line block ×4, first 2 shown]
.LBB229_8:                              ; =>This Inner Loop Header: Depth=1
	buffer_load_dwordx4 v[4:7], v18, s[0:3], 0 offen
	buffer_load_dwordx4 v[8:11], v18, s[12:15], 0 offen
	;; [unrolled: 1-line block ×4, first 2 shown]
	v_lshl_add_u64 v[16:17], s[22:23], 0, v[16:17]
	v_cmp_le_i64_e32 vcc, s[20:21], v[16:17]
	s_or_b64 s[24:25], vcc, s[24:25]
	s_waitcnt vmcnt(2)
	v_pk_add_f32 v[4:5], v[8:9], v[4:5]
	s_nop 0
	v_min_f32_e32 v4, 0x40e00000, v4
	v_pk_add_f32 v[6:7], v[10:11], v[6:7]
	v_min_f32_e32 v5, 0x40e00000, v5
	v_mul_f32_e32 v8, 0xbfd9db23, v4
	s_waitcnt vmcnt(0)
	v_pk_add_f32 v[0:1], v[0:1], v[12:13]
	v_min_f32_e32 v6, 0x40e00000, v6
	v_mul_f32_e32 v9, 0xbfd9db23, v5
	v_mul_f32_e32 v12, 0x3fb8aa3b, v8
	v_min_f32_e32 v7, 0x40e00000, v7
	v_mul_f32_e32 v10, 0xbfd9db23, v6
	v_mul_f32_e32 v13, 0x3fb8aa3b, v9
	v_fma_f32 v21, v8, s27, -v12
	v_rndne_f32_e32 v22, v12
	v_pk_add_f32 v[2:3], v[2:3], v[14:15]
	v_mul_f32_e32 v11, 0xbfd9db23, v7
	v_mul_f32_e32 v14, 0x3fb8aa3b, v10
	v_fma_f32 v23, v9, s27, -v13
	v_rndne_f32_e32 v24, v13
	v_fmac_f32_e32 v21, 0x32a5705f, v8
	v_sub_f32_e32 v12, v12, v22
	v_mul_f32_e32 v15, 0x3fb8aa3b, v11
	v_fma_f32 v25, v10, s27, -v14
	v_rndne_f32_e32 v26, v14
	v_fmac_f32_e32 v23, 0x32a5705f, v9
	v_sub_f32_e32 v13, v13, v24
	v_add_f32_e32 v12, v12, v21
	v_fma_f32 v27, v11, s27, -v15
	v_rndne_f32_e32 v28, v15
	v_cvt_i32_f32_e32 v22, v22
	v_fmac_f32_e32 v25, 0x32a5705f, v10
	v_sub_f32_e32 v14, v14, v26
	v_add_f32_e32 v13, v13, v23
	v_exp_f32_e32 v12, v12
	v_cvt_i32_f32_e32 v24, v24
	v_fmac_f32_e32 v27, 0x32a5705f, v11
	v_sub_f32_e32 v15, v15, v28
	v_add_f32_e32 v14, v14, v25
	v_exp_f32_e32 v13, v13
	v_cvt_i32_f32_e32 v26, v26
	v_add_f32_e32 v15, v15, v27
	v_exp_f32_e32 v14, v14
	v_cvt_i32_f32_e32 v28, v28
	v_exp_f32_e32 v15, v15
	v_ldexp_f32 v12, v12, v22
	v_cmp_ngt_f32_e32 vcc, s28, v8
	v_ldexp_f32 v13, v13, v24
	v_ldexp_f32 v14, v14, v26
	v_cndmask_b32_e32 v12, 0, v12, vcc
	v_cmp_ngt_f32_e32 vcc, s28, v9
	v_ldexp_f32 v15, v15, v28
	v_med3_f32 v3, v3, s30, v20
	v_cndmask_b32_e32 v13, 0, v13, vcc
	v_cmp_ngt_f32_e32 vcc, s28, v10
	v_med3_f32 v2, v2, s30, v20
	v_med3_f32 v1, v1, s30, v20
	v_cndmask_b32_e32 v14, 0, v14, vcc
	v_cmp_ngt_f32_e32 vcc, s28, v11
	v_med3_f32 v0, v0, s30, v20
	v_pk_add_f32 v[2:3], v[2:3], 1.0 op_sel_hi:[1,0]
	v_cndmask_b32_e32 v15, 0, v15, vcc
	v_cmp_nlt_f32_e32 vcc, s29, v8
	v_pk_add_f32 v[0:1], v[0:1], 1.0 op_sel_hi:[1,0]
	s_nop 0
	v_cndmask_b32_e32 v8, v19, v12, vcc
	v_cmp_nlt_f32_e32 vcc, s29, v9
	v_add_f32_e32 v8, 1.0, v8
	v_rcp_f32_e32 v8, v8
	v_cndmask_b32_e32 v9, v19, v13, vcc
	v_cmp_nlt_f32_e32 vcc, s29, v10
	v_add_f32_e32 v9, 1.0, v9
	v_rcp_f32_e32 v9, v9
	;; [unrolled: 4-line block ×3, first 2 shown]
	v_cndmask_b32_e32 v11, v19, v15, vcc
	v_add_f32_e32 v11, 1.0, v11
	v_rcp_f32_e32 v11, v11
	v_pk_mul_f32 v[4:5], v[4:5], v[8:9]
	v_pk_mul_f32 v[6:7], v[6:7], v[10:11]
	s_nop 0
	v_pk_mul_f32 v[2:3], v[2:3], v[6:7]
	v_pk_mul_f32 v[0:1], v[0:1], v[4:5]
	buffer_store_dwordx4 v[0:3], v18, s[4:7], 0 offen
	v_add_u32_e32 v18, s26, v18
	s_andn2_b64 exec, exec, s[24:25]
	s_cbranch_execnz .LBB229_8
.LBB229_9:
	s_endpgm
	.section	.rodata,"a",@progbits
	.p2align	6, 0x0
	.amdhsa_kernel _ZN5aiter30swiglu_act_and_mul_bias_kernelIffhfLi4EEEvPT0_PKT_PKT1_PKT2_il
		.amdhsa_group_segment_fixed_size 0
		.amdhsa_private_segment_fixed_size 0
		.amdhsa_kernarg_size 304
		.amdhsa_user_sgpr_count 2
		.amdhsa_user_sgpr_dispatch_ptr 0
		.amdhsa_user_sgpr_queue_ptr 0
		.amdhsa_user_sgpr_kernarg_segment_ptr 1
		.amdhsa_user_sgpr_dispatch_id 0
		.amdhsa_user_sgpr_kernarg_preload_length 0
		.amdhsa_user_sgpr_kernarg_preload_offset 0
		.amdhsa_user_sgpr_private_segment_size 0
		.amdhsa_uses_dynamic_stack 0
		.amdhsa_enable_private_segment 0
		.amdhsa_system_sgpr_workgroup_id_x 1
		.amdhsa_system_sgpr_workgroup_id_y 0
		.amdhsa_system_sgpr_workgroup_id_z 0
		.amdhsa_system_sgpr_workgroup_info 0
		.amdhsa_system_vgpr_workitem_id 0
		.amdhsa_next_free_vgpr 29
		.amdhsa_next_free_sgpr 31
		.amdhsa_accum_offset 32
		.amdhsa_reserve_vcc 1
		.amdhsa_float_round_mode_32 0
		.amdhsa_float_round_mode_16_64 0
		.amdhsa_float_denorm_mode_32 3
		.amdhsa_float_denorm_mode_16_64 3
		.amdhsa_dx10_clamp 1
		.amdhsa_ieee_mode 1
		.amdhsa_fp16_overflow 0
		.amdhsa_tg_split 0
		.amdhsa_exception_fp_ieee_invalid_op 0
		.amdhsa_exception_fp_denorm_src 0
		.amdhsa_exception_fp_ieee_div_zero 0
		.amdhsa_exception_fp_ieee_overflow 0
		.amdhsa_exception_fp_ieee_underflow 0
		.amdhsa_exception_fp_ieee_inexact 0
		.amdhsa_exception_int_div_zero 0
	.end_amdhsa_kernel
	.section	.text._ZN5aiter30swiglu_act_and_mul_bias_kernelIffhfLi4EEEvPT0_PKT_PKT1_PKT2_il,"axG",@progbits,_ZN5aiter30swiglu_act_and_mul_bias_kernelIffhfLi4EEEvPT0_PKT_PKT1_PKT2_il,comdat
.Lfunc_end229:
	.size	_ZN5aiter30swiglu_act_and_mul_bias_kernelIffhfLi4EEEvPT0_PKT_PKT1_PKT2_il, .Lfunc_end229-_ZN5aiter30swiglu_act_and_mul_bias_kernelIffhfLi4EEEvPT0_PKT_PKT1_PKT2_il
                                        ; -- End function
	.section	.AMDGPU.csdata,"",@progbits
; Kernel info:
; codeLenInByte = 1104
; NumSgprs: 37
; NumVgprs: 29
; NumAgprs: 0
; TotalNumVgprs: 29
; ScratchSize: 0
; MemoryBound: 0
; FloatMode: 240
; IeeeMode: 1
; LDSByteSize: 0 bytes/workgroup (compile time only)
; SGPRBlocks: 4
; VGPRBlocks: 3
; NumSGPRsForWavesPerEU: 37
; NumVGPRsForWavesPerEU: 29
; AccumOffset: 32
; Occupancy: 8
; WaveLimiterHint : 0
; COMPUTE_PGM_RSRC2:SCRATCH_EN: 0
; COMPUTE_PGM_RSRC2:USER_SGPR: 2
; COMPUTE_PGM_RSRC2:TRAP_HANDLER: 0
; COMPUTE_PGM_RSRC2:TGID_X_EN: 1
; COMPUTE_PGM_RSRC2:TGID_Y_EN: 0
; COMPUTE_PGM_RSRC2:TGID_Z_EN: 0
; COMPUTE_PGM_RSRC2:TIDIG_COMP_CNT: 0
; COMPUTE_PGM_RSRC3_GFX90A:ACCUM_OFFSET: 7
; COMPUTE_PGM_RSRC3_GFX90A:TG_SPLIT: 0
	.section	.text._ZN5aiter30swiglu_act_and_mul_bias_kernelIffhfLi2EEEvPT0_PKT_PKT1_PKT2_il,"axG",@progbits,_ZN5aiter30swiglu_act_and_mul_bias_kernelIffhfLi2EEEvPT0_PKT_PKT1_PKT2_il,comdat
	.protected	_ZN5aiter30swiglu_act_and_mul_bias_kernelIffhfLi2EEEvPT0_PKT_PKT1_PKT2_il ; -- Begin function _ZN5aiter30swiglu_act_and_mul_bias_kernelIffhfLi2EEEvPT0_PKT_PKT1_PKT2_il
	.globl	_ZN5aiter30swiglu_act_and_mul_bias_kernelIffhfLi2EEEvPT0_PKT_PKT1_PKT2_il
	.p2align	8
	.type	_ZN5aiter30swiglu_act_and_mul_bias_kernelIffhfLi2EEEvPT0_PKT_PKT1_PKT2_il,@function
_ZN5aiter30swiglu_act_and_mul_bias_kernelIffhfLi2EEEvPT0_PKT_PKT1_PKT2_il: ; @_ZN5aiter30swiglu_act_and_mul_bias_kernelIffhfLi2EEEvPT0_PKT_PKT1_PKT2_il
; %bb.0:
	s_load_dwordx2 s[4:5], s[0:1], 0x10
	s_load_dword s20, s[0:1], 0x20
	s_load_dwordx2 s[12:13], s[0:1], 0x28
	v_mov_b32_e32 v1, s2
	s_mov_b32 s9, 0
	s_waitcnt lgkmcnt(0)
	global_load_ubyte v1, v1, s[4:5]
	s_load_dwordx2 s[4:5], s[0:1], 0x0
	s_ashr_i32 s21, s20, 31
	s_mul_hi_u32 s3, s20, s2
	s_mul_i32 s7, s21, s2
	s_mul_i32 s14, s20, s2
	s_add_i32 s15, s3, s7
	s_lshl_b32 s6, s20, 2
	v_mov_b64_e32 v[4:5], s[12:13]
	s_lshl_b64 s[12:13], s[14:15], 2
	s_mov_b64 s[10:11], -1
	v_lshlrev_b32_e32 v2, 1, v0
	s_waitcnt vmcnt(0)
	v_readfirstlane_b32 s3, v1
	s_and_b32 s8, s3, 0xffff
	s_waitcnt lgkmcnt(0)
	s_add_u32 s4, s4, s12
	v_cmp_lt_i64_e32 vcc, s[8:9], v[4:5]
	s_addc_u32 s3, s5, s13
	s_and_b32 s5, s3, 0xffff
	s_cbranch_vccnz .LBB230_5
; %bb.1:
	v_cmp_gt_i32_e32 vcc, s20, v2
	s_and_saveexec_b64 s[10:11], vcc
	s_cbranch_execz .LBB230_4
; %bb.2:
	s_load_dword s3, s[0:1], 0x3c
	v_mov_b32_e32 v3, 0
	s_mov_b32 s13, 0
	v_lshlrev_b32_e32 v1, 3, v0
	s_mov_b64 s[14:15], 0
	s_waitcnt lgkmcnt(0)
	s_and_b32 s3, s3, 0xffff
	s_lshl_b32 s12, s3, 1
	s_lshl_b32 s3, s3, 3
	s_mov_b32 s7, 0x20000
	v_mov_b32_e32 v4, v3
	v_mov_b32_e32 v5, v3
	v_mov_b64_e32 v[6:7], v[2:3]
.LBB230_3:                              ; =>This Inner Loop Header: Depth=1
	v_lshl_add_u64 v[6:7], s[12:13], 0, v[6:7]
	v_cmp_le_i64_e32 vcc, s[20:21], v[6:7]
	buffer_store_dwordx2 v[4:5], v1, s[4:7], 0 offen
	s_or_b64 s[14:15], vcc, s[14:15]
	v_add_u32_e32 v1, s3, v1
	s_andn2_b64 exec, exec, s[14:15]
	s_cbranch_execnz .LBB230_3
.LBB230_4:
	s_or_b64 exec, exec, s[10:11]
	s_mov_b64 s[10:11], 0
.LBB230_5:
	s_andn2_b64 vcc, exec, s[10:11]
	s_cbranch_vccnz .LBB230_9
; %bb.6:
	v_cmp_gt_i32_e32 vcc, s20, v2
	s_and_saveexec_b64 s[10:11], vcc
	s_cbranch_execz .LBB230_9
; %bb.7:
	s_load_dwordx2 s[10:11], s[0:1], 0x8
	s_load_dwordx2 s[12:13], s[0:1], 0x18
	s_mul_hi_i32 s9, s20, s8
	s_mul_i32 s8, s20, s8
	s_lshl_b64 s[8:9], s[8:9], 3
	s_load_dword s18, s[0:1], 0x3c
	s_waitcnt lgkmcnt(0)
	s_add_u32 s0, s12, s8
	s_addc_u32 s1, s13, s9
	s_lshl_b64 s[14:15], s[20:21], 2
	s_add_u32 s8, s0, s14
	s_addc_u32 s3, s1, s15
	s_and_b32 s9, s3, 0xffff
	s_mul_i32 s3, s2, s21
	s_mul_hi_u32 s12, s2, s20
	s_add_i32 s3, s12, s3
	s_mul_i32 s2, s2, s20
	s_and_b32 s1, s1, 0xffff
	s_lshl_b64 s[2:3], s[2:3], 3
	s_add_u32 s12, s10, s2
	s_addc_u32 s2, s11, s3
	s_add_u32 s16, s12, s14
	s_mov_b32 s7, 0x20000
	s_addc_u32 s3, s2, s15
	s_and_b32 s13, s2, 0xffff
	s_and_b32 s2, s18, 0xffff
	;; [unrolled: 1-line block ×3, first 2 shown]
	s_mov_b32 s23, 0
	v_mov_b32_e32 v3, 0
	s_lshl_b32 s22, s2, 1
	v_lshlrev_b32_e32 v0, 3, v0
	s_lshl_b32 s26, s2, 3
	s_mov_b64 s[24:25], 0
	s_mov_b32 s11, s7
	s_mov_b32 s10, s6
	;; [unrolled: 1-line block ×7, first 2 shown]
	v_mov_b32_e32 v1, 0x7f800000
	s_mov_b32 s30, 0xc0e00000
	v_mov_b32_e32 v4, 0x40e00000
	s_mov_b32 s18, s6
	s_mov_b32 s19, s7
	;; [unrolled: 1-line block ×4, first 2 shown]
.LBB230_8:                              ; =>This Inner Loop Header: Depth=1
	buffer_load_dwordx2 v[6:7], v0, s[0:3], 0 offen
	buffer_load_dwordx2 v[8:9], v0, s[12:15], 0 offen
	;; [unrolled: 1-line block ×4, first 2 shown]
	v_lshl_add_u64 v[2:3], s[22:23], 0, v[2:3]
	v_cmp_le_i64_e32 vcc, s[20:21], v[2:3]
	s_or_b64 s[24:25], vcc, s[24:25]
	s_waitcnt vmcnt(2)
	v_pk_add_f32 v[6:7], v[8:9], v[6:7]
	s_nop 0
	v_min_f32_e32 v6, 0x40e00000, v6
	v_min_f32_e32 v7, 0x40e00000, v7
	v_mul_f32_e32 v5, 0xbfd9db23, v6
	v_mul_f32_e32 v14, 0xbfd9db23, v7
	;; [unrolled: 1-line block ×4, first 2 shown]
	v_fma_f32 v15, v5, s27, -v8
	v_rndne_f32_e32 v16, v8
	v_fma_f32 v17, v14, s27, -v9
	v_rndne_f32_e32 v18, v9
	v_fmac_f32_e32 v15, 0x32a5705f, v5
	v_sub_f32_e32 v8, v8, v16
	v_fmac_f32_e32 v17, 0x32a5705f, v14
	v_sub_f32_e32 v9, v9, v18
	v_add_f32_e32 v8, v8, v15
	v_cvt_i32_f32_e32 v16, v16
	v_add_f32_e32 v9, v9, v17
	v_exp_f32_e32 v15, v8
	v_cvt_i32_f32_e32 v18, v18
	v_exp_f32_e32 v17, v9
	s_waitcnt vmcnt(0)
	v_pk_add_f32 v[8:9], v[10:11], v[12:13]
	v_ldexp_f32 v10, v15, v16
	v_cmp_ngt_f32_e32 vcc, s28, v5
	v_ldexp_f32 v11, v17, v18
	v_med3_f32 v9, v9, s30, v4
	v_cndmask_b32_e32 v10, 0, v10, vcc
	v_cmp_ngt_f32_e32 vcc, s28, v14
	v_med3_f32 v8, v8, s30, v4
	v_pk_add_f32 v[8:9], v[8:9], 1.0 op_sel_hi:[1,0]
	v_cndmask_b32_e32 v11, 0, v11, vcc
	v_cmp_nlt_f32_e32 vcc, s29, v5
	s_nop 1
	v_cndmask_b32_e32 v5, v1, v10, vcc
	v_cmp_nlt_f32_e32 vcc, s29, v14
	v_add_f32_e32 v5, 1.0, v5
	s_nop 0
	v_cndmask_b32_e32 v10, v1, v11, vcc
	v_add_f32_e32 v11, 1.0, v10
	v_rcp_f32_e32 v10, v5
	v_rcp_f32_e32 v11, v11
	s_nop 0
	v_pk_mul_f32 v[6:7], v[6:7], v[10:11]
	s_nop 0
	v_pk_mul_f32 v[6:7], v[8:9], v[6:7]
	buffer_store_dwordx2 v[6:7], v0, s[4:7], 0 offen
	v_add_u32_e32 v0, s26, v0
	s_andn2_b64 exec, exec, s[24:25]
	s_cbranch_execnz .LBB230_8
.LBB230_9:
	s_endpgm
	.section	.rodata,"a",@progbits
	.p2align	6, 0x0
	.amdhsa_kernel _ZN5aiter30swiglu_act_and_mul_bias_kernelIffhfLi2EEEvPT0_PKT_PKT1_PKT2_il
		.amdhsa_group_segment_fixed_size 0
		.amdhsa_private_segment_fixed_size 0
		.amdhsa_kernarg_size 304
		.amdhsa_user_sgpr_count 2
		.amdhsa_user_sgpr_dispatch_ptr 0
		.amdhsa_user_sgpr_queue_ptr 0
		.amdhsa_user_sgpr_kernarg_segment_ptr 1
		.amdhsa_user_sgpr_dispatch_id 0
		.amdhsa_user_sgpr_kernarg_preload_length 0
		.amdhsa_user_sgpr_kernarg_preload_offset 0
		.amdhsa_user_sgpr_private_segment_size 0
		.amdhsa_uses_dynamic_stack 0
		.amdhsa_enable_private_segment 0
		.amdhsa_system_sgpr_workgroup_id_x 1
		.amdhsa_system_sgpr_workgroup_id_y 0
		.amdhsa_system_sgpr_workgroup_id_z 0
		.amdhsa_system_sgpr_workgroup_info 0
		.amdhsa_system_vgpr_workitem_id 0
		.amdhsa_next_free_vgpr 19
		.amdhsa_next_free_sgpr 31
		.amdhsa_accum_offset 20
		.amdhsa_reserve_vcc 1
		.amdhsa_float_round_mode_32 0
		.amdhsa_float_round_mode_16_64 0
		.amdhsa_float_denorm_mode_32 3
		.amdhsa_float_denorm_mode_16_64 3
		.amdhsa_dx10_clamp 1
		.amdhsa_ieee_mode 1
		.amdhsa_fp16_overflow 0
		.amdhsa_tg_split 0
		.amdhsa_exception_fp_ieee_invalid_op 0
		.amdhsa_exception_fp_denorm_src 0
		.amdhsa_exception_fp_ieee_div_zero 0
		.amdhsa_exception_fp_ieee_overflow 0
		.amdhsa_exception_fp_ieee_underflow 0
		.amdhsa_exception_fp_ieee_inexact 0
		.amdhsa_exception_int_div_zero 0
	.end_amdhsa_kernel
	.section	.text._ZN5aiter30swiglu_act_and_mul_bias_kernelIffhfLi2EEEvPT0_PKT_PKT1_PKT2_il,"axG",@progbits,_ZN5aiter30swiglu_act_and_mul_bias_kernelIffhfLi2EEEvPT0_PKT_PKT1_PKT2_il,comdat
.Lfunc_end230:
	.size	_ZN5aiter30swiglu_act_and_mul_bias_kernelIffhfLi2EEEvPT0_PKT_PKT1_PKT2_il, .Lfunc_end230-_ZN5aiter30swiglu_act_and_mul_bias_kernelIffhfLi2EEEvPT0_PKT_PKT1_PKT2_il
                                        ; -- End function
	.section	.AMDGPU.csdata,"",@progbits
; Kernel info:
; codeLenInByte = 864
; NumSgprs: 37
; NumVgprs: 19
; NumAgprs: 0
; TotalNumVgprs: 19
; ScratchSize: 0
; MemoryBound: 0
; FloatMode: 240
; IeeeMode: 1
; LDSByteSize: 0 bytes/workgroup (compile time only)
; SGPRBlocks: 4
; VGPRBlocks: 2
; NumSGPRsForWavesPerEU: 37
; NumVGPRsForWavesPerEU: 19
; AccumOffset: 20
; Occupancy: 8
; WaveLimiterHint : 0
; COMPUTE_PGM_RSRC2:SCRATCH_EN: 0
; COMPUTE_PGM_RSRC2:USER_SGPR: 2
; COMPUTE_PGM_RSRC2:TRAP_HANDLER: 0
; COMPUTE_PGM_RSRC2:TGID_X_EN: 1
; COMPUTE_PGM_RSRC2:TGID_Y_EN: 0
; COMPUTE_PGM_RSRC2:TGID_Z_EN: 0
; COMPUTE_PGM_RSRC2:TIDIG_COMP_CNT: 0
; COMPUTE_PGM_RSRC3_GFX90A:ACCUM_OFFSET: 4
; COMPUTE_PGM_RSRC3_GFX90A:TG_SPLIT: 0
	.section	.text._ZN5aiter30swiglu_act_and_mul_bias_kernelIffhfLi1EEEvPT0_PKT_PKT1_PKT2_il,"axG",@progbits,_ZN5aiter30swiglu_act_and_mul_bias_kernelIffhfLi1EEEvPT0_PKT_PKT1_PKT2_il,comdat
	.protected	_ZN5aiter30swiglu_act_and_mul_bias_kernelIffhfLi1EEEvPT0_PKT_PKT1_PKT2_il ; -- Begin function _ZN5aiter30swiglu_act_and_mul_bias_kernelIffhfLi1EEEvPT0_PKT_PKT1_PKT2_il
	.globl	_ZN5aiter30swiglu_act_and_mul_bias_kernelIffhfLi1EEEvPT0_PKT_PKT1_PKT2_il
	.p2align	8
	.type	_ZN5aiter30swiglu_act_and_mul_bias_kernelIffhfLi1EEEvPT0_PKT_PKT1_PKT2_il,@function
_ZN5aiter30swiglu_act_and_mul_bias_kernelIffhfLi1EEEvPT0_PKT_PKT1_PKT2_il: ; @_ZN5aiter30swiglu_act_and_mul_bias_kernelIffhfLi1EEEvPT0_PKT_PKT1_PKT2_il
; %bb.0:
	s_load_dwordx2 s[4:5], s[0:1], 0x10
	s_load_dword s20, s[0:1], 0x20
	s_load_dwordx2 s[8:9], s[0:1], 0x28
	v_mov_b32_e32 v1, s2
	s_load_dwordx2 s[14:15], s[0:1], 0x0
	s_waitcnt lgkmcnt(0)
	global_load_ubyte v1, v1, s[4:5]
	s_ashr_i32 s21, s20, 31
	s_mul_hi_u32 s3, s20, s2
	s_mul_i32 s6, s21, s2
	s_mul_i32 s16, s20, s2
	s_add_i32 s17, s3, s6
	s_lshl_b32 s10, s20, 2
	v_mov_b64_e32 v[2:3], s[8:9]
	s_lshl_b64 s[8:9], s[16:17], 2
	s_mov_b32 s7, 0
	s_mov_b64 s[12:13], -1
	v_cmp_gt_i32_e64 s[4:5], s20, v0
	s_waitcnt vmcnt(0)
	v_readfirstlane_b32 s3, v1
	s_and_b32 s6, s3, 0xffff
	s_add_u32 s8, s14, s8
	v_cmp_lt_i64_e32 vcc, s[6:7], v[2:3]
	s_addc_u32 s3, s15, s9
	s_and_b32 s9, s3, 0xffff
	s_cbranch_vccnz .LBB231_5
; %bb.1:
	s_and_saveexec_b64 s[12:13], s[4:5]
	s_cbranch_execz .LBB231_4
; %bb.2:
	s_load_dword s3, s[0:1], 0x3c
	v_mov_b32_e32 v1, 0
	s_mov_b32 s5, 0
	v_lshlrev_b32_e32 v4, 2, v0
	s_mov_b64 s[14:15], 0
	s_waitcnt lgkmcnt(0)
	s_and_b32 s4, s3, 0xffff
	s_lshl_b32 s3, s4, 2
	s_mov_b32 s11, 0x20000
	v_mov_b64_e32 v[2:3], v[0:1]
.LBB231_3:                              ; =>This Inner Loop Header: Depth=1
	v_lshl_add_u64 v[2:3], v[2:3], 0, s[4:5]
	v_cmp_le_i64_e32 vcc, s[20:21], v[2:3]
	buffer_store_dword v1, v4, s[8:11], 0 offen
	s_or_b64 s[14:15], vcc, s[14:15]
	v_add_u32_e32 v4, s3, v4
	s_andn2_b64 exec, exec, s[14:15]
	s_cbranch_execnz .LBB231_3
.LBB231_4:
	s_or_b64 exec, exec, s[12:13]
	s_mov_b64 s[12:13], 0
.LBB231_5:
	s_andn2_b64 vcc, exec, s[12:13]
	s_cbranch_vccnz .LBB231_9
; %bb.6:
	v_cmp_gt_i32_e32 vcc, s20, v0
	s_and_saveexec_b64 s[4:5], vcc
	s_cbranch_execz .LBB231_9
; %bb.7:
	s_load_dwordx2 s[12:13], s[0:1], 0x8
	s_load_dwordx2 s[4:5], s[0:1], 0x18
	s_mul_hi_i32 s7, s20, s6
	s_mul_i32 s6, s20, s6
	s_lshl_b64 s[6:7], s[6:7], 3
	s_load_dword s14, s[0:1], 0x3c
	s_waitcnt lgkmcnt(0)
	s_add_u32 s0, s4, s6
	s_addc_u32 s1, s5, s7
	s_lshl_b64 s[6:7], s[20:21], 2
	s_add_u32 s4, s0, s6
	s_addc_u32 s3, s1, s7
	s_and_b32 s5, s3, 0xffff
	s_mul_i32 s3, s2, s21
	s_mul_hi_u32 s15, s2, s20
	s_add_i32 s3, s15, s3
	s_mul_i32 s2, s2, s20
	s_and_b32 s1, s1, 0xffff
	s_lshl_b64 s[2:3], s[2:3], 3
	s_add_u32 s12, s12, s2
	s_addc_u32 s2, s13, s3
	s_add_u32 s16, s12, s6
	s_mov_b32 s11, 0x20000
	s_addc_u32 s3, s2, s7
	s_and_b32 s22, s14, 0xffff
	s_and_b32 s13, s2, 0xffff
	;; [unrolled: 1-line block ×3, first 2 shown]
	s_mov_b32 s23, 0
	v_mov_b32_e32 v1, 0
	v_lshlrev_b32_e32 v2, 2, v0
	s_lshl_b32 s26, s22, 2
	s_mov_b64 s[24:25], 0
	s_mov_b32 s7, s11
	s_mov_b32 s6, s10
	;; [unrolled: 1-line block ×7, first 2 shown]
	v_mov_b32_e32 v3, 0x7f800000
	s_mov_b32 s18, s10
	s_mov_b32 s19, s11
	;; [unrolled: 1-line block ×4, first 2 shown]
.LBB231_8:                              ; =>This Inner Loop Header: Depth=1
	buffer_load_dword v4, v2, s[0:3], 0 offen
	buffer_load_dword v5, v2, s[12:15], 0 offen
	;; [unrolled: 1-line block ×4, first 2 shown]
	v_lshl_add_u64 v[0:1], v[0:1], 0, s[22:23]
	v_cmp_le_i64_e32 vcc, s[20:21], v[0:1]
	s_or_b64 s[24:25], vcc, s[24:25]
	s_waitcnt vmcnt(2)
	v_add_f32_e32 v4, v5, v4
	v_min_f32_e32 v4, 0x40e00000, v4
	v_mul_f32_e32 v5, 0xbfd9db23, v4
	v_mul_f32_e32 v8, 0x3fb8aa3b, v5
	v_fma_f32 v9, v5, s27, -v8
	v_rndne_f32_e32 v10, v8
	v_fmac_f32_e32 v9, 0x32a5705f, v5
	v_sub_f32_e32 v8, v8, v10
	v_add_f32_e32 v8, v8, v9
	v_cvt_i32_f32_e32 v10, v10
	v_exp_f32_e32 v8, v8
	s_waitcnt vmcnt(0)
	v_add_f32_e32 v6, v6, v7
	v_cmp_ngt_f32_e32 vcc, s28, v5
	v_max_f32_e32 v6, 0xc0e00000, v6
	v_ldexp_f32 v7, v8, v10
	v_cndmask_b32_e32 v7, 0, v7, vcc
	v_cmp_nlt_f32_e32 vcc, s29, v5
	v_min_f32_e32 v6, 0x40e00000, v6
	v_add_f32_e32 v6, 1.0, v6
	v_cndmask_b32_e32 v5, v3, v7, vcc
	v_add_f32_e32 v5, 1.0, v5
	v_rcp_f32_e32 v5, v5
	s_nop 0
	v_mul_f32_e32 v4, v4, v5
	v_mul_f32_e32 v4, v6, v4
	buffer_store_dword v4, v2, s[8:11], 0 offen
	v_add_u32_e32 v2, s26, v2
	s_andn2_b64 exec, exec, s[24:25]
	s_cbranch_execnz .LBB231_8
.LBB231_9:
	s_endpgm
	.section	.rodata,"a",@progbits
	.p2align	6, 0x0
	.amdhsa_kernel _ZN5aiter30swiglu_act_and_mul_bias_kernelIffhfLi1EEEvPT0_PKT_PKT1_PKT2_il
		.amdhsa_group_segment_fixed_size 0
		.amdhsa_private_segment_fixed_size 0
		.amdhsa_kernarg_size 304
		.amdhsa_user_sgpr_count 2
		.amdhsa_user_sgpr_dispatch_ptr 0
		.amdhsa_user_sgpr_queue_ptr 0
		.amdhsa_user_sgpr_kernarg_segment_ptr 1
		.amdhsa_user_sgpr_dispatch_id 0
		.amdhsa_user_sgpr_kernarg_preload_length 0
		.amdhsa_user_sgpr_kernarg_preload_offset 0
		.amdhsa_user_sgpr_private_segment_size 0
		.amdhsa_uses_dynamic_stack 0
		.amdhsa_enable_private_segment 0
		.amdhsa_system_sgpr_workgroup_id_x 1
		.amdhsa_system_sgpr_workgroup_id_y 0
		.amdhsa_system_sgpr_workgroup_id_z 0
		.amdhsa_system_sgpr_workgroup_info 0
		.amdhsa_system_vgpr_workitem_id 0
		.amdhsa_next_free_vgpr 11
		.amdhsa_next_free_sgpr 30
		.amdhsa_accum_offset 12
		.amdhsa_reserve_vcc 1
		.amdhsa_float_round_mode_32 0
		.amdhsa_float_round_mode_16_64 0
		.amdhsa_float_denorm_mode_32 3
		.amdhsa_float_denorm_mode_16_64 3
		.amdhsa_dx10_clamp 1
		.amdhsa_ieee_mode 1
		.amdhsa_fp16_overflow 0
		.amdhsa_tg_split 0
		.amdhsa_exception_fp_ieee_invalid_op 0
		.amdhsa_exception_fp_denorm_src 0
		.amdhsa_exception_fp_ieee_div_zero 0
		.amdhsa_exception_fp_ieee_overflow 0
		.amdhsa_exception_fp_ieee_underflow 0
		.amdhsa_exception_fp_ieee_inexact 0
		.amdhsa_exception_int_div_zero 0
	.end_amdhsa_kernel
	.section	.text._ZN5aiter30swiglu_act_and_mul_bias_kernelIffhfLi1EEEvPT0_PKT_PKT1_PKT2_il,"axG",@progbits,_ZN5aiter30swiglu_act_and_mul_bias_kernelIffhfLi1EEEvPT0_PKT_PKT1_PKT2_il,comdat
.Lfunc_end231:
	.size	_ZN5aiter30swiglu_act_and_mul_bias_kernelIffhfLi1EEEvPT0_PKT_PKT1_PKT2_il, .Lfunc_end231-_ZN5aiter30swiglu_act_and_mul_bias_kernelIffhfLi1EEEvPT0_PKT_PKT1_PKT2_il
                                        ; -- End function
	.section	.AMDGPU.csdata,"",@progbits
; Kernel info:
; codeLenInByte = 700
; NumSgprs: 36
; NumVgprs: 11
; NumAgprs: 0
; TotalNumVgprs: 11
; ScratchSize: 0
; MemoryBound: 0
; FloatMode: 240
; IeeeMode: 1
; LDSByteSize: 0 bytes/workgroup (compile time only)
; SGPRBlocks: 4
; VGPRBlocks: 1
; NumSGPRsForWavesPerEU: 36
; NumVGPRsForWavesPerEU: 11
; AccumOffset: 12
; Occupancy: 8
; WaveLimiterHint : 0
; COMPUTE_PGM_RSRC2:SCRATCH_EN: 0
; COMPUTE_PGM_RSRC2:USER_SGPR: 2
; COMPUTE_PGM_RSRC2:TRAP_HANDLER: 0
; COMPUTE_PGM_RSRC2:TGID_X_EN: 1
; COMPUTE_PGM_RSRC2:TGID_Y_EN: 0
; COMPUTE_PGM_RSRC2:TGID_Z_EN: 0
; COMPUTE_PGM_RSRC2:TIDIG_COMP_CNT: 0
; COMPUTE_PGM_RSRC3_GFX90A:ACCUM_OFFSET: 2
; COMPUTE_PGM_RSRC3_GFX90A:TG_SPLIT: 0
	.section	.text._ZN5aiter30swiglu_act_and_mul_bias_kernelIDF16_DF16_hfLi32EEEvPT0_PKT_PKT1_PKT2_il,"axG",@progbits,_ZN5aiter30swiglu_act_and_mul_bias_kernelIDF16_DF16_hfLi32EEEvPT0_PKT_PKT1_PKT2_il,comdat
	.protected	_ZN5aiter30swiglu_act_and_mul_bias_kernelIDF16_DF16_hfLi32EEEvPT0_PKT_PKT1_PKT2_il ; -- Begin function _ZN5aiter30swiglu_act_and_mul_bias_kernelIDF16_DF16_hfLi32EEEvPT0_PKT_PKT1_PKT2_il
	.globl	_ZN5aiter30swiglu_act_and_mul_bias_kernelIDF16_DF16_hfLi32EEEvPT0_PKT_PKT1_PKT2_il
	.p2align	8
	.type	_ZN5aiter30swiglu_act_and_mul_bias_kernelIDF16_DF16_hfLi32EEEvPT0_PKT_PKT1_PKT2_il,@function
_ZN5aiter30swiglu_act_and_mul_bias_kernelIDF16_DF16_hfLi32EEEvPT0_PKT_PKT1_PKT2_il: ; @_ZN5aiter30swiglu_act_and_mul_bias_kernelIDF16_DF16_hfLi32EEEvPT0_PKT_PKT1_PKT2_il
; %bb.0:
	s_load_dwordx2 s[4:5], s[0:1], 0x10
	s_load_dword s24, s[0:1], 0x20
	s_load_dwordx2 s[6:7], s[0:1], 0x28
	v_mov_b32_e32 v1, s2
	s_mov_b32 s9, 0
	s_waitcnt lgkmcnt(0)
	global_load_ubyte v1, v1, s[4:5]
	s_add_i32 s3, s24, 1
	s_load_dwordx2 s[4:5], s[0:1], 0x0
	v_mov_b64_e32 v[2:3], s[6:7]
	s_lshr_b32 s6, s3, 31
	s_ashr_i32 s25, s24, 31
	s_add_i32 s3, s3, s6
	s_mul_hi_u32 s8, s24, s2
	s_mul_i32 s7, s25, s2
	s_lshl_b32 s3, s3, 1
	s_mul_i32 s12, s24, s2
	s_add_i32 s13, s8, s7
	s_and_b32 s6, s3, -4
	s_lshl_b64 s[12:13], s[12:13], 1
	s_mov_b64 s[10:11], -1
	v_lshlrev_b32_e32 v42, 5, v0
	s_waitcnt vmcnt(0)
	v_readfirstlane_b32 s3, v1
	s_and_b32 s8, s3, 0xffff
	s_waitcnt lgkmcnt(0)
	s_add_u32 s4, s4, s12
	v_cmp_lt_i64_e32 vcc, s[8:9], v[2:3]
	s_addc_u32 s3, s5, s13
	s_and_b32 s5, s3, 0xffff
	s_cbranch_vccnz .LBB232_5
; %bb.1:
	v_cmp_gt_i32_e32 vcc, s24, v42
	s_and_saveexec_b64 s[10:11], vcc
	s_cbranch_execz .LBB232_4
; %bb.2:
	s_load_dword s3, s[0:1], 0x3c
	s_mov_b32 s13, 0
	s_mov_b32 s16, s13
	;; [unrolled: 1-line block ×3, first 2 shown]
	v_mov_b32_e32 v43, 0
	s_waitcnt lgkmcnt(0)
	s_and_b32 s3, s3, 0xffff
	s_mov_b32 s18, s13
	s_mov_b32 s19, s13
	v_mov_b64_e32 v[2:3], s[16:17]
	v_lshlrev_b32_e32 v1, 6, v0
	s_lshl_b32 s12, s3, 5
	s_lshl_b32 s3, s3, 6
	s_mov_b64 s[14:15], 0
	s_mov_b32 s7, 0x20000
	v_mov_b64_e32 v[4:5], s[18:19]
	v_mov_b64_e32 v[6:7], v[42:43]
.LBB232_3:                              ; =>This Inner Loop Header: Depth=1
	v_lshl_add_u64 v[6:7], s[12:13], 0, v[6:7]
	v_cmp_le_i64_e32 vcc, s[24:25], v[6:7]
	buffer_store_dwordx4 v[2:5], v1, s[4:7], 0 offen
	buffer_store_dwordx4 v[2:5], v1, s[4:7], 16 offen
	;; [unrolled: 1-line block ×4, first 2 shown]
	s_or_b64 s[14:15], vcc, s[14:15]
	v_add_u32_e32 v1, s3, v1
	s_andn2_b64 exec, exec, s[14:15]
	s_cbranch_execnz .LBB232_3
.LBB232_4:
	s_or_b64 exec, exec, s[10:11]
	s_mov_b64 s[10:11], 0
.LBB232_5:
	s_andn2_b64 vcc, exec, s[10:11]
	s_cbranch_vccnz .LBB232_9
; %bb.6:
	v_cmp_gt_i32_e32 vcc, s24, v42
	s_and_saveexec_b64 s[10:11], vcc
	s_cbranch_execz .LBB232_9
; %bb.7:
	s_load_dwordx2 s[14:15], s[0:1], 0x8
	s_load_dwordx2 s[10:11], s[0:1], 0x18
	s_mul_hi_i32 s9, s24, s8
	s_mul_i32 s8, s24, s8
	s_lshl_b64 s[8:9], s[8:9], 3
	s_load_dword s18, s[0:1], 0x3c
	s_waitcnt lgkmcnt(0)
	s_add_u32 s8, s10, s8
	s_addc_u32 s3, s11, s9
	s_lshl_b64 s[0:1], s[24:25], 2
	s_add_u32 s12, s8, s0
	s_addc_u32 s0, s3, s1
	s_and_b32 s13, s0, 0xffff
	s_mul_i32 s0, s2, s25
	s_mul_hi_u32 s1, s2, s24
	s_add_i32 s1, s1, s0
	s_mul_i32 s0, s2, s24
	s_lshl_b32 s10, s24, 2
	s_and_b32 s9, s3, 0xffff
	s_lshl_b64 s[0:1], s[0:1], 2
	s_add_u32 s16, s14, s0
	s_addc_u32 s2, s15, s1
	s_lshl_b64 s[0:1], s[24:25], 1
	s_add_u32 s20, s16, s0
	s_addc_u32 s0, s2, s1
	s_mov_b32 s7, 0x20000
	s_and_b32 s21, s0, 0xffff
	s_and_b32 s0, s18, 0xffff
	s_mov_b32 s11, s7
	s_and_b32 s17, s2, 0xffff
	s_mov_b32 s3, 0
	v_mov_b32_e32 v43, 0
	s_lshl_b32 s2, s0, 5
	v_lshlrev_b32_e32 v50, 7, v0
	s_lshl_b32 s28, s0, 7
	v_lshlrev_b32_e32 v51, 6, v0
	s_lshl_b32 s29, s0, 6
	s_mov_b64 s[26:27], 0
	s_mov_b32 s23, s7
	s_mov_b32 s22, s6
	s_movk_i32 s30, 0x50
	s_movk_i32 s31, 0x60
	;; [unrolled: 1-line block ×3, first 2 shown]
	s_mov_b32 s34, 0x3fb8aa3b
	s_mov_b32 s35, 0xc2ce8ed0
	;; [unrolled: 1-line block ×3, first 2 shown]
	v_mov_b32_e32 v52, 0x7f800000
	s_mov_b32 s37, 0xc0e00000
	v_mov_b32_e32 v53, 0x40e00000
	s_mov_b32 s18, s6
	s_mov_b32 s19, s7
.LBB232_8:                              ; =>This Inner Loop Header: Depth=1
	buffer_load_dwordx4 v[22:25], v51, s[16:19], 0 offen
	buffer_load_dwordx4 v[10:13], v51, s[20:23], 0 offen
	buffer_load_dwordx4 v[36:39], v50, s[8:11], 0 offen
	s_mov_b32 s14, s10
	s_mov_b32 s15, s11
	buffer_load_dwordx4 v[44:47], v50, s[12:15], 0 offen
	buffer_load_dwordx4 v[18:21], v51, s[16:19], 16 offen
	;; [unrolled: 1-line block ×7, first 2 shown]
	v_lshl_add_u64 v[42:43], s[2:3], 0, v[42:43]
	s_waitcnt vmcnt(9)
	v_cvt_f32_f16_e32 v8, v22
	v_cvt_f32_f16_sdwa v9, v22 dst_sel:DWORD dst_unused:UNUSED_PAD src0_sel:WORD_1
	v_cvt_f32_f16_e32 v22, v23
	v_cvt_f32_f16_sdwa v23, v23 dst_sel:DWORD dst_unused:UNUSED_PAD src0_sel:WORD_1
	s_waitcnt vmcnt(8)
	v_cvt_f32_f16_e32 v30, v10
	v_cvt_f32_f16_sdwa v31, v10 dst_sel:DWORD dst_unused:UNUSED_PAD src0_sel:WORD_1
	v_cvt_f32_f16_e32 v10, v11
	v_cvt_f32_f16_sdwa v11, v11 dst_sel:DWORD dst_unused:UNUSED_PAD src0_sel:WORD_1
	s_waitcnt vmcnt(7)
	v_pk_add_f32 v[8:9], v[36:37], v[8:9]
	v_pk_add_f32 v[22:23], v[38:39], v[22:23]
	v_min_f32_e32 v37, 0x40e00000, v9
	v_min_f32_e32 v36, 0x40e00000, v8
	;; [unrolled: 1-line block ×3, first 2 shown]
	v_mul_f32_e32 v38, 0xbfd9db23, v36
	v_mul_f32_e32 v39, 0xbfd9db23, v37
	s_waitcnt vmcnt(6)
	v_pk_add_f32 v[10:11], v[46:47], v[10:11]
	v_min_f32_e32 v23, 0x40e00000, v23
	v_mul_f32_e32 v40, 0xbfd9db23, v22
	v_mul_f32_e32 v8, 0x3fb8aa3b, v38
	;; [unrolled: 1-line block ×3, first 2 shown]
	v_pk_add_f32 v[30:31], v[44:45], v[30:31]
	v_med3_f32 v44, v10, s37, v53
	v_mul_f32_e32 v41, 0xbfd9db23, v23
	v_mul_f32_e32 v10, 0x3fb8aa3b, v40
	v_fma_f32 v46, v38, s34, -v8
	v_rndne_f32_e32 v47, v8
	v_fma_f32 v48, v39, s34, -v9
	v_rndne_f32_e32 v49, v9
	v_med3_f32 v45, v11, s37, v53
	v_mul_f32_e32 v11, 0x3fb8aa3b, v41
	v_fma_f32 v54, v40, s34, -v10
	v_rndne_f32_e32 v55, v10
	v_fmac_f32_e32 v46, 0x32a5705f, v38
	v_sub_f32_e32 v8, v8, v47
	v_fmac_f32_e32 v48, 0x32a5705f, v39
	v_sub_f32_e32 v9, v9, v49
	v_add_f32_e32 v8, v8, v46
	v_fma_f32 v46, v41, s34, -v11
	v_add_f32_e32 v9, v9, v48
	v_rndne_f32_e32 v48, v11
	v_fmac_f32_e32 v54, 0x32a5705f, v40
	v_sub_f32_e32 v10, v10, v55
	v_cvt_i32_f32_e32 v47, v47
	v_fmac_f32_e32 v46, 0x32a5705f, v41
	v_sub_f32_e32 v11, v11, v48
	v_add_f32_e32 v10, v10, v54
	v_exp_f32_e32 v8, v8
	v_cvt_i32_f32_e32 v49, v49
	v_cvt_i32_f32_e32 v55, v55
	v_add_f32_e32 v11, v11, v46
	v_exp_f32_e32 v9, v9
	v_exp_f32_e32 v46, v10
	v_cvt_i32_f32_e32 v48, v48
	v_exp_f32_e32 v54, v11
	v_ldexp_f32 v56, v8, v47
	v_cmp_ngt_f32_e32 vcc, s35, v38
	v_ldexp_f32 v49, v9, v49
	v_ldexp_f32 v55, v46, v55
	v_cvt_f32_f16_e32 v46, v24
	v_cvt_f32_f16_sdwa v47, v24 dst_sel:DWORD dst_unused:UNUSED_PAD src0_sel:WORD_1
	v_cndmask_b32_e32 v24, 0, v56, vcc
	v_cmp_ngt_f32_e32 vcc, s35, v39
	v_ldexp_f32 v48, v54, v48
	s_waitcnt vmcnt(1)
	v_pk_add_f32 v[32:33], v[32:33], v[46:47]
	v_cndmask_b32_e32 v49, 0, v49, vcc
	v_cmp_ngt_f32_e32 vcc, s35, v40
	v_med3_f32 v31, v31, s37, v53
	v_med3_f32 v30, v30, s37, v53
	v_cndmask_b32_e32 v54, 0, v55, vcc
	v_cmp_ngt_f32_e32 vcc, s35, v41
	v_min_f32_e32 v46, 0x40e00000, v32
	v_pk_add_f32 v[30:31], v[30:31], 1.0 op_sel_hi:[1,0]
	v_cndmask_b32_e32 v48, 0, v48, vcc
	v_cmp_nlt_f32_e32 vcc, s36, v38
	v_min_f32_e32 v47, 0x40e00000, v33
	buffer_load_dwordx4 v[8:11], v51, s[20:23], 32 offen
	v_cndmask_b32_e32 v24, v52, v24, vcc
	v_cmp_nlt_f32_e32 vcc, s36, v39
	v_add_f32_e32 v24, 1.0, v24
	s_nop 0
	v_cndmask_b32_e32 v38, v52, v49, vcc
	v_cmp_nlt_f32_e32 vcc, s36, v40
	v_add_f32_e32 v38, 1.0, v38
	v_rcp_f32_e32 v49, v38
	v_cndmask_b32_e32 v39, v52, v54, vcc
	v_cmp_nlt_f32_e32 vcc, s36, v41
	v_add_f32_e32 v39, 1.0, v39
	v_rcp_f32_e32 v54, v39
	v_cndmask_b32_e32 v40, v52, v48, vcc
	v_rcp_f32_e32 v48, v24
	v_add_f32_e32 v40, 1.0, v40
	v_rcp_f32_e32 v55, v40
	buffer_load_dwordx4 v[38:41], v50, s[8:11], 32 offen
	v_pk_mul_f32 v[36:37], v[36:37], v[48:49]
	v_mul_f32_e32 v24, 0xbfd9db23, v46
	v_pk_mul_f32 v[36:37], v[30:31], v[36:37]
	v_mul_f32_e32 v30, 0x3fb8aa3b, v24
	v_fma_f32 v31, v24, s34, -v30
	v_rndne_f32_e32 v32, v30
	v_fmac_f32_e32 v31, 0x32a5705f, v24
	v_sub_f32_e32 v30, v30, v32
	v_add_f32_e32 v30, v30, v31
	v_exp_f32_e32 v48, v30
	v_cvt_i32_f32_e32 v32, v32
	v_pk_mul_f32 v[22:23], v[22:23], v[54:55]
	v_pk_add_f32 v[30:31], v[44:45], 1.0 op_sel_hi:[1,0]
	v_cmp_ngt_f32_e32 vcc, s35, v24
	v_pk_mul_f32 v[44:45], v[30:31], v[22:23]
	v_ldexp_f32 v22, v48, v32
	v_cndmask_b32_e32 v22, 0, v22, vcc
	v_cmp_nlt_f32_e32 vcc, s36, v24
	v_cvt_f32_f16_sdwa v23, v12 dst_sel:DWORD dst_unused:UNUSED_PAD src0_sel:WORD_1
	v_cvt_f16_f32_e32 v54, v37
	v_cndmask_b32_e32 v24, v52, v22, vcc
	v_cvt_f32_f16_e32 v22, v12
	v_mul_f32_e32 v12, 0xbfd9db23, v47
	v_mul_f32_e32 v30, 0x3fb8aa3b, v12
	v_fma_f32 v31, v12, s34, -v30
	v_rndne_f32_e32 v32, v30
	v_fmac_f32_e32 v31, 0x32a5705f, v12
	v_sub_f32_e32 v30, v30, v32
	v_add_f32_e32 v30, v30, v31
	v_exp_f32_e32 v30, v30
	v_cvt_i32_f32_e32 v31, v32
	v_add_f32_e32 v24, 1.0, v24
	v_rcp_f32_e32 v48, v24
	v_cmp_ngt_f32_e32 vcc, s35, v12
	v_ldexp_f32 v24, v30, v31
	buffer_load_dwordx4 v[30:33], v50, s[8:11], 48 offen
	v_cndmask_b32_e32 v24, 0, v24, vcc
	v_cmp_nlt_f32_e32 vcc, s36, v12
	s_waitcnt vmcnt(3)
	v_pk_add_f32 v[22:23], v[26:27], v[22:23]
	v_cvt_f16_f32_e32 v55, v36
	v_cndmask_b32_e32 v12, v52, v24, vcc
	v_add_f32_e32 v12, 1.0, v12
	v_rcp_f32_e32 v49, v12
	v_med3_f32 v23, v23, s37, v53
	v_med3_f32 v22, v22, s37, v53
	v_pk_add_f32 v[22:23], v[22:23], 1.0 op_sel_hi:[1,0]
	v_pk_mul_f32 v[46:47], v[46:47], v[48:49]
	v_cvt_f32_f16_e32 v48, v25
	v_cvt_f32_f16_sdwa v49, v25 dst_sel:DWORD dst_unused:UNUSED_PAD src0_sel:WORD_1
	buffer_load_dwordx4 v[24:27], v50, s[12:15], 32 offen
	v_pk_mul_f32 v[46:47], v[22:23], v[46:47]
	v_pk_add_f32 v[22:23], v[34:35], v[48:49]
	s_nop 0
	v_min_f32_e32 v22, 0x40e00000, v22
	v_mul_f32_e32 v12, 0xbfd9db23, v22
	v_mul_f32_e32 v34, 0x3fb8aa3b, v12
	v_fma_f32 v35, v12, s34, -v34
	v_rndne_f32_e32 v48, v34
	v_fmac_f32_e32 v35, 0x32a5705f, v12
	v_sub_f32_e32 v34, v34, v48
	v_add_f32_e32 v34, v34, v35
	v_exp_f32_e32 v34, v34
	v_cvt_i32_f32_e32 v35, v48
	v_min_f32_e32 v23, 0x40e00000, v23
	v_cmp_ngt_f32_e32 vcc, s35, v12
	v_mul_f32_e32 v49, 0xbfd9db23, v23
	v_ldexp_f32 v34, v34, v35
	v_cndmask_b32_e32 v48, 0, v34, vcc
	v_mul_f32_e32 v34, 0x3fb8aa3b, v49
	v_fma_f32 v35, v49, s34, -v34
	v_rndne_f32_e32 v56, v34
	v_fmac_f32_e32 v35, 0x32a5705f, v49
	v_sub_f32_e32 v34, v34, v56
	v_add_f32_e32 v57, v34, v35
	buffer_load_dwordx4 v[34:37], v50, s[12:15], 48 offen
	v_cmp_nlt_f32_e32 vcc, s36, v12
	v_cvt_f32_f16_e32 v12, v13
	v_cvt_f32_f16_sdwa v13, v13 dst_sel:DWORD dst_unused:UNUSED_PAD src0_sel:WORD_1
	v_exp_f32_e32 v57, v57
	v_cvt_i32_f32_e32 v56, v56
	v_cndmask_b32_e32 v48, v52, v48, vcc
	v_pk_add_f32 v[12:13], v[28:29], v[12:13]
	v_cmp_ngt_f32_e32 vcc, s35, v49
	v_ldexp_f32 v29, v57, v56
	v_add_f32_e32 v48, 1.0, v48
	v_cndmask_b32_e32 v29, 0, v29, vcc
	v_cmp_nlt_f32_e32 vcc, s36, v49
	v_rcp_f32_e32 v28, v48
	v_cvt_f32_f16_e32 v48, v18
	v_cndmask_b32_e32 v29, v52, v29, vcc
	v_add_f32_e32 v29, 1.0, v29
	v_rcp_f32_e32 v29, v29
	v_cvt_f32_f16_sdwa v49, v18 dst_sel:DWORD dst_unused:UNUSED_PAD src0_sel:WORD_1
	v_med3_f32 v13, v13, s37, v53
	v_med3_f32 v12, v12, s37, v53
	v_pk_mul_f32 v[22:23], v[22:23], v[28:29]
	s_waitcnt vmcnt(3)
	v_pk_add_f32 v[28:29], v[38:39], v[48:49]
	v_pk_add_f32 v[12:13], v[12:13], 1.0 op_sel_hi:[1,0]
	v_min_f32_e32 v28, 0x40e00000, v28
	v_mul_f32_e32 v18, 0xbfd9db23, v28
	v_mul_f32_e32 v38, 0x3fb8aa3b, v18
	v_fma_f32 v39, v18, s34, -v38
	v_rndne_f32_e32 v48, v38
	v_fmac_f32_e32 v39, 0x32a5705f, v18
	v_sub_f32_e32 v38, v38, v48
	v_add_f32_e32 v38, v38, v39
	v_exp_f32_e32 v38, v38
	v_cvt_i32_f32_e32 v39, v48
	v_min_f32_e32 v29, 0x40e00000, v29
	v_pk_mul_f32 v[48:49], v[12:13], v[22:23]
	v_cmp_ngt_f32_e32 vcc, s35, v18
	v_ldexp_f32 v12, v38, v39
	v_mul_f32_e32 v13, 0xbfd9db23, v29
	v_cndmask_b32_e32 v12, 0, v12, vcc
	v_cmp_nlt_f32_e32 vcc, s36, v18
	v_mul_f32_e32 v18, 0x3fb8aa3b, v13
	v_fma_f32 v22, v13, s34, -v18
	v_rndne_f32_e32 v23, v18
	v_fmac_f32_e32 v22, 0x32a5705f, v13
	v_sub_f32_e32 v18, v18, v23
	v_add_f32_e32 v18, v18, v22
	v_exp_f32_e32 v18, v18
	v_cvt_i32_f32_e32 v38, v23
	v_cndmask_b32_e32 v12, v52, v12, vcc
	v_cvt_f32_f16_e32 v22, v14
	v_cvt_f32_f16_sdwa v23, v14 dst_sel:DWORD dst_unused:UNUSED_PAD src0_sel:WORD_1
	v_ldexp_f32 v14, v18, v38
	v_cmp_ngt_f32_e32 vcc, s35, v13
	v_add_f32_e32 v12, 1.0, v12
	v_rcp_f32_e32 v12, v12
	v_cndmask_b32_e32 v14, 0, v14, vcc
	v_cmp_nlt_f32_e32 vcc, s36, v13
	s_waitcnt vmcnt(1)
	v_pk_add_f32 v[22:23], v[24:25], v[22:23]
	v_cndmask_b32_e32 v13, v52, v14, vcc
	v_add_f32_e32 v13, 1.0, v13
	v_rcp_f32_e32 v13, v13
	v_med3_f32 v39, v23, s37, v53
	v_med3_f32 v38, v22, s37, v53
	buffer_load_dwordx4 v[22:25], v50, s[8:11], 64 offen
	v_pk_mul_f32 v[12:13], v[28:29], v[12:13]
	v_cvt_f32_f16_e32 v28, v19
	v_cvt_f32_f16_sdwa v29, v19 dst_sel:DWORD dst_unused:UNUSED_PAD src0_sel:WORD_1
	v_pk_add_f32 v[18:19], v[38:39], 1.0 op_sel_hi:[1,0]
	s_nop 0
	v_pk_mul_f32 v[18:19], v[18:19], v[12:13]
	v_pk_add_f32 v[12:13], v[40:41], v[28:29]
	s_nop 0
	v_min_f32_e32 v12, 0x40e00000, v12
	v_mul_f32_e32 v28, 0xbfd9db23, v12
	v_mul_f32_e32 v14, 0x3fb8aa3b, v28
	v_fma_f32 v29, v28, s34, -v14
	v_rndne_f32_e32 v38, v14
	v_fmac_f32_e32 v29, 0x32a5705f, v28
	v_sub_f32_e32 v14, v14, v38
	v_add_f32_e32 v14, v14, v29
	v_exp_f32_e32 v29, v14
	v_cvt_i32_f32_e32 v38, v38
	v_cvt_f32_f16_e32 v14, v15
	v_cvt_f32_f16_sdwa v15, v15 dst_sel:DWORD dst_unused:UNUSED_PAD src0_sel:WORD_1
	v_min_f32_e32 v13, 0x40e00000, v13
	v_mul_f32_e32 v39, 0xbfd9db23, v13
	v_ldexp_f32 v29, v29, v38
	v_cmp_ngt_f32_e32 vcc, s35, v28
	v_pk_add_f32 v[14:15], v[26:27], v[14:15]
	v_mul_f32_e32 v26, 0x3fb8aa3b, v39
	v_cndmask_b32_e32 v38, 0, v29, vcc
	v_fma_f32 v27, v39, s34, -v26
	v_rndne_f32_e32 v29, v26
	v_fmac_f32_e32 v27, 0x32a5705f, v39
	v_sub_f32_e32 v26, v26, v29
	v_add_f32_e32 v26, v26, v27
	v_exp_f32_e32 v40, v26
	v_cvt_i32_f32_e32 v41, v29
	v_cmp_nlt_f32_e32 vcc, s36, v28
	buffer_load_dwordx4 v[26:29], v50, s[12:15], 64 offen
	v_med3_f32 v15, v15, s37, v53
	v_cndmask_b32_e32 v38, v52, v38, vcc
	v_ldexp_f32 v40, v40, v41
	v_cmp_ngt_f32_e32 vcc, s35, v39
	v_add_f32_e32 v38, 1.0, v38
	v_rcp_f32_e32 v38, v38
	v_cndmask_b32_e32 v40, 0, v40, vcc
	v_cmp_nlt_f32_e32 vcc, s36, v39
	v_cvt_f32_f16_sdwa v41, v20 dst_sel:DWORD dst_unused:UNUSED_PAD src0_sel:WORD_1
	v_med3_f32 v14, v14, s37, v53
	v_cndmask_b32_e32 v39, v52, v40, vcc
	v_add_f32_e32 v39, 1.0, v39
	v_rcp_f32_e32 v39, v39
	v_cvt_f32_f16_e32 v40, v20
	v_pk_add_f32 v[14:15], v[14:15], 1.0 op_sel_hi:[1,0]
	v_pk_mul_f32 v[12:13], v[12:13], v[38:39]
	s_nop 0
	v_pk_mul_f32 v[38:39], v[14:15], v[12:13]
	v_pk_add_f32 v[12:13], v[30:31], v[40:41]
	v_cvt_f16_f32_e32 v40, v45
	v_min_f32_e32 v12, 0x40e00000, v12
	v_mul_f32_e32 v14, 0xbfd9db23, v12
	v_mul_f32_e32 v15, 0x3fb8aa3b, v14
	v_min_f32_e32 v13, 0x40e00000, v13
	v_fma_f32 v20, v14, s34, -v15
	v_rndne_f32_e32 v30, v15
	v_fmac_f32_e32 v20, 0x32a5705f, v14
	v_sub_f32_e32 v15, v15, v30
	v_cvt_f16_f32_e32 v45, v46
	v_mul_f32_e32 v46, 0xbfd9db23, v13
	v_add_f32_e32 v15, v15, v20
	v_cvt_i32_f32_e32 v20, v30
	v_mul_f32_e32 v30, 0x3fb8aa3b, v46
	v_exp_f32_e32 v15, v15
	v_cvt_f16_f32_e32 v41, v44
	v_cvt_f16_f32_e32 v44, v47
	v_fma_f32 v31, v46, s34, -v30
	v_rndne_f32_e32 v47, v30
	v_fmac_f32_e32 v31, 0x32a5705f, v46
	v_sub_f32_e32 v30, v30, v47
	v_add_f32_e32 v30, v30, v31
	v_exp_f32_e32 v30, v30
	v_cvt_i32_f32_e32 v31, v47
	v_ldexp_f32 v15, v15, v20
	v_cvt_f32_f16_e32 v20, v21
	v_cvt_f32_f16_sdwa v21, v21 dst_sel:DWORD dst_unused:UNUSED_PAD src0_sel:WORD_1
	v_cmp_ngt_f32_e32 vcc, s35, v14
	v_cvt_f16_f32_e32 v47, v48
	v_pk_add_f32 v[20:21], v[32:33], v[20:21]
	v_cndmask_b32_e32 v15, 0, v15, vcc
	v_cmp_nlt_f32_e32 vcc, s36, v14
	v_min_f32_e32 v20, 0x40e00000, v20
	v_mul_f32_e32 v60, 0xbfd9db23, v20
	v_cndmask_b32_e32 v14, v52, v15, vcc
	v_ldexp_f32 v15, v30, v31
	v_cvt_f32_f16_e32 v30, v16
	v_cvt_f32_f16_sdwa v31, v16 dst_sel:DWORD dst_unused:UNUSED_PAD src0_sel:WORD_1
	v_mul_f32_e32 v16, 0x3fb8aa3b, v60
	v_min_f32_e32 v21, 0x40e00000, v21
	v_cmp_ngt_f32_e32 vcc, s35, v46
	s_waitcnt vmcnt(2)
	v_pk_add_f32 v[30:31], v[34:35], v[30:31]
	v_cvt_f16_f32_e32 v35, v18
	v_med3_f32 v57, v31, s37, v53
	v_med3_f32 v56, v30, s37, v53
	v_fma_f32 v30, v60, s34, -v16
	v_rndne_f32_e32 v31, v16
	v_fmac_f32_e32 v30, 0x32a5705f, v60
	v_sub_f32_e32 v16, v16, v31
	v_add_f32_e32 v16, v16, v30
	v_exp_f32_e32 v16, v16
	v_cvt_i32_f32_e32 v30, v31
	v_cvt_f16_f32_e32 v34, v19
	v_cndmask_b32_e32 v15, 0, v15, vcc
	v_cmp_nlt_f32_e32 vcc, s36, v46
	v_ldexp_f32 v18, v16, v30
	v_cvt_f32_f16_e32 v16, v17
	v_cvt_f32_f16_sdwa v17, v17 dst_sel:DWORD dst_unused:UNUSED_PAD src0_sel:WORD_1
	buffer_load_dwordx4 v[30:33], v50, s[8:11], s30 offen
	v_cndmask_b32_e32 v15, v52, v15, vcc
	v_cmp_ngt_f32_e32 vcc, s35, v60
	v_pk_add_f32 v[36:37], v[36:37], v[16:17]
	v_mul_f32_e32 v16, 0xbfd9db23, v21
	v_mul_f32_e32 v17, 0x3fb8aa3b, v16
	v_fma_f32 v19, v16, s34, -v17
	v_rndne_f32_e32 v48, v17
	v_fmac_f32_e32 v19, 0x32a5705f, v16
	v_sub_f32_e32 v17, v17, v48
	v_add_f32_e32 v17, v17, v19
	v_exp_f32_e32 v17, v17
	v_cvt_i32_f32_e32 v19, v48
	v_cndmask_b32_e32 v18, 0, v18, vcc
	v_cmp_nlt_f32_e32 vcc, s36, v60
	v_cvt_f16_f32_e32 v46, v49
	v_ldexp_f32 v17, v17, v19
	v_cndmask_b32_e32 v18, v52, v18, vcc
	v_cmp_ngt_f32_e32 vcc, s35, v16
	v_add_f32_e32 v18, 1.0, v18
	v_rcp_f32_e32 v48, v18
	v_cndmask_b32_e32 v17, 0, v17, vcc
	v_cmp_nlt_f32_e32 vcc, s36, v16
	v_add_f32_e32 v14, 1.0, v14
	v_add_f32_e32 v15, 1.0, v15
	v_cndmask_b32_e32 v16, v52, v17, vcc
	v_add_f32_e32 v16, 1.0, v16
	v_rcp_f32_e32 v49, v16
	buffer_load_dwordx4 v[16:19], v50, s[12:15], s30 offen
	v_rcp_f32_e32 v14, v14
	v_rcp_f32_e32 v15, v15
	v_pk_mul_f32 v[20:21], v[20:21], v[48:49]
	v_cvt_f32_f16_e32 v48, v4
	v_cvt_f32_f16_sdwa v49, v4 dst_sel:DWORD dst_unused:UNUSED_PAD src0_sel:WORD_1
	v_med3_f32 v37, v37, s37, v53
	v_med3_f32 v36, v36, s37, v53
	v_pk_add_f32 v[36:37], v[36:37], 1.0 op_sel_hi:[1,0]
	v_pk_mul_f32 v[58:59], v[12:13], v[14:15]
	buffer_load_dwordx4 v[12:15], v51, s[20:23], 48 offen
	v_pk_mul_f32 v[20:21], v[36:37], v[20:21]
	v_cvt_f32_f16_e32 v36, v8
	v_cvt_f32_f16_sdwa v37, v8 dst_sel:DWORD dst_unused:UNUSED_PAD src0_sel:WORD_1
	s_waitcnt vmcnt(4)
	v_pk_add_f32 v[22:23], v[22:23], v[48:49]
	v_pk_add_f32 v[56:57], v[56:57], 1.0 op_sel_hi:[1,0]
	v_min_f32_e32 v22, 0x40e00000, v22
	v_mul_f32_e32 v4, 0xbfd9db23, v22
	v_mul_f32_e32 v8, 0x3fb8aa3b, v4
	s_waitcnt vmcnt(3)
	v_pk_add_f32 v[26:27], v[26:27], v[36:37]
	v_fma_f32 v36, v4, s34, -v8
	v_rndne_f32_e32 v37, v8
	v_fmac_f32_e32 v36, 0x32a5705f, v4
	v_sub_f32_e32 v8, v8, v37
	v_add_f32_e32 v8, v8, v36
	v_exp_f32_e32 v8, v8
	v_cvt_i32_f32_e32 v36, v37
	v_min_f32_e32 v23, 0x40e00000, v23
	v_cmp_ngt_f32_e64 s[0:1], s35, v4
	v_med3_f32 v27, v27, s37, v53
	v_ldexp_f32 v8, v8, v36
	v_mul_f32_e32 v36, 0xbfd9db23, v23
	v_mul_f32_e32 v37, 0x3fb8aa3b, v36
	v_fma_f32 v48, v36, s34, -v37
	v_rndne_f32_e32 v49, v37
	v_fmac_f32_e32 v48, 0x32a5705f, v36
	v_sub_f32_e32 v37, v37, v49
	v_add_f32_e32 v37, v37, v48
	v_exp_f32_e32 v37, v37
	v_cvt_i32_f32_e32 v48, v49
	v_cmp_ngt_f32_e32 vcc, s35, v36
	v_cndmask_b32_e64 v8, 0, v8, s[0:1]
	v_cmp_nlt_f32_e64 s[0:1], s36, v4
	v_ldexp_f32 v37, v37, v48
	v_cndmask_b32_e32 v37, 0, v37, vcc
	v_cmp_nlt_f32_e32 vcc, s36, v36
	v_cndmask_b32_e64 v4, v52, v8, s[0:1]
	v_add_f32_e32 v4, 1.0, v4
	v_cndmask_b32_e32 v8, v52, v37, vcc
	v_add_f32_e32 v8, 1.0, v8
	v_rcp_f32_e32 v48, v4
	v_rcp_f32_e32 v49, v8
	v_med3_f32 v26, v26, s37, v53
	v_pk_mul_f32 v[56:57], v[56:57], v[58:59]
	v_cvt_f16_f32_e32 v36, v39
	v_pk_mul_f32 v[22:23], v[22:23], v[48:49]
	v_cvt_f32_f16_e32 v48, v5
	v_cvt_f32_f16_sdwa v49, v5 dst_sel:DWORD dst_unused:UNUSED_PAD src0_sel:WORD_1
	v_pk_add_f32 v[4:5], v[26:27], 1.0 op_sel_hi:[1,0]
	v_cvt_f16_f32_e32 v37, v38
	v_pk_mul_f32 v[4:5], v[4:5], v[22:23]
	v_pk_add_f32 v[22:23], v[24:25], v[48:49]
	v_cvt_f16_f32_e32 v48, v21
	v_min_f32_e32 v22, 0x40e00000, v22
	v_mul_f32_e32 v8, 0xbfd9db23, v22
	v_mul_f32_e32 v24, 0x3fb8aa3b, v8
	v_fma_f32 v25, v8, s34, -v24
	v_rndne_f32_e32 v26, v24
	v_fmac_f32_e32 v25, 0x32a5705f, v8
	v_sub_f32_e32 v24, v24, v26
	v_add_f32_e32 v24, v24, v25
	v_exp_f32_e32 v24, v24
	v_cvt_i32_f32_e32 v25, v26
	v_min_f32_e32 v23, 0x40e00000, v23
	v_cvt_f16_f32_e32 v49, v20
	v_cmp_ngt_f32_e32 vcc, s35, v8
	v_ldexp_f32 v20, v24, v25
	v_mul_f32_e32 v21, 0xbfd9db23, v23
	v_cndmask_b32_e32 v20, 0, v20, vcc
	v_cmp_nlt_f32_e32 vcc, s36, v8
	v_mul_f32_e32 v8, 0x3fb8aa3b, v21
	v_fma_f32 v24, v21, s34, -v8
	v_rndne_f32_e32 v25, v8
	v_fmac_f32_e32 v24, 0x32a5705f, v21
	v_sub_f32_e32 v8, v8, v25
	v_add_f32_e32 v24, v8, v24
	v_exp_f32_e32 v24, v24
	v_cvt_i32_f32_e32 v25, v25
	v_cndmask_b32_e32 v20, v52, v20, vcc
	v_cmp_ngt_f32_e32 vcc, s35, v21
	v_add_f32_e32 v20, 1.0, v20
	v_ldexp_f32 v24, v24, v25
	v_cndmask_b32_e32 v24, 0, v24, vcc
	v_cmp_nlt_f32_e32 vcc, s36, v21
	v_rcp_f32_e32 v20, v20
	v_cvt_f32_f16_sdwa v25, v6 dst_sel:DWORD dst_unused:UNUSED_PAD src0_sel:WORD_1
	v_cndmask_b32_e32 v21, v52, v24, vcc
	v_add_f32_e32 v21, 1.0, v21
	v_rcp_f32_e32 v21, v21
	v_cvt_f32_f16_e32 v24, v6
	v_cvt_f32_f16_e32 v8, v9
	v_cvt_f32_f16_sdwa v9, v9 dst_sel:DWORD dst_unused:UNUSED_PAD src0_sel:WORD_1
	v_pk_mul_f32 v[20:21], v[22:23], v[20:21]
	s_waitcnt vmcnt(2)
	v_pk_add_f32 v[22:23], v[30:31], v[24:25]
	v_cvt_f16_f32_e32 v38, v57
	v_min_f32_e32 v22, 0x40e00000, v22
	v_mul_f32_e32 v6, 0xbfd9db23, v22
	v_mul_f32_e32 v24, 0x3fb8aa3b, v6
	v_fma_f32 v25, v6, s34, -v24
	v_rndne_f32_e32 v26, v24
	v_fmac_f32_e32 v25, 0x32a5705f, v6
	v_sub_f32_e32 v24, v24, v26
	v_add_f32_e32 v24, v24, v25
	v_exp_f32_e32 v24, v24
	v_cvt_i32_f32_e32 v25, v26
	v_pk_add_f32 v[8:9], v[28:29], v[8:9]
	v_min_f32_e32 v23, 0x40e00000, v23
	v_med3_f32 v9, v9, s37, v53
	v_med3_f32 v8, v8, s37, v53
	v_pk_add_f32 v[8:9], v[8:9], 1.0 op_sel_hi:[1,0]
	v_cmp_ngt_f32_e32 vcc, s35, v6
	v_pk_mul_f32 v[8:9], v[8:9], v[20:21]
	v_ldexp_f32 v20, v24, v25
	v_cndmask_b32_e32 v20, 0, v20, vcc
	v_cmp_nlt_f32_e32 vcc, s36, v6
	v_mul_f32_e32 v21, 0xbfd9db23, v23
	v_cvt_f16_f32_e32 v39, v56
	v_cndmask_b32_e32 v6, v52, v20, vcc
	v_mul_f32_e32 v20, 0x3fb8aa3b, v21
	v_fma_f32 v24, v21, s34, -v20
	v_rndne_f32_e32 v25, v20
	v_fmac_f32_e32 v24, 0x32a5705f, v21
	v_sub_f32_e32 v20, v20, v25
	v_add_f32_e32 v20, v20, v24
	v_exp_f32_e32 v26, v20
	v_cvt_i32_f32_e32 v27, v25
	v_add_f32_e32 v6, 1.0, v6
	v_rcp_f32_e32 v20, v6
	v_cvt_f32_f16_e32 v24, v10
	v_cvt_f32_f16_sdwa v25, v10 dst_sel:DWORD dst_unused:UNUSED_PAD src0_sel:WORD_1
	v_ldexp_f32 v6, v26, v27
	v_cmp_ngt_f32_e32 vcc, s35, v21
	v_cvt_f16_f32_e32 v28, v9
	s_waitcnt vmcnt(1)
	v_pk_add_f32 v[16:17], v[16:17], v[24:25]
	v_cndmask_b32_e32 v6, 0, v6, vcc
	v_cmp_nlt_f32_e32 vcc, s36, v21
	buffer_load_dwordx4 v[24:27], v50, s[8:11], s31 offen
	v_med3_f32 v31, v17, s37, v53
	v_cndmask_b32_e32 v6, v52, v6, vcc
	v_add_f32_e32 v6, 1.0, v6
	v_rcp_f32_e32 v21, v6
	v_cvt_f32_f16_e32 v6, v7
	v_cvt_f32_f16_sdwa v7, v7 dst_sel:DWORD dst_unused:UNUSED_PAD src0_sel:WORD_1
	v_med3_f32 v30, v16, s37, v53
	v_pk_mul_f32 v[56:57], v[22:23], v[20:21]
	buffer_load_dwordx4 v[20:23], v50, s[12:15], s31 offen
	v_pk_add_f32 v[6:7], v[32:33], v[6:7]
	v_cvt_f16_f32_e32 v16, v5
	v_min_f32_e32 v32, 0x40e00000, v6
	v_mul_f32_e32 v6, 0xbfd9db23, v32
	v_min_f32_e32 v33, 0x40e00000, v7
	v_mul_f32_e32 v7, 0x3fb8aa3b, v6
	v_fma_f32 v10, v6, s34, -v7
	v_rndne_f32_e32 v17, v7
	v_fmac_f32_e32 v10, 0x32a5705f, v6
	v_sub_f32_e32 v7, v7, v17
	v_add_f32_e32 v7, v7, v10
	v_exp_f32_e32 v5, v7
	v_cvt_i32_f32_e32 v7, v17
	v_cvt_f16_f32_e32 v17, v4
	v_cvt_f16_f32_e32 v29, v8
	v_cvt_f32_f16_e32 v4, v11
	v_ldexp_f32 v7, v5, v7
	v_cvt_f32_f16_sdwa v5, v11 dst_sel:DWORD dst_unused:UNUSED_PAD src0_sel:WORD_1
	buffer_load_dwordx4 v[8:11], v50, s[8:11], s33 offen
	v_cmp_ngt_f32_e32 vcc, s35, v6
	v_pk_add_f32 v[30:31], v[30:31], 1.0 op_sel_hi:[1,0]
	v_pk_add_f32 v[18:19], v[18:19], v[4:5]
	v_mul_f32_e32 v4, 0xbfd9db23, v33
	v_mul_f32_e32 v5, 0x3fb8aa3b, v4
	v_fma_f32 v58, v4, s34, -v5
	v_rndne_f32_e32 v59, v5
	v_fmac_f32_e32 v58, 0x32a5705f, v4
	v_sub_f32_e32 v5, v5, v59
	v_add_f32_e32 v5, v5, v58
	v_exp_f32_e32 v5, v5
	v_cvt_i32_f32_e32 v59, v59
	v_cndmask_b32_e32 v7, 0, v7, vcc
	v_cmp_nlt_f32_e32 vcc, s36, v6
	v_pk_mul_f32 v[30:31], v[30:31], v[56:57]
	v_ldexp_f32 v5, v5, v59
	v_cndmask_b32_e32 v6, v52, v7, vcc
	v_cmp_ngt_f32_e32 vcc, s35, v4
	v_add_f32_e32 v6, 1.0, v6
	v_rcp_f32_e32 v58, v6
	v_cndmask_b32_e32 v5, 0, v5, vcc
	v_cmp_nlt_f32_e32 vcc, s36, v4
	v_cvt_f32_f16_e32 v56, v0
	v_cvt_f32_f16_sdwa v57, v0 dst_sel:DWORD dst_unused:UNUSED_PAD src0_sel:WORD_1
	v_cndmask_b32_e32 v4, v52, v5, vcc
	v_add_f32_e32 v4, 1.0, v4
	v_rcp_f32_e32 v59, v4
	buffer_load_dwordx4 v[4:7], v50, s[12:15], s33 offen
	v_med3_f32 v19, v19, s37, v53
	v_med3_f32 v18, v18, s37, v53
	v_pk_mul_f32 v[32:33], v[32:33], v[58:59]
	v_pk_add_f32 v[18:19], v[18:19], 1.0 op_sel_hi:[1,0]
	v_cvt_f16_f32_e32 v31, v31
	v_pk_mul_f32 v[18:19], v[18:19], v[32:33]
	s_waitcnt vmcnt(4)
	v_cvt_f32_f16_e32 v32, v12
	v_cvt_f32_f16_sdwa v33, v12 dst_sel:DWORD dst_unused:UNUSED_PAD src0_sel:WORD_1
	v_cvt_f16_f32_e32 v30, v30
	v_add_u32_e32 v50, s28, v50
	s_waitcnt vmcnt(3)
	v_pk_add_f32 v[24:25], v[24:25], v[56:57]
	s_nop 0
	v_min_f32_e32 v24, 0x40e00000, v24
	v_mul_f32_e32 v0, 0xbfd9db23, v24
	v_mul_f32_e32 v12, 0x3fb8aa3b, v0
	v_min_f32_e32 v25, 0x40e00000, v25
	v_cmp_ngt_f32_e64 s[0:1], s35, v0
	s_waitcnt vmcnt(2)
	v_pk_add_f32 v[20:21], v[20:21], v[32:33]
	v_fma_f32 v32, v0, s34, -v12
	v_rndne_f32_e32 v33, v12
	v_fmac_f32_e32 v32, 0x32a5705f, v0
	v_sub_f32_e32 v12, v12, v33
	v_add_f32_e32 v12, v12, v32
	v_exp_f32_e32 v12, v12
	v_cvt_i32_f32_e32 v32, v33
	v_med3_f32 v21, v21, s37, v53
	v_med3_f32 v20, v20, s37, v53
	v_pk_add_f32 v[20:21], v[20:21], 1.0 op_sel_hi:[1,0]
	v_ldexp_f32 v12, v12, v32
	v_mul_f32_e32 v32, 0xbfd9db23, v25
	v_mul_f32_e32 v33, 0x3fb8aa3b, v32
	v_fma_f32 v56, v32, s34, -v33
	v_rndne_f32_e32 v57, v33
	v_fmac_f32_e32 v56, 0x32a5705f, v32
	v_sub_f32_e32 v33, v33, v57
	v_add_f32_e32 v33, v33, v56
	v_exp_f32_e32 v33, v33
	v_cvt_i32_f32_e32 v56, v57
	v_cndmask_b32_e64 v12, 0, v12, s[0:1]
	v_cmp_nlt_f32_e64 s[0:1], s36, v0
	v_cmp_ngt_f32_e32 vcc, s35, v32
	v_ldexp_f32 v33, v33, v56
	v_cndmask_b32_e64 v0, v52, v12, s[0:1]
	v_cndmask_b32_e32 v33, 0, v33, vcc
	v_cmp_nlt_f32_e32 vcc, s36, v32
	v_add_f32_e32 v0, 1.0, v0
	v_rcp_f32_e32 v32, v0
	v_cndmask_b32_e32 v12, v52, v33, vcc
	v_cvt_f32_f16_e32 v0, v1
	v_cvt_f32_f16_sdwa v1, v1 dst_sel:DWORD dst_unused:UNUSED_PAD src0_sel:WORD_1
	v_add_f32_e32 v12, 1.0, v12
	v_rcp_f32_e32 v33, v12
	v_cvt_f16_f32_e32 v56, v19
	v_pk_add_f32 v[0:1], v[26:27], v[0:1]
	v_cvt_f16_f32_e32 v57, v18
	v_min_f32_e32 v0, 0x40e00000, v0
	v_pk_mul_f32 v[18:19], v[24:25], v[32:33]
	v_mul_f32_e32 v12, 0xbfd9db23, v0
	v_pk_mul_f32 v[18:19], v[20:21], v[18:19]
	v_mul_f32_e32 v20, 0x3fb8aa3b, v12
	v_fma_f32 v21, v12, s34, -v20
	v_rndne_f32_e32 v24, v20
	v_fmac_f32_e32 v21, 0x32a5705f, v12
	v_sub_f32_e32 v20, v20, v24
	v_add_f32_e32 v20, v20, v21
	v_exp_f32_e32 v20, v20
	v_cvt_i32_f32_e32 v21, v24
	v_min_f32_e32 v1, 0x40e00000, v1
	v_cvt_f16_f32_e32 v24, v19
	v_cvt_f16_f32_e32 v25, v18
	v_ldexp_f32 v18, v20, v21
	v_cmp_ngt_f32_e32 vcc, s35, v12
	v_mul_f32_e32 v19, 0xbfd9db23, v1
	s_nop 0
	v_cndmask_b32_e32 v18, 0, v18, vcc
	v_cmp_nlt_f32_e32 vcc, s36, v12
	v_mul_f32_e32 v12, 0x3fb8aa3b, v19
	v_fma_f32 v20, v19, s34, -v12
	v_rndne_f32_e32 v21, v12
	v_fmac_f32_e32 v20, 0x32a5705f, v19
	v_sub_f32_e32 v12, v12, v21
	v_add_f32_e32 v20, v12, v20
	v_exp_f32_e32 v20, v20
	v_cvt_i32_f32_e32 v21, v21
	v_cndmask_b32_e32 v18, v52, v18, vcc
	v_cmp_ngt_f32_e32 vcc, s35, v19
	v_cvt_f32_f16_e32 v12, v13
	v_ldexp_f32 v20, v20, v21
	v_cndmask_b32_e32 v20, 0, v20, vcc
	v_cmp_nlt_f32_e32 vcc, s36, v19
	v_cvt_f32_f16_sdwa v13, v13 dst_sel:DWORD dst_unused:UNUSED_PAD src0_sel:WORD_1
	v_cvt_f32_f16_sdwa v21, v2 dst_sel:DWORD dst_unused:UNUSED_PAD src0_sel:WORD_1
	v_cndmask_b32_e32 v19, v52, v20, vcc
	v_cvt_f32_f16_e32 v20, v2
	v_add_f32_e32 v18, 1.0, v18
	v_add_f32_e32 v19, 1.0, v19
	v_rcp_f32_e32 v18, v18
	v_rcp_f32_e32 v19, v19
	v_pk_add_f32 v[12:13], v[22:23], v[12:13]
	s_waitcnt vmcnt(1)
	v_pk_add_f32 v[8:9], v[8:9], v[20:21]
	v_med3_f32 v13, v13, s37, v53
	v_med3_f32 v12, v12, s37, v53
	v_min_f32_e32 v8, 0x40e00000, v8
	v_pk_mul_f32 v[0:1], v[0:1], v[18:19]
	v_pk_add_f32 v[12:13], v[12:13], 1.0 op_sel_hi:[1,0]
	v_mul_f32_e32 v2, 0xbfd9db23, v8
	v_pk_mul_f32 v[0:1], v[12:13], v[0:1]
	v_mul_f32_e32 v12, 0x3fb8aa3b, v2
	v_fma_f32 v13, v2, s34, -v12
	v_rndne_f32_e32 v18, v12
	v_fmac_f32_e32 v13, 0x32a5705f, v2
	v_sub_f32_e32 v12, v12, v18
	v_add_f32_e32 v12, v12, v13
	v_exp_f32_e32 v12, v12
	v_cvt_i32_f32_e32 v13, v18
	v_min_f32_e32 v9, 0x40e00000, v9
	v_cvt_f16_f32_e32 v19, v0
	v_cmp_ngt_f32_e32 vcc, s35, v2
	v_ldexp_f32 v0, v12, v13
	v_mul_f32_e32 v13, 0xbfd9db23, v9
	v_cndmask_b32_e32 v0, 0, v0, vcc
	v_cmp_nlt_f32_e32 vcc, s36, v2
	v_mul_f32_e32 v12, 0x3fb8aa3b, v13
	v_cvt_f16_f32_e32 v18, v1
	v_cndmask_b32_e32 v2, v52, v0, vcc
	v_cvt_f32_f16_e32 v0, v14
	v_cvt_f32_f16_sdwa v1, v14 dst_sel:DWORD dst_unused:UNUSED_PAD src0_sel:WORD_1
	v_fma_f32 v14, v13, s34, -v12
	v_rndne_f32_e32 v20, v12
	v_fmac_f32_e32 v14, 0x32a5705f, v13
	v_sub_f32_e32 v12, v12, v20
	v_add_f32_e32 v12, v12, v14
	v_exp_f32_e32 v14, v12
	v_cvt_i32_f32_e32 v20, v20
	v_add_f32_e32 v2, 1.0, v2
	v_rcp_f32_e32 v12, v2
	v_cmp_ngt_f32_e32 vcc, s35, v13
	v_ldexp_f32 v2, v14, v20
	s_waitcnt vmcnt(0)
	v_pk_add_f32 v[0:1], v[4:5], v[0:1]
	v_cndmask_b32_e32 v2, 0, v2, vcc
	v_cmp_nlt_f32_e32 vcc, s36, v13
	v_med3_f32 v1, v1, s37, v53
	v_med3_f32 v0, v0, s37, v53
	v_cndmask_b32_e32 v2, v52, v2, vcc
	v_add_f32_e32 v2, 1.0, v2
	v_rcp_f32_e32 v13, v2
	v_cvt_f32_f16_e32 v2, v3
	v_cvt_f32_f16_sdwa v3, v3 dst_sel:DWORD dst_unused:UNUSED_PAD src0_sel:WORD_1
	v_pk_add_f32 v[0:1], v[0:1], 1.0 op_sel_hi:[1,0]
	v_pk_mul_f32 v[4:5], v[8:9], v[12:13]
	v_pk_add_f32 v[2:3], v[10:11], v[2:3]
	s_nop 0
	v_min_f32_e32 v2, 0x40e00000, v2
	v_pk_mul_f32 v[0:1], v[0:1], v[4:5]
	v_mul_f32_e32 v4, 0xbfd9db23, v2
	v_mul_f32_e32 v5, 0x3fb8aa3b, v4
	v_fma_f32 v8, v4, s34, -v5
	v_rndne_f32_e32 v9, v5
	v_fmac_f32_e32 v8, 0x32a5705f, v4
	v_sub_f32_e32 v5, v5, v9
	v_add_f32_e32 v5, v5, v8
	v_exp_f32_e32 v5, v5
	v_cvt_i32_f32_e32 v8, v9
	v_min_f32_e32 v3, 0x40e00000, v3
	v_cvt_f16_f32_e32 v9, v1
	v_cvt_f16_f32_e32 v10, v0
	v_ldexp_f32 v0, v5, v8
	v_cmp_ngt_f32_e32 vcc, s35, v4
	v_mul_f32_e32 v1, 0xbfd9db23, v3
	s_nop 0
	v_cndmask_b32_e32 v0, 0, v0, vcc
	v_cmp_nlt_f32_e32 vcc, s36, v4
	v_mul_f32_e32 v4, 0x3fb8aa3b, v1
	v_fma_f32 v5, v1, s34, -v4
	v_rndne_f32_e32 v8, v4
	v_fmac_f32_e32 v5, 0x32a5705f, v1
	v_sub_f32_e32 v4, v4, v8
	v_add_f32_e32 v4, v4, v5
	v_exp_f32_e32 v11, v4
	v_cvt_i32_f32_e32 v8, v8
	v_cndmask_b32_e32 v0, v52, v0, vcc
	v_cmp_ngt_f32_e32 vcc, s35, v1
	v_cvt_f32_f16_e32 v4, v15
	v_ldexp_f32 v8, v11, v8
	v_cndmask_b32_e32 v8, 0, v8, vcc
	v_cmp_nlt_f32_e32 vcc, s36, v1
	v_cvt_f32_f16_sdwa v5, v15 dst_sel:DWORD dst_unused:UNUSED_PAD src0_sel:WORD_1
	v_add_f32_e32 v0, 1.0, v0
	v_cndmask_b32_e32 v1, v52, v8, vcc
	v_add_f32_e32 v1, 1.0, v1
	v_rcp_f32_e32 v0, v0
	v_rcp_f32_e32 v1, v1
	v_pk_add_f32 v[4:5], v[6:7], v[4:5]
	v_cmp_le_i64_e32 vcc, s[24:25], v[42:43]
	v_med3_f32 v5, v5, s37, v53
	v_med3_f32 v4, v4, s37, v53
	v_pk_mul_f32 v[0:1], v[2:3], v[0:1]
	v_pk_add_f32 v[2:3], v[4:5], 1.0 op_sel_hi:[1,0]
	s_or_b64 s[26:27], vcc, s[26:27]
	v_pk_mul_f32 v[0:1], v[2:3], v[0:1]
	v_pack_b32_f16 v3, v47, v46
	v_cvt_f16_f32_e32 v4, v1
	v_cvt_f16_f32_e32 v5, v0
	v_pack_b32_f16 v1, v41, v40
	v_pack_b32_f16 v2, v45, v44
	v_pack_b32_f16 v0, v55, v54
	buffer_store_dwordx4 v[0:3], v51, s[4:7], 0 offen
	s_nop 1
	v_pack_b32_f16 v3, v49, v48
	v_pack_b32_f16 v1, v37, v36
	v_pack_b32_f16 v2, v39, v38
	v_pack_b32_f16 v0, v35, v34
	buffer_store_dwordx4 v[0:3], v51, s[4:7], 16 offen
	s_nop 1
	v_pack_b32_f16 v3, v57, v56
	v_pack_b32_f16 v1, v29, v28
	v_pack_b32_f16 v2, v30, v31
	v_pack_b32_f16 v0, v17, v16
	buffer_store_dwordx4 v[0:3], v51, s[4:7], 32 offen
	s_nop 1
	v_pack_b32_f16 v3, v5, v4
	v_pack_b32_f16 v1, v19, v18
	v_pack_b32_f16 v2, v10, v9
	;; [unrolled: 1-line block ×3, first 2 shown]
	buffer_store_dwordx4 v[0:3], v51, s[4:7], 48 offen
	v_add_u32_e32 v51, s29, v51
	s_andn2_b64 exec, exec, s[26:27]
	s_cbranch_execnz .LBB232_8
.LBB232_9:
	s_endpgm
	.section	.rodata,"a",@progbits
	.p2align	6, 0x0
	.amdhsa_kernel _ZN5aiter30swiglu_act_and_mul_bias_kernelIDF16_DF16_hfLi32EEEvPT0_PKT_PKT1_PKT2_il
		.amdhsa_group_segment_fixed_size 0
		.amdhsa_private_segment_fixed_size 0
		.amdhsa_kernarg_size 304
		.amdhsa_user_sgpr_count 2
		.amdhsa_user_sgpr_dispatch_ptr 0
		.amdhsa_user_sgpr_queue_ptr 0
		.amdhsa_user_sgpr_kernarg_segment_ptr 1
		.amdhsa_user_sgpr_dispatch_id 0
		.amdhsa_user_sgpr_kernarg_preload_length 0
		.amdhsa_user_sgpr_kernarg_preload_offset 0
		.amdhsa_user_sgpr_private_segment_size 0
		.amdhsa_uses_dynamic_stack 0
		.amdhsa_enable_private_segment 0
		.amdhsa_system_sgpr_workgroup_id_x 1
		.amdhsa_system_sgpr_workgroup_id_y 0
		.amdhsa_system_sgpr_workgroup_id_z 0
		.amdhsa_system_sgpr_workgroup_info 0
		.amdhsa_system_vgpr_workitem_id 0
		.amdhsa_next_free_vgpr 61
		.amdhsa_next_free_sgpr 38
		.amdhsa_accum_offset 64
		.amdhsa_reserve_vcc 1
		.amdhsa_float_round_mode_32 0
		.amdhsa_float_round_mode_16_64 0
		.amdhsa_float_denorm_mode_32 3
		.amdhsa_float_denorm_mode_16_64 3
		.amdhsa_dx10_clamp 1
		.amdhsa_ieee_mode 1
		.amdhsa_fp16_overflow 0
		.amdhsa_tg_split 0
		.amdhsa_exception_fp_ieee_invalid_op 0
		.amdhsa_exception_fp_denorm_src 0
		.amdhsa_exception_fp_ieee_div_zero 0
		.amdhsa_exception_fp_ieee_overflow 0
		.amdhsa_exception_fp_ieee_underflow 0
		.amdhsa_exception_fp_ieee_inexact 0
		.amdhsa_exception_int_div_zero 0
	.end_amdhsa_kernel
	.section	.text._ZN5aiter30swiglu_act_and_mul_bias_kernelIDF16_DF16_hfLi32EEEvPT0_PKT_PKT1_PKT2_il,"axG",@progbits,_ZN5aiter30swiglu_act_and_mul_bias_kernelIDF16_DF16_hfLi32EEEvPT0_PKT_PKT1_PKT2_il,comdat
.Lfunc_end232:
	.size	_ZN5aiter30swiglu_act_and_mul_bias_kernelIDF16_DF16_hfLi32EEEvPT0_PKT_PKT1_PKT2_il, .Lfunc_end232-_ZN5aiter30swiglu_act_and_mul_bias_kernelIDF16_DF16_hfLi32EEEvPT0_PKT_PKT1_PKT2_il
                                        ; -- End function
	.section	.AMDGPU.csdata,"",@progbits
; Kernel info:
; codeLenInByte = 5496
; NumSgprs: 44
; NumVgprs: 61
; NumAgprs: 0
; TotalNumVgprs: 61
; ScratchSize: 0
; MemoryBound: 0
; FloatMode: 240
; IeeeMode: 1
; LDSByteSize: 0 bytes/workgroup (compile time only)
; SGPRBlocks: 5
; VGPRBlocks: 7
; NumSGPRsForWavesPerEU: 44
; NumVGPRsForWavesPerEU: 61
; AccumOffset: 64
; Occupancy: 8
; WaveLimiterHint : 0
; COMPUTE_PGM_RSRC2:SCRATCH_EN: 0
; COMPUTE_PGM_RSRC2:USER_SGPR: 2
; COMPUTE_PGM_RSRC2:TRAP_HANDLER: 0
; COMPUTE_PGM_RSRC2:TGID_X_EN: 1
; COMPUTE_PGM_RSRC2:TGID_Y_EN: 0
; COMPUTE_PGM_RSRC2:TGID_Z_EN: 0
; COMPUTE_PGM_RSRC2:TIDIG_COMP_CNT: 0
; COMPUTE_PGM_RSRC3_GFX90A:ACCUM_OFFSET: 15
; COMPUTE_PGM_RSRC3_GFX90A:TG_SPLIT: 0
	.section	.text._ZN5aiter30swiglu_act_and_mul_bias_kernelIDF16_DF16_hfLi16EEEvPT0_PKT_PKT1_PKT2_il,"axG",@progbits,_ZN5aiter30swiglu_act_and_mul_bias_kernelIDF16_DF16_hfLi16EEEvPT0_PKT_PKT1_PKT2_il,comdat
	.protected	_ZN5aiter30swiglu_act_and_mul_bias_kernelIDF16_DF16_hfLi16EEEvPT0_PKT_PKT1_PKT2_il ; -- Begin function _ZN5aiter30swiglu_act_and_mul_bias_kernelIDF16_DF16_hfLi16EEEvPT0_PKT_PKT1_PKT2_il
	.globl	_ZN5aiter30swiglu_act_and_mul_bias_kernelIDF16_DF16_hfLi16EEEvPT0_PKT_PKT1_PKT2_il
	.p2align	8
	.type	_ZN5aiter30swiglu_act_and_mul_bias_kernelIDF16_DF16_hfLi16EEEvPT0_PKT_PKT1_PKT2_il,@function
_ZN5aiter30swiglu_act_and_mul_bias_kernelIDF16_DF16_hfLi16EEEvPT0_PKT_PKT1_PKT2_il: ; @_ZN5aiter30swiglu_act_and_mul_bias_kernelIDF16_DF16_hfLi16EEEvPT0_PKT_PKT1_PKT2_il
; %bb.0:
	s_load_dwordx2 s[4:5], s[0:1], 0x10
	s_load_dword s24, s[0:1], 0x20
	s_load_dwordx2 s[6:7], s[0:1], 0x28
	v_mov_b32_e32 v1, s2
	s_mov_b32 s9, 0
	s_waitcnt lgkmcnt(0)
	global_load_ubyte v1, v1, s[4:5]
	s_add_i32 s3, s24, 1
	s_load_dwordx2 s[4:5], s[0:1], 0x0
	v_mov_b64_e32 v[2:3], s[6:7]
	s_lshr_b32 s6, s3, 31
	s_ashr_i32 s25, s24, 31
	s_add_i32 s3, s3, s6
	s_mul_hi_u32 s8, s24, s2
	s_mul_i32 s7, s25, s2
	s_lshl_b32 s3, s3, 1
	s_mul_i32 s12, s24, s2
	s_add_i32 s13, s8, s7
	s_and_b32 s6, s3, -4
	s_lshl_b64 s[12:13], s[12:13], 1
	s_mov_b64 s[10:11], -1
	v_lshlrev_b32_e32 v40, 4, v0
	s_waitcnt vmcnt(0)
	v_readfirstlane_b32 s3, v1
	s_and_b32 s8, s3, 0xffff
	s_waitcnt lgkmcnt(0)
	s_add_u32 s4, s4, s12
	v_cmp_lt_i64_e32 vcc, s[8:9], v[2:3]
	s_addc_u32 s3, s5, s13
	s_and_b32 s5, s3, 0xffff
	s_cbranch_vccnz .LBB233_5
; %bb.1:
	v_cmp_gt_i32_e32 vcc, s24, v40
	s_and_saveexec_b64 s[10:11], vcc
	s_cbranch_execz .LBB233_4
; %bb.2:
	s_load_dword s3, s[0:1], 0x3c
	s_mov_b32 s13, 0
	s_mov_b32 s16, s13
	;; [unrolled: 1-line block ×3, first 2 shown]
	v_mov_b32_e32 v41, 0
	s_waitcnt lgkmcnt(0)
	s_and_b32 s3, s3, 0xffff
	s_mov_b32 s18, s13
	s_mov_b32 s19, s13
	v_mov_b64_e32 v[2:3], s[16:17]
	v_lshlrev_b32_e32 v1, 5, v0
	s_lshl_b32 s12, s3, 4
	s_lshl_b32 s3, s3, 5
	s_mov_b64 s[14:15], 0
	s_mov_b32 s7, 0x20000
	v_mov_b64_e32 v[4:5], s[18:19]
	v_mov_b64_e32 v[6:7], v[40:41]
.LBB233_3:                              ; =>This Inner Loop Header: Depth=1
	v_lshl_add_u64 v[6:7], s[12:13], 0, v[6:7]
	v_cmp_le_i64_e32 vcc, s[24:25], v[6:7]
	buffer_store_dwordx4 v[2:5], v1, s[4:7], 0 offen
	buffer_store_dwordx4 v[2:5], v1, s[4:7], 16 offen
	s_or_b64 s[14:15], vcc, s[14:15]
	v_add_u32_e32 v1, s3, v1
	s_andn2_b64 exec, exec, s[14:15]
	s_cbranch_execnz .LBB233_3
.LBB233_4:
	s_or_b64 exec, exec, s[10:11]
	s_mov_b64 s[10:11], 0
.LBB233_5:
	s_andn2_b64 vcc, exec, s[10:11]
	s_cbranch_vccnz .LBB233_9
; %bb.6:
	v_cmp_gt_i32_e32 vcc, s24, v40
	s_and_saveexec_b64 s[10:11], vcc
	s_cbranch_execz .LBB233_9
; %bb.7:
	s_load_dwordx2 s[14:15], s[0:1], 0x8
	s_load_dwordx2 s[10:11], s[0:1], 0x18
	s_mul_hi_i32 s9, s24, s8
	s_mul_i32 s8, s24, s8
	s_lshl_b64 s[8:9], s[8:9], 3
	s_load_dword s3, s[0:1], 0x3c
	s_waitcnt lgkmcnt(0)
	s_add_u32 s8, s10, s8
	s_addc_u32 s7, s11, s9
	s_lshl_b64 s[0:1], s[24:25], 2
	s_add_u32 s12, s8, s0
	s_addc_u32 s0, s7, s1
	s_and_b32 s13, s0, 0xffff
	s_mul_i32 s0, s2, s25
	s_mul_hi_u32 s1, s2, s24
	s_add_i32 s1, s1, s0
	s_mul_i32 s0, s2, s24
	s_lshl_b32 s10, s24, 2
	s_and_b32 s9, s7, 0xffff
	s_lshl_b64 s[0:1], s[0:1], 2
	s_add_u32 s16, s14, s0
	s_addc_u32 s2, s15, s1
	s_lshl_b64 s[0:1], s[24:25], 1
	s_add_u32 s20, s16, s0
	s_addc_u32 s0, s2, s1
	s_mov_b32 s7, 0x20000
	s_and_b32 s21, s0, 0xffff
	s_and_b32 s0, s3, 0xffff
	s_mov_b32 s11, s7
	s_and_b32 s17, s2, 0xffff
	s_mov_b32 s27, 0
	v_mov_b32_e32 v41, 0
	s_lshl_b32 s26, s0, 4
	v_lshlrev_b32_e32 v42, 6, v0
	s_lshl_b32 s30, s0, 6
	v_lshlrev_b32_e32 v43, 5, v0
	s_lshl_b32 s31, s0, 5
	s_mov_b64 s[28:29], 0
	s_mov_b32 s33, 0x3fb8aa3b
	s_mov_b32 s34, 0xc2ce8ed0
	;; [unrolled: 1-line block ×3, first 2 shown]
	v_mov_b32_e32 v44, 0x7f800000
	s_mov_b32 s36, 0xc0e00000
	v_mov_b32_e32 v45, 0x40e00000
	s_mov_b32 s18, s6
	s_mov_b32 s19, s7
	;; [unrolled: 1-line block ×4, first 2 shown]
.LBB233_8:                              ; =>This Inner Loop Header: Depth=1
	buffer_load_dwordx4 v[28:31], v43, s[16:19], 0 offen
	buffer_load_dwordx4 v[20:23], v43, s[20:23], 0 offen
	;; [unrolled: 1-line block ×3, first 2 shown]
	s_mov_b32 s14, s10
	s_mov_b32 s15, s11
	buffer_load_dwordx4 v[32:35], v42, s[12:15], 0 offen
	buffer_load_dwordx4 v[8:11], v43, s[16:19], 16 offen
	;; [unrolled: 1-line block ×7, first 2 shown]
	v_lshl_add_u64 v[40:41], s[26:27], 0, v[40:41]
	s_waitcnt vmcnt(9)
	v_cvt_f32_f16_e32 v46, v28
	v_cvt_f32_f16_sdwa v47, v28 dst_sel:DWORD dst_unused:UNUSED_PAD src0_sel:WORD_1
	v_cvt_f32_f16_e32 v28, v29
	v_cvt_f32_f16_sdwa v29, v29 dst_sel:DWORD dst_unused:UNUSED_PAD src0_sel:WORD_1
	s_waitcnt vmcnt(8)
	v_cvt_f32_f16_e32 v48, v20
	v_cvt_f32_f16_sdwa v49, v20 dst_sel:DWORD dst_unused:UNUSED_PAD src0_sel:WORD_1
	v_cvt_f32_f16_e32 v20, v21
	v_cvt_f32_f16_sdwa v21, v21 dst_sel:DWORD dst_unused:UNUSED_PAD src0_sel:WORD_1
	s_waitcnt vmcnt(7)
	v_pk_add_f32 v[12:13], v[12:13], v[46:47]
	v_pk_add_f32 v[14:15], v[14:15], v[28:29]
	v_min_f32_e32 v29, 0x40e00000, v13
	v_min_f32_e32 v28, 0x40e00000, v12
	s_waitcnt vmcnt(6)
	v_pk_add_f32 v[32:33], v[32:33], v[48:49]
	v_pk_add_f32 v[20:21], v[34:35], v[20:21]
	v_min_f32_e32 v48, 0x40e00000, v14
	v_mul_f32_e32 v12, 0xbfd9db23, v28
	v_mul_f32_e32 v13, 0xbfd9db23, v29
	v_min_f32_e32 v49, 0x40e00000, v15
	v_med3_f32 v50, v20, s36, v45
	v_mul_f32_e32 v20, 0xbfd9db23, v48
	v_mul_f32_e32 v14, 0x3fb8aa3b, v12
	;; [unrolled: 1-line block ×3, first 2 shown]
	v_med3_f32 v46, v32, s36, v45
	v_med3_f32 v51, v21, s36, v45
	v_mul_f32_e32 v21, 0xbfd9db23, v49
	v_mul_f32_e32 v32, 0x3fb8aa3b, v20
	v_fma_f32 v34, v12, s33, -v14
	v_rndne_f32_e32 v35, v14
	v_fma_f32 v52, v13, s33, -v15
	v_rndne_f32_e32 v53, v15
	v_med3_f32 v47, v33, s36, v45
	v_mul_f32_e32 v33, 0x3fb8aa3b, v21
	v_fma_f32 v54, v20, s33, -v32
	v_rndne_f32_e32 v55, v32
	v_fmac_f32_e32 v34, 0x32a5705f, v12
	v_sub_f32_e32 v14, v14, v35
	v_fmac_f32_e32 v52, 0x32a5705f, v13
	v_sub_f32_e32 v15, v15, v53
	v_add_f32_e32 v14, v14, v34
	v_fma_f32 v34, v21, s33, -v33
	v_add_f32_e32 v15, v15, v52
	v_rndne_f32_e32 v52, v33
	v_fmac_f32_e32 v54, 0x32a5705f, v20
	v_sub_f32_e32 v32, v32, v55
	v_cvt_i32_f32_e32 v35, v35
	v_fmac_f32_e32 v34, 0x32a5705f, v21
	v_sub_f32_e32 v33, v33, v52
	v_add_f32_e32 v32, v32, v54
	v_exp_f32_e32 v14, v14
	v_cvt_i32_f32_e32 v53, v53
	v_cvt_i32_f32_e32 v55, v55
	v_add_f32_e32 v33, v33, v34
	v_exp_f32_e32 v15, v15
	v_exp_f32_e32 v32, v32
	v_cvt_i32_f32_e32 v52, v52
	v_exp_f32_e32 v33, v33
	v_ldexp_f32 v14, v14, v35
	v_cmp_ngt_f32_e32 vcc, s34, v12
	v_ldexp_f32 v15, v15, v53
	v_ldexp_f32 v53, v32, v55
	v_cndmask_b32_e32 v54, 0, v14, vcc
	v_cmp_nlt_f32_e32 vcc, s35, v12
	v_cmp_ngt_f32_e64 s[2:3], s34, v20
	v_ldexp_f32 v52, v33, v52
	v_cmp_ngt_f32_e64 s[0:1], s34, v13
	v_cndmask_b32_e64 v53, 0, v53, s[2:3]
	v_cmp_ngt_f32_e64 s[2:3], s34, v21
	v_cndmask_b32_e32 v54, v44, v54, vcc
	v_cmp_nlt_f32_e32 vcc, s35, v20
	v_cndmask_b32_e64 v55, 0, v15, s[0:1]
	v_cmp_nlt_f32_e64 s[0:1], s35, v13
	v_cndmask_b32_e64 v52, 0, v52, s[2:3]
	v_cndmask_b32_e32 v20, v44, v53, vcc
	v_cmp_nlt_f32_e32 vcc, s35, v21
	v_cndmask_b32_e64 v55, v44, v55, s[0:1]
	v_add_f32_e32 v53, 1.0, v55
	v_cndmask_b32_e32 v21, v44, v52, vcc
	v_add_f32_e32 v52, 1.0, v54
	v_add_f32_e32 v54, 1.0, v20
	;; [unrolled: 1-line block ×3, first 2 shown]
	v_rcp_f32_e32 v20, v52
	v_rcp_f32_e32 v21, v53
	;; [unrolled: 1-line block ×4, first 2 shown]
	v_cvt_f32_f16_e32 v54, v30
	v_cvt_f32_f16_sdwa v55, v30 dst_sel:DWORD dst_unused:UNUSED_PAD src0_sel:WORD_1
	buffer_load_dwordx4 v[32:35], v42, s[12:15], 32 offen
	buffer_load_dwordx4 v[12:15], v42, s[12:15], 48 offen
	v_pk_add_f32 v[46:47], v[46:47], 1.0 op_sel_hi:[1,0]
	v_pk_mul_f32 v[20:21], v[28:29], v[20:21]
	s_waitcnt vmcnt(5)
	v_pk_add_f32 v[36:37], v[36:37], v[54:55]
	v_pk_mul_f32 v[46:47], v[46:47], v[20:21]
	v_min_f32_e32 v36, 0x40e00000, v36
	v_pk_mul_f32 v[28:29], v[48:49], v[52:53]
	v_cvt_f16_f32_e32 v20, v47
	v_cvt_f16_f32_e32 v21, v46
	v_pk_add_f32 v[46:47], v[50:51], 1.0 op_sel_hi:[1,0]
	v_mul_f32_e32 v30, 0xbfd9db23, v36
	v_pk_mul_f32 v[46:47], v[46:47], v[28:29]
	v_mul_f32_e32 v28, 0x3fb8aa3b, v30
	v_fma_f32 v29, v30, s33, -v28
	v_rndne_f32_e32 v48, v28
	v_fmac_f32_e32 v29, 0x32a5705f, v30
	v_sub_f32_e32 v28, v28, v48
	v_add_f32_e32 v28, v28, v29
	v_exp_f32_e32 v49, v28
	v_cvt_i32_f32_e32 v48, v48
	v_cvt_f16_f32_e32 v29, v46
	v_cmp_ngt_f32_e32 vcc, s34, v30
	v_min_f32_e32 v37, 0x40e00000, v37
	v_ldexp_f32 v46, v49, v48
	v_cndmask_b32_e32 v46, 0, v46, vcc
	v_cmp_nlt_f32_e32 vcc, s35, v30
	v_cvt_f16_f32_e32 v28, v47
	v_cvt_f32_f16_sdwa v47, v22 dst_sel:DWORD dst_unused:UNUSED_PAD src0_sel:WORD_1
	v_cndmask_b32_e32 v30, v44, v46, vcc
	v_cvt_f32_f16_e32 v46, v22
	v_mul_f32_e32 v22, 0xbfd9db23, v37
	v_mul_f32_e32 v48, 0x3fb8aa3b, v22
	v_fma_f32 v49, v22, s33, -v48
	v_rndne_f32_e32 v50, v48
	v_fmac_f32_e32 v49, 0x32a5705f, v22
	v_sub_f32_e32 v48, v48, v50
	v_add_f32_e32 v48, v48, v49
	v_exp_f32_e32 v49, v48
	v_cvt_i32_f32_e32 v50, v50
	v_add_f32_e32 v30, 1.0, v30
	v_rcp_f32_e32 v48, v30
	v_cmp_ngt_f32_e32 vcc, s34, v22
	v_ldexp_f32 v30, v49, v50
	s_waitcnt vmcnt(2)
	v_pk_add_f32 v[24:25], v[24:25], v[46:47]
	v_cndmask_b32_e32 v30, 0, v30, vcc
	v_cmp_nlt_f32_e32 vcc, s35, v22
	v_med3_f32 v25, v25, s36, v45
	v_med3_f32 v24, v24, s36, v45
	v_cndmask_b32_e32 v22, v44, v30, vcc
	v_add_f32_e32 v22, 1.0, v22
	v_cvt_f32_f16_e32 v30, v31
	v_cvt_f32_f16_sdwa v31, v31 dst_sel:DWORD dst_unused:UNUSED_PAD src0_sel:WORD_1
	v_rcp_f32_e32 v49, v22
	v_pk_add_f32 v[24:25], v[24:25], 1.0 op_sel_hi:[1,0]
	v_add_u32_e32 v42, s30, v42
	v_pk_add_f32 v[30:31], v[38:39], v[30:31]
	v_pk_mul_f32 v[36:37], v[36:37], v[48:49]
	v_min_f32_e32 v30, 0x40e00000, v30
	v_pk_mul_f32 v[24:25], v[24:25], v[36:37]
	v_mul_f32_e32 v36, 0xbfd9db23, v30
	v_mul_f32_e32 v22, 0x3fb8aa3b, v36
	v_fma_f32 v37, v36, s33, -v22
	v_rndne_f32_e32 v38, v22
	v_fmac_f32_e32 v37, 0x32a5705f, v36
	v_sub_f32_e32 v22, v22, v38
	v_add_f32_e32 v22, v22, v37
	v_exp_f32_e32 v37, v22
	v_cvt_i32_f32_e32 v38, v38
	v_cvt_f16_f32_e32 v22, v25
	v_min_f32_e32 v31, 0x40e00000, v31
	v_cmp_ngt_f32_e32 vcc, s34, v36
	v_ldexp_f32 v25, v37, v38
	v_cvt_f32_f16_sdwa v37, v23 dst_sel:DWORD dst_unused:UNUSED_PAD src0_sel:WORD_1
	v_cndmask_b32_e32 v25, 0, v25, vcc
	v_cmp_nlt_f32_e32 vcc, s35, v36
	v_cvt_f32_f16_e32 v36, v23
	v_mul_f32_e32 v23, 0xbfd9db23, v31
	v_mul_f32_e32 v38, 0x3fb8aa3b, v23
	v_fma_f32 v39, v23, s33, -v38
	v_rndne_f32_e32 v46, v38
	v_fmac_f32_e32 v39, 0x32a5705f, v23
	v_sub_f32_e32 v38, v38, v46
	v_add_f32_e32 v38, v38, v39
	v_exp_f32_e32 v39, v38
	v_cvt_i32_f32_e32 v46, v46
	v_cndmask_b32_e32 v25, v44, v25, vcc
	v_add_f32_e32 v25, 1.0, v25
	v_rcp_f32_e32 v38, v25
	v_ldexp_f32 v25, v39, v46
	v_cmp_ngt_f32_e32 vcc, s34, v23
	v_pk_add_f32 v[26:27], v[26:27], v[36:37]
	v_cvt_f32_f16_e32 v36, v8
	v_cndmask_b32_e32 v25, 0, v25, vcc
	v_cmp_nlt_f32_e32 vcc, s35, v23
	v_cvt_f32_f16_sdwa v37, v8 dst_sel:DWORD dst_unused:UNUSED_PAD src0_sel:WORD_1
	v_med3_f32 v27, v27, s36, v45
	v_cndmask_b32_e32 v23, v44, v25, vcc
	v_add_f32_e32 v23, 1.0, v23
	v_rcp_f32_e32 v39, v23
	v_med3_f32 v26, v26, s36, v45
	v_pk_add_f32 v[26:27], v[26:27], 1.0 op_sel_hi:[1,0]
	v_pk_add_f32 v[16:17], v[16:17], v[36:37]
	v_pk_mul_f32 v[30:31], v[30:31], v[38:39]
	v_cvt_f16_f32_e32 v24, v24
	v_pk_mul_f32 v[26:27], v[26:27], v[30:31]
	v_min_f32_e32 v30, 0x40e00000, v16
	v_mul_f32_e32 v23, 0xbfd9db23, v30
	v_mul_f32_e32 v8, 0x3fb8aa3b, v23
	v_fma_f32 v16, v23, s33, -v8
	v_rndne_f32_e32 v25, v8
	v_fmac_f32_e32 v16, 0x32a5705f, v23
	v_sub_f32_e32 v8, v8, v25
	v_add_f32_e32 v8, v8, v16
	v_exp_f32_e32 v36, v8
	v_cvt_i32_f32_e32 v25, v25
	v_min_f32_e32 v31, 0x40e00000, v17
	v_cvt_f16_f32_e32 v8, v27
	v_cvt_f16_f32_e32 v16, v26
	v_ldexp_f32 v17, v36, v25
	v_cmp_ngt_f32_e32 vcc, s34, v23
	v_cvt_f32_f16_e32 v26, v0
	v_cvt_f32_f16_sdwa v27, v0 dst_sel:DWORD dst_unused:UNUSED_PAD src0_sel:WORD_1
	v_mul_f32_e32 v0, 0xbfd9db23, v31
	v_cndmask_b32_e32 v17, 0, v17, vcc
	v_cmp_nlt_f32_e32 vcc, s35, v23
	v_mul_f32_e32 v23, 0x3fb8aa3b, v0
	v_fma_f32 v25, v0, s33, -v23
	v_rndne_f32_e32 v36, v23
	v_fmac_f32_e32 v25, 0x32a5705f, v0
	v_sub_f32_e32 v23, v23, v36
	v_add_f32_e32 v23, v23, v25
	v_exp_f32_e32 v23, v23
	v_cvt_i32_f32_e32 v25, v36
	v_cndmask_b32_e32 v17, v44, v17, vcc
	s_waitcnt vmcnt(1)
	v_pk_add_f32 v[26:27], v[32:33], v[26:27]
	v_cvt_f32_f16_e32 v32, v9
	v_cvt_f32_f16_sdwa v33, v9 dst_sel:DWORD dst_unused:UNUSED_PAD src0_sel:WORD_1
	v_add_f32_e32 v17, 1.0, v17
	v_rcp_f32_e32 v36, v17
	v_ldexp_f32 v17, v23, v25
	v_cmp_ngt_f32_e32 vcc, s34, v0
	v_pk_add_f32 v[18:19], v[18:19], v[32:33]
	v_med3_f32 v27, v27, s36, v45
	v_cndmask_b32_e32 v17, 0, v17, vcc
	v_cmp_nlt_f32_e32 vcc, s35, v0
	v_min_f32_e32 v18, 0x40e00000, v18
	v_med3_f32 v26, v26, s36, v45
	v_cndmask_b32_e32 v0, v44, v17, vcc
	v_add_f32_e32 v0, 1.0, v0
	v_rcp_f32_e32 v37, v0
	v_mul_f32_e32 v0, 0xbfd9db23, v18
	v_mul_f32_e32 v9, 0x3fb8aa3b, v0
	v_fma_f32 v17, v0, s33, -v9
	v_rndne_f32_e32 v23, v9
	v_fmac_f32_e32 v17, 0x32a5705f, v0
	v_sub_f32_e32 v9, v9, v23
	v_add_f32_e32 v9, v9, v17
	v_exp_f32_e32 v9, v9
	v_cvt_i32_f32_e32 v17, v23
	v_pk_mul_f32 v[30:31], v[30:31], v[36:37]
	v_pk_add_f32 v[26:27], v[26:27], 1.0 op_sel_hi:[1,0]
	v_min_f32_e32 v19, 0x40e00000, v19
	v_pk_mul_f32 v[26:27], v[26:27], v[30:31]
	v_ldexp_f32 v9, v9, v17
	v_mul_f32_e32 v17, 0xbfd9db23, v19
	v_cvt_f16_f32_e32 v25, v26
	v_mul_f32_e32 v26, 0x3fb8aa3b, v17
	v_cvt_f16_f32_e32 v23, v27
	v_fma_f32 v27, v17, s33, -v26
	v_rndne_f32_e32 v30, v26
	v_fmac_f32_e32 v27, 0x32a5705f, v17
	v_sub_f32_e32 v26, v26, v30
	v_add_f32_e32 v26, v26, v27
	v_cmp_ngt_f32_e32 vcc, s34, v0
	v_exp_f32_e32 v27, v26
	v_cvt_i32_f32_e32 v30, v30
	v_cndmask_b32_e32 v9, 0, v9, vcc
	v_cmp_nlt_f32_e32 vcc, s35, v0
	v_cvt_f32_f16_sdwa v31, v10 dst_sel:DWORD dst_unused:UNUSED_PAD src0_sel:WORD_1
	s_nop 0
	v_cndmask_b32_e32 v0, v44, v9, vcc
	v_add_f32_e32 v9, 1.0, v0
	v_rcp_f32_e32 v26, v9
	v_ldexp_f32 v9, v27, v30
	v_cmp_ngt_f32_e32 vcc, s34, v17
	v_cvt_f32_f16_e32 v30, v10
	v_cvt_f32_f16_e32 v0, v1
	v_cndmask_b32_e32 v9, 0, v9, vcc
	v_cmp_nlt_f32_e32 vcc, s35, v17
	v_cvt_f32_f16_sdwa v1, v1 dst_sel:DWORD dst_unused:UNUSED_PAD src0_sel:WORD_1
	v_pk_add_f32 v[4:5], v[4:5], v[30:31]
	v_cndmask_b32_e32 v9, v44, v9, vcc
	v_add_f32_e32 v9, 1.0, v9
	v_rcp_f32_e32 v27, v9
	v_pk_add_f32 v[0:1], v[34:35], v[0:1]
	v_min_f32_e32 v4, 0x40e00000, v4
	v_med3_f32 v1, v1, s36, v45
	v_med3_f32 v0, v0, s36, v45
	v_mul_f32_e32 v9, 0xbfd9db23, v4
	v_pk_mul_f32 v[18:19], v[18:19], v[26:27]
	v_pk_add_f32 v[0:1], v[0:1], 1.0 op_sel_hi:[1,0]
	v_mul_f32_e32 v10, 0x3fb8aa3b, v9
	v_pk_mul_f32 v[0:1], v[0:1], v[18:19]
	v_fma_f32 v17, v9, s33, -v10
	v_rndne_f32_e32 v18, v10
	v_fmac_f32_e32 v17, 0x32a5705f, v9
	v_sub_f32_e32 v10, v10, v18
	v_add_f32_e32 v10, v10, v17
	v_exp_f32_e32 v10, v10
	v_cvt_i32_f32_e32 v17, v18
	v_cvt_f16_f32_e32 v27, v0
	v_cmp_ngt_f32_e32 vcc, s34, v9
	v_min_f32_e32 v5, 0x40e00000, v5
	v_ldexp_f32 v0, v10, v17
	v_cndmask_b32_e32 v0, 0, v0, vcc
	v_cmp_nlt_f32_e32 vcc, s35, v9
	v_cvt_f16_f32_e32 v26, v1
	v_cvt_f32_f16_sdwa v1, v2 dst_sel:DWORD dst_unused:UNUSED_PAD src0_sel:WORD_1
	v_cndmask_b32_e32 v0, v44, v0, vcc
	v_add_f32_e32 v9, 1.0, v0
	v_cvt_f32_f16_e32 v0, v2
	v_mul_f32_e32 v2, 0xbfd9db23, v5
	v_mul_f32_e32 v10, 0x3fb8aa3b, v2
	v_fma_f32 v17, v2, s33, -v10
	v_rndne_f32_e32 v18, v10
	v_fmac_f32_e32 v17, 0x32a5705f, v2
	v_sub_f32_e32 v10, v10, v18
	v_add_f32_e32 v10, v10, v17
	v_exp_f32_e32 v10, v10
	v_cvt_i32_f32_e32 v17, v18
	v_rcp_f32_e32 v18, v9
	v_cmp_ngt_f32_e32 vcc, s34, v2
	s_waitcnt vmcnt(0)
	v_pk_add_f32 v[0:1], v[12:13], v[0:1]
	v_ldexp_f32 v9, v10, v17
	v_cndmask_b32_e32 v9, 0, v9, vcc
	v_cmp_nlt_f32_e32 vcc, s35, v2
	v_cvt_f32_f16_e32 v10, v11
	v_cvt_f32_f16_sdwa v11, v11 dst_sel:DWORD dst_unused:UNUSED_PAD src0_sel:WORD_1
	v_cndmask_b32_e32 v2, v44, v9, vcc
	v_add_f32_e32 v2, 1.0, v2
	v_rcp_f32_e32 v19, v2
	v_med3_f32 v1, v1, s36, v45
	v_med3_f32 v0, v0, s36, v45
	v_pk_add_f32 v[0:1], v[0:1], 1.0 op_sel_hi:[1,0]
	v_pk_mul_f32 v[4:5], v[4:5], v[18:19]
	s_nop 0
	v_pk_mul_f32 v[0:1], v[0:1], v[4:5]
	v_pk_add_f32 v[4:5], v[6:7], v[10:11]
	v_cvt_f16_f32_e32 v10, v0
	v_min_f32_e32 v4, 0x40e00000, v4
	v_mul_f32_e32 v2, 0xbfd9db23, v4
	v_mul_f32_e32 v6, 0x3fb8aa3b, v2
	v_fma_f32 v7, v2, s33, -v6
	v_rndne_f32_e32 v9, v6
	v_fmac_f32_e32 v7, 0x32a5705f, v2
	v_sub_f32_e32 v6, v6, v9
	v_add_f32_e32 v6, v6, v7
	v_exp_f32_e32 v6, v6
	v_cvt_i32_f32_e32 v7, v9
	v_min_f32_e32 v5, 0x40e00000, v5
	v_cvt_f16_f32_e32 v9, v1
	v_cmp_ngt_f32_e32 vcc, s34, v2
	v_ldexp_f32 v0, v6, v7
	v_mul_f32_e32 v1, 0xbfd9db23, v5
	v_cndmask_b32_e32 v0, 0, v0, vcc
	v_cmp_nlt_f32_e32 vcc, s35, v2
	v_mul_f32_e32 v2, 0x3fb8aa3b, v1
	v_fma_f32 v6, v1, s33, -v2
	v_rndne_f32_e32 v7, v2
	v_fmac_f32_e32 v6, 0x32a5705f, v1
	v_sub_f32_e32 v2, v2, v7
	v_add_f32_e32 v2, v2, v6
	v_exp_f32_e32 v6, v2
	v_cvt_i32_f32_e32 v7, v7
	v_cndmask_b32_e32 v0, v44, v0, vcc
	v_cmp_ngt_f32_e32 vcc, s34, v1
	v_cvt_f32_f16_e32 v2, v3
	v_ldexp_f32 v6, v6, v7
	v_cndmask_b32_e32 v6, 0, v6, vcc
	v_cmp_nlt_f32_e32 vcc, s35, v1
	v_cvt_f32_f16_sdwa v3, v3 dst_sel:DWORD dst_unused:UNUSED_PAD src0_sel:WORD_1
	v_add_f32_e32 v0, 1.0, v0
	v_cndmask_b32_e32 v1, v44, v6, vcc
	v_add_f32_e32 v1, 1.0, v1
	v_rcp_f32_e32 v0, v0
	v_rcp_f32_e32 v1, v1
	v_pk_add_f32 v[2:3], v[14:15], v[2:3]
	v_cmp_le_i64_e32 vcc, s[24:25], v[40:41]
	v_med3_f32 v3, v3, s36, v45
	v_med3_f32 v2, v2, s36, v45
	v_pk_mul_f32 v[0:1], v[4:5], v[0:1]
	v_pk_add_f32 v[2:3], v[2:3], 1.0 op_sel_hi:[1,0]
	s_or_b64 s[28:29], vcc, s[28:29]
	v_pk_mul_f32 v[0:1], v[2:3], v[0:1]
	v_pack_b32_f16 v3, v16, v8
	v_cvt_f16_f32_e32 v4, v1
	v_cvt_f16_f32_e32 v5, v0
	v_pack_b32_f16 v1, v29, v28
	v_pack_b32_f16 v2, v24, v22
	;; [unrolled: 1-line block ×3, first 2 shown]
	buffer_store_dwordx4 v[0:3], v43, s[4:7], 0 offen
	s_nop 1
	v_pack_b32_f16 v3, v5, v4
	v_pack_b32_f16 v1, v27, v26
	;; [unrolled: 1-line block ×4, first 2 shown]
	buffer_store_dwordx4 v[0:3], v43, s[4:7], 16 offen
	v_add_u32_e32 v43, s31, v43
	s_andn2_b64 exec, exec, s[28:29]
	s_cbranch_execnz .LBB233_8
.LBB233_9:
	s_endpgm
	.section	.rodata,"a",@progbits
	.p2align	6, 0x0
	.amdhsa_kernel _ZN5aiter30swiglu_act_and_mul_bias_kernelIDF16_DF16_hfLi16EEEvPT0_PKT_PKT1_PKT2_il
		.amdhsa_group_segment_fixed_size 0
		.amdhsa_private_segment_fixed_size 0
		.amdhsa_kernarg_size 304
		.amdhsa_user_sgpr_count 2
		.amdhsa_user_sgpr_dispatch_ptr 0
		.amdhsa_user_sgpr_queue_ptr 0
		.amdhsa_user_sgpr_kernarg_segment_ptr 1
		.amdhsa_user_sgpr_dispatch_id 0
		.amdhsa_user_sgpr_kernarg_preload_length 0
		.amdhsa_user_sgpr_kernarg_preload_offset 0
		.amdhsa_user_sgpr_private_segment_size 0
		.amdhsa_uses_dynamic_stack 0
		.amdhsa_enable_private_segment 0
		.amdhsa_system_sgpr_workgroup_id_x 1
		.amdhsa_system_sgpr_workgroup_id_y 0
		.amdhsa_system_sgpr_workgroup_id_z 0
		.amdhsa_system_sgpr_workgroup_info 0
		.amdhsa_system_vgpr_workitem_id 0
		.amdhsa_next_free_vgpr 56
		.amdhsa_next_free_sgpr 37
		.amdhsa_accum_offset 56
		.amdhsa_reserve_vcc 1
		.amdhsa_float_round_mode_32 0
		.amdhsa_float_round_mode_16_64 0
		.amdhsa_float_denorm_mode_32 3
		.amdhsa_float_denorm_mode_16_64 3
		.amdhsa_dx10_clamp 1
		.amdhsa_ieee_mode 1
		.amdhsa_fp16_overflow 0
		.amdhsa_tg_split 0
		.amdhsa_exception_fp_ieee_invalid_op 0
		.amdhsa_exception_fp_denorm_src 0
		.amdhsa_exception_fp_ieee_div_zero 0
		.amdhsa_exception_fp_ieee_overflow 0
		.amdhsa_exception_fp_ieee_underflow 0
		.amdhsa_exception_fp_ieee_inexact 0
		.amdhsa_exception_int_div_zero 0
	.end_amdhsa_kernel
	.section	.text._ZN5aiter30swiglu_act_and_mul_bias_kernelIDF16_DF16_hfLi16EEEvPT0_PKT_PKT1_PKT2_il,"axG",@progbits,_ZN5aiter30swiglu_act_and_mul_bias_kernelIDF16_DF16_hfLi16EEEvPT0_PKT_PKT1_PKT2_il,comdat
.Lfunc_end233:
	.size	_ZN5aiter30swiglu_act_and_mul_bias_kernelIDF16_DF16_hfLi16EEEvPT0_PKT_PKT1_PKT2_il, .Lfunc_end233-_ZN5aiter30swiglu_act_and_mul_bias_kernelIDF16_DF16_hfLi16EEEvPT0_PKT_PKT1_PKT2_il
                                        ; -- End function
	.section	.AMDGPU.csdata,"",@progbits
; Kernel info:
; codeLenInByte = 3040
; NumSgprs: 43
; NumVgprs: 56
; NumAgprs: 0
; TotalNumVgprs: 56
; ScratchSize: 0
; MemoryBound: 0
; FloatMode: 240
; IeeeMode: 1
; LDSByteSize: 0 bytes/workgroup (compile time only)
; SGPRBlocks: 5
; VGPRBlocks: 6
; NumSGPRsForWavesPerEU: 43
; NumVGPRsForWavesPerEU: 56
; AccumOffset: 56
; Occupancy: 8
; WaveLimiterHint : 0
; COMPUTE_PGM_RSRC2:SCRATCH_EN: 0
; COMPUTE_PGM_RSRC2:USER_SGPR: 2
; COMPUTE_PGM_RSRC2:TRAP_HANDLER: 0
; COMPUTE_PGM_RSRC2:TGID_X_EN: 1
; COMPUTE_PGM_RSRC2:TGID_Y_EN: 0
; COMPUTE_PGM_RSRC2:TGID_Z_EN: 0
; COMPUTE_PGM_RSRC2:TIDIG_COMP_CNT: 0
; COMPUTE_PGM_RSRC3_GFX90A:ACCUM_OFFSET: 13
; COMPUTE_PGM_RSRC3_GFX90A:TG_SPLIT: 0
	.section	.text._ZN5aiter30swiglu_act_and_mul_bias_kernelIDF16_DF16_hfLi8EEEvPT0_PKT_PKT1_PKT2_il,"axG",@progbits,_ZN5aiter30swiglu_act_and_mul_bias_kernelIDF16_DF16_hfLi8EEEvPT0_PKT_PKT1_PKT2_il,comdat
	.protected	_ZN5aiter30swiglu_act_and_mul_bias_kernelIDF16_DF16_hfLi8EEEvPT0_PKT_PKT1_PKT2_il ; -- Begin function _ZN5aiter30swiglu_act_and_mul_bias_kernelIDF16_DF16_hfLi8EEEvPT0_PKT_PKT1_PKT2_il
	.globl	_ZN5aiter30swiglu_act_and_mul_bias_kernelIDF16_DF16_hfLi8EEEvPT0_PKT_PKT1_PKT2_il
	.p2align	8
	.type	_ZN5aiter30swiglu_act_and_mul_bias_kernelIDF16_DF16_hfLi8EEEvPT0_PKT_PKT1_PKT2_il,@function
_ZN5aiter30swiglu_act_and_mul_bias_kernelIDF16_DF16_hfLi8EEEvPT0_PKT_PKT1_PKT2_il: ; @_ZN5aiter30swiglu_act_and_mul_bias_kernelIDF16_DF16_hfLi8EEEvPT0_PKT_PKT1_PKT2_il
; %bb.0:
	s_load_dwordx2 s[4:5], s[0:1], 0x10
	s_load_dword s20, s[0:1], 0x20
	s_load_dwordx2 s[6:7], s[0:1], 0x28
	v_mov_b32_e32 v1, s2
	s_mov_b32 s9, 0
	s_waitcnt lgkmcnt(0)
	global_load_ubyte v1, v1, s[4:5]
	s_add_i32 s3, s20, 1
	s_load_dwordx2 s[4:5], s[0:1], 0x0
	v_mov_b64_e32 v[2:3], s[6:7]
	s_lshr_b32 s6, s3, 31
	s_ashr_i32 s21, s20, 31
	s_add_i32 s3, s3, s6
	s_mul_hi_u32 s8, s20, s2
	s_mul_i32 s7, s21, s2
	s_lshl_b32 s3, s3, 1
	s_mul_i32 s12, s20, s2
	s_add_i32 s13, s8, s7
	s_and_b32 s6, s3, -4
	s_lshl_b64 s[12:13], s[12:13], 1
	s_mov_b64 s[10:11], -1
	v_lshlrev_b32_e32 v24, 3, v0
	s_waitcnt vmcnt(0)
	v_readfirstlane_b32 s3, v1
	s_and_b32 s8, s3, 0xffff
	s_waitcnt lgkmcnt(0)
	s_add_u32 s4, s4, s12
	v_cmp_lt_i64_e32 vcc, s[8:9], v[2:3]
	s_addc_u32 s3, s5, s13
	s_and_b32 s5, s3, 0xffff
	s_cbranch_vccnz .LBB234_5
; %bb.1:
	v_cmp_gt_i32_e32 vcc, s20, v24
	s_and_saveexec_b64 s[10:11], vcc
	s_cbranch_execz .LBB234_4
; %bb.2:
	s_load_dword s3, s[0:1], 0x3c
	v_mov_b32_e32 v25, 0
	s_mov_b32 s13, 0
	v_lshlrev_b32_e32 v1, 4, v0
	s_mov_b64 s[14:15], 0
	s_waitcnt lgkmcnt(0)
	s_and_b32 s3, s3, 0xffff
	s_lshl_b32 s12, s3, 3
	s_lshl_b32 s3, s3, 4
	s_mov_b32 s7, 0x20000
	v_mov_b32_e32 v2, v25
	v_mov_b32_e32 v3, v25
	;; [unrolled: 1-line block ×4, first 2 shown]
	v_mov_b64_e32 v[6:7], v[24:25]
.LBB234_3:                              ; =>This Inner Loop Header: Depth=1
	v_lshl_add_u64 v[6:7], s[12:13], 0, v[6:7]
	v_cmp_le_i64_e32 vcc, s[20:21], v[6:7]
	buffer_store_dwordx4 v[2:5], v1, s[4:7], 0 offen
	s_or_b64 s[14:15], vcc, s[14:15]
	v_add_u32_e32 v1, s3, v1
	s_andn2_b64 exec, exec, s[14:15]
	s_cbranch_execnz .LBB234_3
.LBB234_4:
	s_or_b64 exec, exec, s[10:11]
	s_mov_b64 s[10:11], 0
.LBB234_5:
	s_andn2_b64 vcc, exec, s[10:11]
	s_cbranch_vccnz .LBB234_9
; %bb.6:
	v_cmp_gt_i32_e32 vcc, s20, v24
	s_and_saveexec_b64 s[10:11], vcc
	s_cbranch_execz .LBB234_9
; %bb.7:
	s_load_dwordx2 s[12:13], s[0:1], 0x8
	s_load_dwordx2 s[10:11], s[0:1], 0x18
	s_mul_hi_i32 s9, s20, s8
	s_mul_i32 s8, s20, s8
	s_lshl_b64 s[8:9], s[8:9], 3
	s_load_dword s14, s[0:1], 0x3c
	s_waitcnt lgkmcnt(0)
	s_add_u32 s8, s10, s8
	s_addc_u32 s3, s11, s9
	s_lshl_b64 s[0:1], s[20:21], 2
	s_add_u32 s0, s8, s0
	s_addc_u32 s1, s3, s1
	s_and_b32 s9, s3, 0xffff
	s_mul_i32 s3, s2, s21
	s_mul_hi_u32 s15, s2, s20
	s_add_i32 s3, s15, s3
	s_mul_i32 s2, s2, s20
	s_lshl_b32 s10, s20, 2
	s_and_b32 s1, s1, 0xffff
	s_lshl_b64 s[2:3], s[2:3], 2
	s_add_u32 s12, s12, s2
	s_addc_u32 s13, s13, s3
	s_lshl_b64 s[2:3], s[20:21], 1
	s_add_u32 s16, s12, s2
	s_addc_u32 s2, s13, s3
	s_mov_b32 s7, 0x20000
	s_and_b32 s17, s2, 0xffff
	s_and_b32 s2, s14, 0xffff
	s_mov_b32 s11, s7
	s_and_b32 s13, s13, 0xffff
	s_mov_b32 s23, 0
	v_mov_b32_e32 v25, 0
	s_lshl_b32 s22, s2, 3
	v_lshlrev_b32_e32 v26, 5, v0
	s_lshl_b32 s26, s2, 5
	v_lshlrev_b32_e32 v27, 4, v0
	s_lshl_b32 s27, s2, 4
	s_mov_b64 s[24:25], 0
	s_mov_b32 s28, 0x3fb8aa3b
	s_mov_b32 s29, 0xc2ce8ed0
	;; [unrolled: 1-line block ×3, first 2 shown]
	v_mov_b32_e32 v28, 0x7f800000
	s_mov_b32 s31, 0xc0e00000
	v_mov_b32_e32 v29, 0x40e00000
	s_mov_b32 s14, s6
	s_mov_b32 s15, s7
	;; [unrolled: 1-line block ×4, first 2 shown]
.LBB234_8:                              ; =>This Inner Loop Header: Depth=1
	buffer_load_dwordx4 v[8:11], v27, s[12:15], 0 offen
	buffer_load_dwordx4 v[0:3], v27, s[16:19], 0 offen
	s_mov_b32 s2, s10
	s_mov_b32 s3, s11
	buffer_load_dwordx4 v[16:19], v26, s[8:11], 0 offen
	buffer_load_dwordx4 v[20:23], v26, s[0:3], 0 offen
	;; [unrolled: 1-line block ×4, first 2 shown]
	v_lshl_add_u64 v[24:25], s[22:23], 0, v[24:25]
	v_add_u32_e32 v26, s26, v26
	s_waitcnt vmcnt(5)
	v_cvt_f32_f16_e32 v30, v8
	v_cvt_f32_f16_sdwa v31, v8 dst_sel:DWORD dst_unused:UNUSED_PAD src0_sel:WORD_1
	s_waitcnt vmcnt(4)
	v_cvt_f32_f16_e32 v32, v0
	v_cvt_f32_f16_sdwa v33, v0 dst_sel:DWORD dst_unused:UNUSED_PAD src0_sel:WORD_1
	v_cvt_f32_f16_e32 v0, v1
	v_cvt_f32_f16_sdwa v1, v1 dst_sel:DWORD dst_unused:UNUSED_PAD src0_sel:WORD_1
	;; [unrolled: 2-line block ×4, first 2 shown]
	s_waitcnt vmcnt(3)
	v_pk_add_f32 v[16:17], v[16:17], v[30:31]
	s_waitcnt vmcnt(2)
	v_pk_add_f32 v[20:21], v[20:21], v[32:33]
	v_pk_add_f32 v[0:1], v[22:23], v[0:1]
	v_min_f32_e32 v16, 0x40e00000, v16
	v_pk_add_f32 v[8:9], v[18:19], v[8:9]
	v_min_f32_e32 v17, 0x40e00000, v17
	v_med3_f32 v19, v21, s31, v29
	v_med3_f32 v21, v1, s31, v29
	v_mul_f32_e32 v1, 0xbfd9db23, v16
	s_waitcnt vmcnt(1)
	v_pk_add_f32 v[12:13], v[12:13], v[34:35]
	v_min_f32_e32 v8, 0x40e00000, v8
	v_mul_f32_e32 v10, 0xbfd9db23, v17
	v_mul_f32_e32 v23, 0x3fb8aa3b, v1
	v_med3_f32 v18, v20, s31, v29
	v_min_f32_e32 v9, 0x40e00000, v9
	v_med3_f32 v20, v0, s31, v29
	v_min_f32_e32 v0, 0x40e00000, v12
	v_mul_f32_e32 v12, 0xbfd9db23, v8
	v_mul_f32_e32 v30, 0x3fb8aa3b, v10
	v_fma_f32 v34, v1, s28, -v23
	v_rndne_f32_e32 v35, v23
	v_mul_f32_e32 v22, 0xbfd9db23, v9
	v_mul_f32_e32 v31, 0x3fb8aa3b, v12
	v_fma_f32 v36, v10, s28, -v30
	v_rndne_f32_e32 v37, v30
	v_fmac_f32_e32 v34, 0x32a5705f, v1
	v_sub_f32_e32 v23, v23, v35
	v_mul_f32_e32 v33, 0x3fb8aa3b, v22
	v_fma_f32 v38, v12, s28, -v31
	v_rndne_f32_e32 v39, v31
	v_fmac_f32_e32 v36, 0x32a5705f, v10
	v_sub_f32_e32 v30, v30, v37
	v_add_f32_e32 v23, v23, v34
	v_fma_f32 v40, v22, s28, -v33
	v_rndne_f32_e32 v41, v33
	v_cvt_i32_f32_e32 v35, v35
	v_fmac_f32_e32 v38, 0x32a5705f, v12
	v_sub_f32_e32 v31, v31, v39
	v_add_f32_e32 v30, v30, v36
	v_exp_f32_e32 v23, v23
	v_cvt_i32_f32_e32 v37, v37
	v_fmac_f32_e32 v40, 0x32a5705f, v22
	v_sub_f32_e32 v33, v33, v41
	v_add_f32_e32 v31, v31, v38
	v_exp_f32_e32 v30, v30
	v_cvt_i32_f32_e32 v39, v39
	v_add_f32_e32 v33, v33, v40
	v_exp_f32_e32 v31, v31
	v_cvt_i32_f32_e32 v41, v41
	v_exp_f32_e32 v33, v33
	v_ldexp_f32 v23, v23, v35
	v_cmp_ngt_f32_e32 vcc, s29, v1
	v_ldexp_f32 v30, v30, v37
	v_ldexp_f32 v31, v31, v39
	v_cndmask_b32_e32 v23, 0, v23, vcc
	v_cmp_ngt_f32_e32 vcc, s29, v10
	v_ldexp_f32 v33, v33, v41
	v_mul_f32_e32 v32, 0xbfd9db23, v0
	v_cndmask_b32_e32 v30, 0, v30, vcc
	v_cmp_ngt_f32_e32 vcc, s29, v12
	v_pk_add_f32 v[18:19], v[18:19], 1.0 op_sel_hi:[1,0]
	v_pk_add_f32 v[20:21], v[20:21], 1.0 op_sel_hi:[1,0]
	v_cndmask_b32_e32 v31, 0, v31, vcc
	v_cmp_ngt_f32_e32 vcc, s29, v22
	s_nop 1
	v_cndmask_b32_e32 v33, 0, v33, vcc
	v_cmp_nlt_f32_e32 vcc, s30, v1
	s_nop 1
	v_cndmask_b32_e32 v1, v28, v23, vcc
	v_cmp_nlt_f32_e32 vcc, s30, v10
	v_add_f32_e32 v1, 1.0, v1
	s_nop 0
	v_cndmask_b32_e32 v10, v28, v30, vcc
	v_cmp_nlt_f32_e32 vcc, s30, v12
	v_add_f32_e32 v10, 1.0, v10
	v_rcp_f32_e32 v23, v10
	v_cndmask_b32_e32 v12, v28, v31, vcc
	v_cmp_nlt_f32_e32 vcc, s30, v22
	v_add_f32_e32 v12, 1.0, v12
	v_rcp_f32_e32 v30, v12
	v_cndmask_b32_e32 v22, v28, v33, vcc
	v_add_f32_e32 v31, 1.0, v22
	v_rcp_f32_e32 v22, v1
	v_mul_f32_e32 v1, 0x3fb8aa3b, v32
	v_fma_f32 v10, v32, s28, -v1
	v_rndne_f32_e32 v12, v1
	v_fmac_f32_e32 v10, 0x32a5705f, v32
	v_sub_f32_e32 v1, v1, v12
	v_rcp_f32_e32 v31, v31
	v_add_f32_e32 v1, v1, v10
	v_exp_f32_e32 v10, v1
	v_cvt_i32_f32_e32 v12, v12
	v_pk_mul_f32 v[16:17], v[16:17], v[22:23]
	v_pk_mul_f32 v[22:23], v[8:9], v[30:31]
	v_min_f32_e32 v1, 0x40e00000, v13
	v_pk_mul_f32 v[8:9], v[18:19], v[16:17]
	v_pk_mul_f32 v[16:17], v[20:21], v[22:23]
	v_ldexp_f32 v10, v10, v12
	v_cvt_f32_f16_e32 v12, v2
	v_cvt_f32_f16_sdwa v13, v2 dst_sel:DWORD dst_unused:UNUSED_PAD src0_sel:WORD_1
	v_mul_f32_e32 v2, 0xbfd9db23, v1
	v_cvt_f16_f32_e32 v19, v16
	v_mul_f32_e32 v16, 0x3fb8aa3b, v2
	v_cvt_f16_f32_e32 v18, v17
	v_fma_f32 v17, v2, s28, -v16
	v_rndne_f32_e32 v20, v16
	v_fmac_f32_e32 v17, 0x32a5705f, v2
	v_sub_f32_e32 v16, v16, v20
	v_add_f32_e32 v16, v16, v17
	v_cmp_ngt_f32_e32 vcc, s29, v32
	v_exp_f32_e32 v17, v16
	v_cvt_i32_f32_e32 v20, v20
	v_cndmask_b32_e32 v10, 0, v10, vcc
	v_cmp_nlt_f32_e32 vcc, s30, v32
	s_waitcnt vmcnt(0)
	v_pk_add_f32 v[4:5], v[4:5], v[12:13]
	v_cvt_f16_f32_e32 v9, v9
	v_cndmask_b32_e32 v10, v28, v10, vcc
	v_add_f32_e32 v10, 1.0, v10
	v_rcp_f32_e32 v16, v10
	v_ldexp_f32 v10, v17, v20
	v_cmp_ngt_f32_e32 vcc, s29, v2
	v_med3_f32 v5, v5, s31, v29
	v_med3_f32 v4, v4, s31, v29
	v_cndmask_b32_e32 v10, 0, v10, vcc
	v_cmp_nlt_f32_e32 vcc, s30, v2
	v_pk_add_f32 v[4:5], v[4:5], 1.0 op_sel_hi:[1,0]
	s_nop 0
	v_cndmask_b32_e32 v2, v28, v10, vcc
	v_cvt_f32_f16_e32 v10, v11
	v_cvt_f32_f16_sdwa v11, v11 dst_sel:DWORD dst_unused:UNUSED_PAD src0_sel:WORD_1
	v_add_f32_e32 v2, 1.0, v2
	v_rcp_f32_e32 v17, v2
	v_pk_add_f32 v[10:11], v[14:15], v[10:11]
	s_nop 0
	v_min_f32_e32 v10, 0x40e00000, v10
	v_mul_f32_e32 v2, 0xbfd9db23, v10
	v_mul_f32_e32 v12, 0x3fb8aa3b, v2
	v_fma_f32 v13, v2, s28, -v12
	v_rndne_f32_e32 v14, v12
	v_fmac_f32_e32 v13, 0x32a5705f, v2
	v_sub_f32_e32 v12, v12, v14
	v_add_f32_e32 v12, v12, v13
	v_exp_f32_e32 v12, v12
	v_cvt_i32_f32_e32 v13, v14
	v_pk_mul_f32 v[0:1], v[0:1], v[16:17]
	v_min_f32_e32 v11, 0x40e00000, v11
	v_pk_mul_f32 v[0:1], v[4:5], v[0:1]
	v_ldexp_f32 v4, v12, v13
	v_cmp_ngt_f32_e32 vcc, s29, v2
	v_mul_f32_e32 v12, 0xbfd9db23, v11
	v_cvt_f16_f32_e32 v0, v0
	v_cndmask_b32_e32 v4, 0, v4, vcc
	v_cmp_nlt_f32_e32 vcc, s30, v2
	s_nop 1
	v_cndmask_b32_e32 v2, v28, v4, vcc
	v_mul_f32_e32 v4, 0x3fb8aa3b, v12
	v_fma_f32 v5, v12, s28, -v4
	v_rndne_f32_e32 v13, v4
	v_fmac_f32_e32 v5, 0x32a5705f, v12
	v_sub_f32_e32 v4, v4, v13
	v_add_f32_e32 v4, v4, v5
	v_exp_f32_e32 v14, v4
	v_cvt_i32_f32_e32 v13, v13
	v_cvt_f32_f16_e32 v4, v3
	v_cvt_f32_f16_sdwa v5, v3 dst_sel:DWORD dst_unused:UNUSED_PAD src0_sel:WORD_1
	v_cmp_ngt_f32_e32 vcc, s29, v12
	v_ldexp_f32 v3, v14, v13
	v_add_f32_e32 v2, 1.0, v2
	v_cndmask_b32_e32 v3, 0, v3, vcc
	v_cmp_nlt_f32_e32 vcc, s30, v12
	v_rcp_f32_e32 v2, v2
	v_pk_add_f32 v[4:5], v[6:7], v[4:5]
	v_cndmask_b32_e32 v3, v28, v3, vcc
	v_add_f32_e32 v3, 1.0, v3
	v_rcp_f32_e32 v3, v3
	v_med3_f32 v5, v5, s31, v29
	v_med3_f32 v4, v4, s31, v29
	v_pk_add_f32 v[4:5], v[4:5], 1.0 op_sel_hi:[1,0]
	v_pk_mul_f32 v[2:3], v[10:11], v[2:3]
	v_cmp_le_i64_e32 vcc, s[20:21], v[24:25]
	v_pk_mul_f32 v[2:3], v[4:5], v[2:3]
	v_cvt_f16_f32_e32 v4, v1
	v_cvt_f16_f32_e32 v3, v3
	;; [unrolled: 1-line block ×4, first 2 shown]
	v_pack_b32_f16 v1, v19, v18
	s_or_b64 s[24:25], vcc, s[24:25]
	v_pack_b32_f16 v3, v2, v3
	v_pack_b32_f16 v2, v0, v4
	;; [unrolled: 1-line block ×3, first 2 shown]
	buffer_store_dwordx4 v[0:3], v27, s[4:7], 0 offen
	v_add_u32_e32 v27, s27, v27
	s_andn2_b64 exec, exec, s[24:25]
	s_cbranch_execnz .LBB234_8
.LBB234_9:
	s_endpgm
	.section	.rodata,"a",@progbits
	.p2align	6, 0x0
	.amdhsa_kernel _ZN5aiter30swiglu_act_and_mul_bias_kernelIDF16_DF16_hfLi8EEEvPT0_PKT_PKT1_PKT2_il
		.amdhsa_group_segment_fixed_size 0
		.amdhsa_private_segment_fixed_size 0
		.amdhsa_kernarg_size 304
		.amdhsa_user_sgpr_count 2
		.amdhsa_user_sgpr_dispatch_ptr 0
		.amdhsa_user_sgpr_queue_ptr 0
		.amdhsa_user_sgpr_kernarg_segment_ptr 1
		.amdhsa_user_sgpr_dispatch_id 0
		.amdhsa_user_sgpr_kernarg_preload_length 0
		.amdhsa_user_sgpr_kernarg_preload_offset 0
		.amdhsa_user_sgpr_private_segment_size 0
		.amdhsa_uses_dynamic_stack 0
		.amdhsa_enable_private_segment 0
		.amdhsa_system_sgpr_workgroup_id_x 1
		.amdhsa_system_sgpr_workgroup_id_y 0
		.amdhsa_system_sgpr_workgroup_id_z 0
		.amdhsa_system_sgpr_workgroup_info 0
		.amdhsa_system_vgpr_workitem_id 0
		.amdhsa_next_free_vgpr 42
		.amdhsa_next_free_sgpr 32
		.amdhsa_accum_offset 44
		.amdhsa_reserve_vcc 1
		.amdhsa_float_round_mode_32 0
		.amdhsa_float_round_mode_16_64 0
		.amdhsa_float_denorm_mode_32 3
		.amdhsa_float_denorm_mode_16_64 3
		.amdhsa_dx10_clamp 1
		.amdhsa_ieee_mode 1
		.amdhsa_fp16_overflow 0
		.amdhsa_tg_split 0
		.amdhsa_exception_fp_ieee_invalid_op 0
		.amdhsa_exception_fp_denorm_src 0
		.amdhsa_exception_fp_ieee_div_zero 0
		.amdhsa_exception_fp_ieee_overflow 0
		.amdhsa_exception_fp_ieee_underflow 0
		.amdhsa_exception_fp_ieee_inexact 0
		.amdhsa_exception_int_div_zero 0
	.end_amdhsa_kernel
	.section	.text._ZN5aiter30swiglu_act_and_mul_bias_kernelIDF16_DF16_hfLi8EEEvPT0_PKT_PKT1_PKT2_il,"axG",@progbits,_ZN5aiter30swiglu_act_and_mul_bias_kernelIDF16_DF16_hfLi8EEEvPT0_PKT_PKT1_PKT2_il,comdat
.Lfunc_end234:
	.size	_ZN5aiter30swiglu_act_and_mul_bias_kernelIDF16_DF16_hfLi8EEEvPT0_PKT_PKT1_PKT2_il, .Lfunc_end234-_ZN5aiter30swiglu_act_and_mul_bias_kernelIDF16_DF16_hfLi8EEEvPT0_PKT_PKT1_PKT2_il
                                        ; -- End function
	.section	.AMDGPU.csdata,"",@progbits
; Kernel info:
; codeLenInByte = 1820
; NumSgprs: 38
; NumVgprs: 42
; NumAgprs: 0
; TotalNumVgprs: 42
; ScratchSize: 0
; MemoryBound: 0
; FloatMode: 240
; IeeeMode: 1
; LDSByteSize: 0 bytes/workgroup (compile time only)
; SGPRBlocks: 4
; VGPRBlocks: 5
; NumSGPRsForWavesPerEU: 38
; NumVGPRsForWavesPerEU: 42
; AccumOffset: 44
; Occupancy: 8
; WaveLimiterHint : 0
; COMPUTE_PGM_RSRC2:SCRATCH_EN: 0
; COMPUTE_PGM_RSRC2:USER_SGPR: 2
; COMPUTE_PGM_RSRC2:TRAP_HANDLER: 0
; COMPUTE_PGM_RSRC2:TGID_X_EN: 1
; COMPUTE_PGM_RSRC2:TGID_Y_EN: 0
; COMPUTE_PGM_RSRC2:TGID_Z_EN: 0
; COMPUTE_PGM_RSRC2:TIDIG_COMP_CNT: 0
; COMPUTE_PGM_RSRC3_GFX90A:ACCUM_OFFSET: 10
; COMPUTE_PGM_RSRC3_GFX90A:TG_SPLIT: 0
	.section	.text._ZN5aiter30swiglu_act_and_mul_bias_kernelIDF16_DF16_hfLi4EEEvPT0_PKT_PKT1_PKT2_il,"axG",@progbits,_ZN5aiter30swiglu_act_and_mul_bias_kernelIDF16_DF16_hfLi4EEEvPT0_PKT_PKT1_PKT2_il,comdat
	.protected	_ZN5aiter30swiglu_act_and_mul_bias_kernelIDF16_DF16_hfLi4EEEvPT0_PKT_PKT1_PKT2_il ; -- Begin function _ZN5aiter30swiglu_act_and_mul_bias_kernelIDF16_DF16_hfLi4EEEvPT0_PKT_PKT1_PKT2_il
	.globl	_ZN5aiter30swiglu_act_and_mul_bias_kernelIDF16_DF16_hfLi4EEEvPT0_PKT_PKT1_PKT2_il
	.p2align	8
	.type	_ZN5aiter30swiglu_act_and_mul_bias_kernelIDF16_DF16_hfLi4EEEvPT0_PKT_PKT1_PKT2_il,@function
_ZN5aiter30swiglu_act_and_mul_bias_kernelIDF16_DF16_hfLi4EEEvPT0_PKT_PKT1_PKT2_il: ; @_ZN5aiter30swiglu_act_and_mul_bias_kernelIDF16_DF16_hfLi4EEEvPT0_PKT_PKT1_PKT2_il
; %bb.0:
	s_load_dwordx2 s[4:5], s[0:1], 0x10
	s_load_dword s20, s[0:1], 0x20
	s_load_dwordx2 s[6:7], s[0:1], 0x28
	v_mov_b32_e32 v1, s2
	s_mov_b32 s9, 0
	s_waitcnt lgkmcnt(0)
	global_load_ubyte v1, v1, s[4:5]
	s_add_i32 s3, s20, 1
	s_load_dwordx2 s[4:5], s[0:1], 0x0
	v_mov_b64_e32 v[2:3], s[6:7]
	s_lshr_b32 s6, s3, 31
	s_ashr_i32 s21, s20, 31
	s_add_i32 s3, s3, s6
	s_mul_hi_u32 s8, s20, s2
	s_mul_i32 s7, s21, s2
	s_lshl_b32 s3, s3, 1
	s_mul_i32 s12, s20, s2
	s_add_i32 s13, s8, s7
	s_and_b32 s6, s3, -4
	s_lshl_b64 s[12:13], s[12:13], 1
	s_mov_b64 s[10:11], -1
	v_lshlrev_b32_e32 v8, 2, v0
	s_waitcnt vmcnt(0)
	v_readfirstlane_b32 s3, v1
	s_and_b32 s8, s3, 0xffff
	s_waitcnt lgkmcnt(0)
	s_add_u32 s4, s4, s12
	v_cmp_lt_i64_e32 vcc, s[8:9], v[2:3]
	s_addc_u32 s3, s5, s13
	s_and_b32 s5, s3, 0xffff
	s_cbranch_vccnz .LBB235_5
; %bb.1:
	v_cmp_gt_i32_e32 vcc, s20, v8
	s_and_saveexec_b64 s[10:11], vcc
	s_cbranch_execz .LBB235_4
; %bb.2:
	s_load_dword s3, s[0:1], 0x3c
	v_mov_b32_e32 v9, 0
	s_mov_b32 s13, 0
	v_lshlrev_b32_e32 v1, 3, v0
	s_mov_b64 s[14:15], 0
	s_waitcnt lgkmcnt(0)
	s_and_b32 s3, s3, 0xffff
	s_lshl_b32 s12, s3, 2
	s_lshl_b32 s3, s3, 3
	s_mov_b32 s7, 0x20000
	v_mov_b32_e32 v2, v9
	v_mov_b32_e32 v3, v9
	v_mov_b64_e32 v[4:5], v[8:9]
.LBB235_3:                              ; =>This Inner Loop Header: Depth=1
	v_lshl_add_u64 v[4:5], s[12:13], 0, v[4:5]
	v_cmp_le_i64_e32 vcc, s[20:21], v[4:5]
	buffer_store_dwordx2 v[2:3], v1, s[4:7], 0 offen
	s_or_b64 s[14:15], vcc, s[14:15]
	v_add_u32_e32 v1, s3, v1
	s_andn2_b64 exec, exec, s[14:15]
	s_cbranch_execnz .LBB235_3
.LBB235_4:
	s_or_b64 exec, exec, s[10:11]
	s_mov_b64 s[10:11], 0
.LBB235_5:
	s_andn2_b64 vcc, exec, s[10:11]
	s_cbranch_vccnz .LBB235_9
; %bb.6:
	v_cmp_gt_i32_e32 vcc, s20, v8
	s_and_saveexec_b64 s[10:11], vcc
	s_cbranch_execz .LBB235_9
; %bb.7:
	s_load_dwordx2 s[12:13], s[0:1], 0x8
	s_load_dwordx2 s[10:11], s[0:1], 0x18
	s_mul_hi_i32 s9, s20, s8
	s_mul_i32 s8, s20, s8
	s_lshl_b64 s[8:9], s[8:9], 3
	s_load_dword s14, s[0:1], 0x3c
	s_waitcnt lgkmcnt(0)
	s_add_u32 s8, s10, s8
	s_addc_u32 s3, s11, s9
	s_lshl_b64 s[0:1], s[20:21], 2
	s_add_u32 s0, s8, s0
	s_addc_u32 s1, s3, s1
	s_and_b32 s9, s3, 0xffff
	s_mul_i32 s3, s2, s21
	s_mul_hi_u32 s15, s2, s20
	s_add_i32 s3, s15, s3
	s_mul_i32 s2, s2, s20
	s_lshl_b32 s10, s20, 2
	s_and_b32 s1, s1, 0xffff
	s_lshl_b64 s[2:3], s[2:3], 2
	s_add_u32 s12, s12, s2
	s_addc_u32 s13, s13, s3
	s_lshl_b64 s[2:3], s[20:21], 1
	s_add_u32 s16, s12, s2
	s_addc_u32 s2, s13, s3
	s_mov_b32 s7, 0x20000
	s_and_b32 s17, s2, 0xffff
	s_and_b32 s2, s14, 0xffff
	s_mov_b32 s11, s7
	s_and_b32 s13, s13, 0xffff
	s_mov_b32 s23, 0
	v_mov_b32_e32 v9, 0
	s_lshl_b32 s22, s2, 2
	v_lshlrev_b32_e32 v14, 4, v0
	s_lshl_b32 s26, s2, 4
	v_lshlrev_b32_e32 v15, 3, v0
	s_lshl_b32 s27, s2, 3
	s_mov_b64 s[24:25], 0
	s_mov_b32 s28, 0x3fb8aa3b
	s_mov_b32 s29, 0xc2ce8ed0
	;; [unrolled: 1-line block ×3, first 2 shown]
	v_mov_b32_e32 v16, 0x7f800000
	s_mov_b32 s31, 0xc0e00000
	v_mov_b32_e32 v17, 0x40e00000
	s_mov_b32 s14, s6
	s_mov_b32 s15, s7
	;; [unrolled: 1-line block ×4, first 2 shown]
.LBB235_8:                              ; =>This Inner Loop Header: Depth=1
	buffer_load_dwordx2 v[12:13], v15, s[12:15], 0 offen
	buffer_load_dwordx2 v[10:11], v15, s[16:19], 0 offen
	s_mov_b32 s2, s10
	s_mov_b32 s3, s11
	buffer_load_dwordx4 v[0:3], v14, s[8:11], 0 offen
	buffer_load_dwordx4 v[4:7], v14, s[0:3], 0 offen
	v_lshl_add_u64 v[8:9], s[22:23], 0, v[8:9]
	v_add_u32_e32 v14, s26, v14
	s_waitcnt vmcnt(3)
	v_cvt_f32_f16_e32 v18, v12
	v_cvt_f32_f16_sdwa v19, v12 dst_sel:DWORD dst_unused:UNUSED_PAD src0_sel:WORD_1
	s_waitcnt vmcnt(2)
	v_cvt_f32_f16_e32 v20, v10
	v_cvt_f32_f16_sdwa v21, v10 dst_sel:DWORD dst_unused:UNUSED_PAD src0_sel:WORD_1
	v_cvt_f32_f16_e32 v12, v13
	v_cvt_f32_f16_sdwa v13, v13 dst_sel:DWORD dst_unused:UNUSED_PAD src0_sel:WORD_1
	;; [unrolled: 2-line block ×3, first 2 shown]
	s_waitcnt vmcnt(1)
	v_pk_add_f32 v[0:1], v[0:1], v[18:19]
	v_pk_add_f32 v[2:3], v[2:3], v[12:13]
	v_min_f32_e32 v0, 0x40e00000, v0
	s_waitcnt vmcnt(0)
	v_pk_add_f32 v[6:7], v[6:7], v[10:11]
	v_min_f32_e32 v1, 0x40e00000, v1
	v_mul_f32_e32 v10, 0xbfd9db23, v0
	v_min_f32_e32 v2, 0x40e00000, v2
	v_mul_f32_e32 v11, 0xbfd9db23, v1
	v_mul_f32_e32 v18, 0x3fb8aa3b, v10
	v_min_f32_e32 v3, 0x40e00000, v3
	v_mul_f32_e32 v12, 0xbfd9db23, v2
	v_mul_f32_e32 v19, 0x3fb8aa3b, v11
	v_fma_f32 v22, v10, s28, -v18
	v_rndne_f32_e32 v23, v18
	v_pk_add_f32 v[4:5], v[4:5], v[20:21]
	v_mul_f32_e32 v13, 0xbfd9db23, v3
	v_mul_f32_e32 v20, 0x3fb8aa3b, v12
	v_fma_f32 v24, v11, s28, -v19
	v_rndne_f32_e32 v25, v19
	v_fmac_f32_e32 v22, 0x32a5705f, v10
	v_sub_f32_e32 v18, v18, v23
	v_mul_f32_e32 v21, 0x3fb8aa3b, v13
	v_fma_f32 v26, v12, s28, -v20
	v_rndne_f32_e32 v27, v20
	v_fmac_f32_e32 v24, 0x32a5705f, v11
	v_sub_f32_e32 v19, v19, v25
	v_add_f32_e32 v18, v18, v22
	v_fma_f32 v28, v13, s28, -v21
	v_rndne_f32_e32 v29, v21
	v_cvt_i32_f32_e32 v23, v23
	v_fmac_f32_e32 v26, 0x32a5705f, v12
	v_sub_f32_e32 v20, v20, v27
	v_add_f32_e32 v19, v19, v24
	v_exp_f32_e32 v18, v18
	v_cvt_i32_f32_e32 v25, v25
	v_fmac_f32_e32 v28, 0x32a5705f, v13
	v_sub_f32_e32 v21, v21, v29
	v_add_f32_e32 v20, v20, v26
	v_exp_f32_e32 v19, v19
	v_cvt_i32_f32_e32 v27, v27
	v_add_f32_e32 v21, v21, v28
	v_exp_f32_e32 v20, v20
	v_cvt_i32_f32_e32 v29, v29
	v_exp_f32_e32 v21, v21
	v_ldexp_f32 v18, v18, v23
	v_cmp_ngt_f32_e32 vcc, s29, v10
	v_ldexp_f32 v19, v19, v25
	v_ldexp_f32 v20, v20, v27
	v_cndmask_b32_e32 v18, 0, v18, vcc
	v_cmp_ngt_f32_e32 vcc, s29, v11
	v_ldexp_f32 v21, v21, v29
	v_med3_f32 v5, v5, s31, v17
	v_cndmask_b32_e32 v19, 0, v19, vcc
	v_cmp_ngt_f32_e32 vcc, s29, v12
	v_med3_f32 v4, v4, s31, v17
	v_med3_f32 v7, v7, s31, v17
	v_cndmask_b32_e32 v20, 0, v20, vcc
	v_cmp_ngt_f32_e32 vcc, s29, v13
	v_med3_f32 v6, v6, s31, v17
	v_pk_add_f32 v[4:5], v[4:5], 1.0 op_sel_hi:[1,0]
	v_cndmask_b32_e32 v21, 0, v21, vcc
	v_cmp_nlt_f32_e32 vcc, s30, v10
	v_pk_add_f32 v[6:7], v[6:7], 1.0 op_sel_hi:[1,0]
	s_nop 0
	v_cndmask_b32_e32 v10, v16, v18, vcc
	v_cmp_nlt_f32_e32 vcc, s30, v11
	v_add_f32_e32 v10, 1.0, v10
	v_rcp_f32_e32 v10, v10
	v_cndmask_b32_e32 v11, v16, v19, vcc
	v_cmp_nlt_f32_e32 vcc, s30, v12
	v_add_f32_e32 v11, 1.0, v11
	v_rcp_f32_e32 v11, v11
	;; [unrolled: 4-line block ×3, first 2 shown]
	v_cndmask_b32_e32 v13, v16, v21, vcc
	v_add_f32_e32 v13, 1.0, v13
	v_rcp_f32_e32 v13, v13
	v_pk_mul_f32 v[0:1], v[0:1], v[10:11]
	v_cmp_le_i64_e32 vcc, s[20:21], v[8:9]
	v_pk_mul_f32 v[0:1], v[4:5], v[0:1]
	v_pk_mul_f32 v[2:3], v[2:3], v[12:13]
	v_cvt_f16_f32_e32 v4, v1
	v_pk_mul_f32 v[2:3], v[6:7], v[2:3]
	v_cvt_f16_f32_e32 v0, v0
	v_cvt_f16_f32_e32 v1, v3
	;; [unrolled: 1-line block ×3, first 2 shown]
	s_or_b64 s[24:25], vcc, s[24:25]
	v_pack_b32_f16 v0, v0, v4
	v_pack_b32_f16 v1, v2, v1
	buffer_store_dwordx2 v[0:1], v15, s[4:7], 0 offen
	v_add_u32_e32 v15, s27, v15
	s_andn2_b64 exec, exec, s[24:25]
	s_cbranch_execnz .LBB235_8
.LBB235_9:
	s_endpgm
	.section	.rodata,"a",@progbits
	.p2align	6, 0x0
	.amdhsa_kernel _ZN5aiter30swiglu_act_and_mul_bias_kernelIDF16_DF16_hfLi4EEEvPT0_PKT_PKT1_PKT2_il
		.amdhsa_group_segment_fixed_size 0
		.amdhsa_private_segment_fixed_size 0
		.amdhsa_kernarg_size 304
		.amdhsa_user_sgpr_count 2
		.amdhsa_user_sgpr_dispatch_ptr 0
		.amdhsa_user_sgpr_queue_ptr 0
		.amdhsa_user_sgpr_kernarg_segment_ptr 1
		.amdhsa_user_sgpr_dispatch_id 0
		.amdhsa_user_sgpr_kernarg_preload_length 0
		.amdhsa_user_sgpr_kernarg_preload_offset 0
		.amdhsa_user_sgpr_private_segment_size 0
		.amdhsa_uses_dynamic_stack 0
		.amdhsa_enable_private_segment 0
		.amdhsa_system_sgpr_workgroup_id_x 1
		.amdhsa_system_sgpr_workgroup_id_y 0
		.amdhsa_system_sgpr_workgroup_id_z 0
		.amdhsa_system_sgpr_workgroup_info 0
		.amdhsa_system_vgpr_workitem_id 0
		.amdhsa_next_free_vgpr 30
		.amdhsa_next_free_sgpr 32
		.amdhsa_accum_offset 32
		.amdhsa_reserve_vcc 1
		.amdhsa_float_round_mode_32 0
		.amdhsa_float_round_mode_16_64 0
		.amdhsa_float_denorm_mode_32 3
		.amdhsa_float_denorm_mode_16_64 3
		.amdhsa_dx10_clamp 1
		.amdhsa_ieee_mode 1
		.amdhsa_fp16_overflow 0
		.amdhsa_tg_split 0
		.amdhsa_exception_fp_ieee_invalid_op 0
		.amdhsa_exception_fp_denorm_src 0
		.amdhsa_exception_fp_ieee_div_zero 0
		.amdhsa_exception_fp_ieee_overflow 0
		.amdhsa_exception_fp_ieee_underflow 0
		.amdhsa_exception_fp_ieee_inexact 0
		.amdhsa_exception_int_div_zero 0
	.end_amdhsa_kernel
	.section	.text._ZN5aiter30swiglu_act_and_mul_bias_kernelIDF16_DF16_hfLi4EEEvPT0_PKT_PKT1_PKT2_il,"axG",@progbits,_ZN5aiter30swiglu_act_and_mul_bias_kernelIDF16_DF16_hfLi4EEEvPT0_PKT_PKT1_PKT2_il,comdat
.Lfunc_end235:
	.size	_ZN5aiter30swiglu_act_and_mul_bias_kernelIDF16_DF16_hfLi4EEEvPT0_PKT_PKT1_PKT2_il, .Lfunc_end235-_ZN5aiter30swiglu_act_and_mul_bias_kernelIDF16_DF16_hfLi4EEEvPT0_PKT_PKT1_PKT2_il
                                        ; -- End function
	.section	.AMDGPU.csdata,"",@progbits
; Kernel info:
; codeLenInByte = 1208
; NumSgprs: 38
; NumVgprs: 30
; NumAgprs: 0
; TotalNumVgprs: 30
; ScratchSize: 0
; MemoryBound: 0
; FloatMode: 240
; IeeeMode: 1
; LDSByteSize: 0 bytes/workgroup (compile time only)
; SGPRBlocks: 4
; VGPRBlocks: 3
; NumSGPRsForWavesPerEU: 38
; NumVGPRsForWavesPerEU: 30
; AccumOffset: 32
; Occupancy: 8
; WaveLimiterHint : 0
; COMPUTE_PGM_RSRC2:SCRATCH_EN: 0
; COMPUTE_PGM_RSRC2:USER_SGPR: 2
; COMPUTE_PGM_RSRC2:TRAP_HANDLER: 0
; COMPUTE_PGM_RSRC2:TGID_X_EN: 1
; COMPUTE_PGM_RSRC2:TGID_Y_EN: 0
; COMPUTE_PGM_RSRC2:TGID_Z_EN: 0
; COMPUTE_PGM_RSRC2:TIDIG_COMP_CNT: 0
; COMPUTE_PGM_RSRC3_GFX90A:ACCUM_OFFSET: 7
; COMPUTE_PGM_RSRC3_GFX90A:TG_SPLIT: 0
	.section	.text._ZN5aiter30swiglu_act_and_mul_bias_kernelIDF16_DF16_hfLi2EEEvPT0_PKT_PKT1_PKT2_il,"axG",@progbits,_ZN5aiter30swiglu_act_and_mul_bias_kernelIDF16_DF16_hfLi2EEEvPT0_PKT_PKT1_PKT2_il,comdat
	.protected	_ZN5aiter30swiglu_act_and_mul_bias_kernelIDF16_DF16_hfLi2EEEvPT0_PKT_PKT1_PKT2_il ; -- Begin function _ZN5aiter30swiglu_act_and_mul_bias_kernelIDF16_DF16_hfLi2EEEvPT0_PKT_PKT1_PKT2_il
	.globl	_ZN5aiter30swiglu_act_and_mul_bias_kernelIDF16_DF16_hfLi2EEEvPT0_PKT_PKT1_PKT2_il
	.p2align	8
	.type	_ZN5aiter30swiglu_act_and_mul_bias_kernelIDF16_DF16_hfLi2EEEvPT0_PKT_PKT1_PKT2_il,@function
_ZN5aiter30swiglu_act_and_mul_bias_kernelIDF16_DF16_hfLi2EEEvPT0_PKT_PKT1_PKT2_il: ; @_ZN5aiter30swiglu_act_and_mul_bias_kernelIDF16_DF16_hfLi2EEEvPT0_PKT_PKT1_PKT2_il
; %bb.0:
	s_load_dwordx2 s[4:5], s[0:1], 0x10
	s_load_dword s20, s[0:1], 0x20
	s_load_dwordx2 s[6:7], s[0:1], 0x28
	v_mov_b32_e32 v1, s2
	s_mov_b32 s9, 0
	s_waitcnt lgkmcnt(0)
	global_load_ubyte v1, v1, s[4:5]
	s_add_i32 s3, s20, 1
	s_load_dwordx2 s[4:5], s[0:1], 0x0
	v_mov_b64_e32 v[4:5], s[6:7]
	s_lshr_b32 s6, s3, 31
	s_ashr_i32 s21, s20, 31
	s_add_i32 s3, s3, s6
	s_mul_hi_u32 s8, s20, s2
	s_mul_i32 s7, s21, s2
	s_lshl_b32 s3, s3, 1
	s_mul_i32 s12, s20, s2
	s_add_i32 s13, s8, s7
	s_and_b32 s6, s3, -4
	s_lshl_b64 s[12:13], s[12:13], 1
	s_mov_b64 s[10:11], -1
	v_lshlrev_b32_e32 v2, 1, v0
	s_waitcnt vmcnt(0)
	v_readfirstlane_b32 s3, v1
	s_and_b32 s8, s3, 0xffff
	s_waitcnt lgkmcnt(0)
	s_add_u32 s4, s4, s12
	v_cmp_lt_i64_e32 vcc, s[8:9], v[4:5]
	s_addc_u32 s3, s5, s13
	s_and_b32 s5, s3, 0xffff
	s_cbranch_vccnz .LBB236_5
; %bb.1:
	v_cmp_gt_i32_e32 vcc, s20, v2
	s_and_saveexec_b64 s[10:11], vcc
	s_cbranch_execz .LBB236_4
; %bb.2:
	s_load_dword s3, s[0:1], 0x3c
	v_mov_b32_e32 v3, 0
	s_mov_b32 s13, 0
	v_lshlrev_b32_e32 v1, 2, v0
	s_mov_b64 s[14:15], 0
	s_waitcnt lgkmcnt(0)
	s_and_b32 s3, s3, 0xffff
	s_lshl_b32 s12, s3, 1
	s_lshl_b32 s3, s3, 2
	s_mov_b32 s7, 0x20000
	v_mov_b64_e32 v[4:5], v[2:3]
.LBB236_3:                              ; =>This Inner Loop Header: Depth=1
	v_lshl_add_u64 v[4:5], s[12:13], 0, v[4:5]
	v_cmp_le_i64_e32 vcc, s[20:21], v[4:5]
	buffer_store_dword v3, v1, s[4:7], 0 offen
	s_or_b64 s[14:15], vcc, s[14:15]
	v_add_u32_e32 v1, s3, v1
	s_andn2_b64 exec, exec, s[14:15]
	s_cbranch_execnz .LBB236_3
.LBB236_4:
	s_or_b64 exec, exec, s[10:11]
	s_mov_b64 s[10:11], 0
.LBB236_5:
	s_andn2_b64 vcc, exec, s[10:11]
	s_cbranch_vccnz .LBB236_9
; %bb.6:
	v_cmp_gt_i32_e32 vcc, s20, v2
	s_and_saveexec_b64 s[10:11], vcc
	s_cbranch_execz .LBB236_9
; %bb.7:
	s_load_dwordx2 s[12:13], s[0:1], 0x8
	s_load_dwordx2 s[10:11], s[0:1], 0x18
	s_mul_hi_i32 s9, s20, s8
	s_mul_i32 s8, s20, s8
	s_lshl_b64 s[8:9], s[8:9], 3
	s_load_dword s14, s[0:1], 0x3c
	s_waitcnt lgkmcnt(0)
	s_add_u32 s8, s10, s8
	s_addc_u32 s3, s11, s9
	s_lshl_b64 s[0:1], s[20:21], 2
	s_add_u32 s0, s8, s0
	s_addc_u32 s1, s3, s1
	s_and_b32 s9, s3, 0xffff
	s_mul_i32 s3, s2, s21
	s_mul_hi_u32 s15, s2, s20
	s_add_i32 s3, s15, s3
	s_mul_i32 s2, s2, s20
	s_lshl_b32 s10, s20, 2
	s_and_b32 s1, s1, 0xffff
	s_lshl_b64 s[2:3], s[2:3], 2
	s_add_u32 s12, s12, s2
	s_addc_u32 s13, s13, s3
	s_lshl_b64 s[2:3], s[20:21], 1
	s_add_u32 s16, s12, s2
	s_addc_u32 s2, s13, s3
	s_mov_b32 s7, 0x20000
	s_and_b32 s17, s2, 0xffff
	s_and_b32 s2, s14, 0xffff
	s_mov_b32 s11, s7
	s_and_b32 s13, s13, 0xffff
	s_mov_b32 s23, 0
	v_mov_b32_e32 v3, 0
	s_lshl_b32 s22, s2, 1
	v_lshlrev_b32_e32 v1, 3, v0
	s_lshl_b32 s26, s2, 3
	v_lshlrev_b32_e32 v0, 2, v0
	s_lshl_b32 s27, s2, 2
	s_mov_b64 s[24:25], 0
	s_mov_b32 s28, 0x3fb8aa3b
	s_mov_b32 s29, 0xc2ce8ed0
	;; [unrolled: 1-line block ×3, first 2 shown]
	v_mov_b32_e32 v4, 0x7f800000
	s_mov_b32 s31, 0xc0e00000
	v_mov_b32_e32 v5, 0x40e00000
	s_mov_b32 s14, s6
	s_mov_b32 s15, s7
	;; [unrolled: 1-line block ×4, first 2 shown]
.LBB236_8:                              ; =>This Inner Loop Header: Depth=1
	buffer_load_dword v11, v0, s[12:15], 0 offen
	buffer_load_dword v13, v0, s[16:19], 0 offen
	buffer_load_dwordx2 v[6:7], v1, s[8:11], 0 offen
	s_mov_b32 s2, s10
	s_mov_b32 s3, s11
	buffer_load_dwordx2 v[8:9], v1, s[0:3], 0 offen
	v_lshl_add_u64 v[2:3], s[22:23], 0, v[2:3]
	v_add_u32_e32 v1, s26, v1
	s_waitcnt vmcnt(3)
	v_cvt_f32_f16_e32 v10, v11
	v_cvt_f32_f16_sdwa v11, v11 dst_sel:DWORD dst_unused:UNUSED_PAD src0_sel:WORD_1
	s_waitcnt vmcnt(2)
	v_cvt_f32_f16_e32 v12, v13
	v_cvt_f32_f16_sdwa v13, v13 dst_sel:DWORD dst_unused:UNUSED_PAD src0_sel:WORD_1
	s_waitcnt vmcnt(1)
	v_pk_add_f32 v[6:7], v[6:7], v[10:11]
	s_nop 0
	v_min_f32_e32 v6, 0x40e00000, v6
	v_min_f32_e32 v7, 0x40e00000, v7
	v_mul_f32_e32 v10, 0xbfd9db23, v6
	v_mul_f32_e32 v11, 0xbfd9db23, v7
	;; [unrolled: 1-line block ×4, first 2 shown]
	v_fma_f32 v16, v10, s28, -v14
	v_rndne_f32_e32 v17, v14
	v_fma_f32 v18, v11, s28, -v15
	v_rndne_f32_e32 v19, v15
	v_fmac_f32_e32 v16, 0x32a5705f, v10
	v_sub_f32_e32 v14, v14, v17
	v_fmac_f32_e32 v18, 0x32a5705f, v11
	v_sub_f32_e32 v15, v15, v19
	v_add_f32_e32 v14, v14, v16
	v_cvt_i32_f32_e32 v17, v17
	v_add_f32_e32 v15, v15, v18
	v_exp_f32_e32 v14, v14
	v_cvt_i32_f32_e32 v19, v19
	v_exp_f32_e32 v15, v15
	s_waitcnt vmcnt(0)
	v_pk_add_f32 v[8:9], v[8:9], v[12:13]
	v_ldexp_f32 v12, v14, v17
	v_cmp_ngt_f32_e32 vcc, s29, v10
	v_ldexp_f32 v13, v15, v19
	v_med3_f32 v9, v9, s31, v5
	v_cndmask_b32_e32 v12, 0, v12, vcc
	v_cmp_ngt_f32_e32 vcc, s29, v11
	v_med3_f32 v8, v8, s31, v5
	v_pk_add_f32 v[8:9], v[8:9], 1.0 op_sel_hi:[1,0]
	v_cndmask_b32_e32 v13, 0, v13, vcc
	v_cmp_nlt_f32_e32 vcc, s30, v10
	s_nop 1
	v_cndmask_b32_e32 v10, v4, v12, vcc
	v_cmp_nlt_f32_e32 vcc, s30, v11
	v_add_f32_e32 v10, 1.0, v10
	v_rcp_f32_e32 v10, v10
	v_cndmask_b32_e32 v11, v4, v13, vcc
	v_add_f32_e32 v11, 1.0, v11
	v_rcp_f32_e32 v11, v11
	v_cmp_le_i64_e32 vcc, s[20:21], v[2:3]
	s_or_b64 s[24:25], vcc, s[24:25]
	v_pk_mul_f32 v[6:7], v[6:7], v[10:11]
	s_nop 0
	v_pk_mul_f32 v[6:7], v[8:9], v[6:7]
	s_nop 0
	v_cvt_f16_f32_e32 v7, v7
	v_cvt_f16_f32_e32 v6, v6
	v_pack_b32_f16 v6, v6, v7
	buffer_store_dword v6, v0, s[4:7], 0 offen
	v_add_u32_e32 v0, s27, v0
	s_andn2_b64 exec, exec, s[24:25]
	s_cbranch_execnz .LBB236_8
.LBB236_9:
	s_endpgm
	.section	.rodata,"a",@progbits
	.p2align	6, 0x0
	.amdhsa_kernel _ZN5aiter30swiglu_act_and_mul_bias_kernelIDF16_DF16_hfLi2EEEvPT0_PKT_PKT1_PKT2_il
		.amdhsa_group_segment_fixed_size 0
		.amdhsa_private_segment_fixed_size 0
		.amdhsa_kernarg_size 304
		.amdhsa_user_sgpr_count 2
		.amdhsa_user_sgpr_dispatch_ptr 0
		.amdhsa_user_sgpr_queue_ptr 0
		.amdhsa_user_sgpr_kernarg_segment_ptr 1
		.amdhsa_user_sgpr_dispatch_id 0
		.amdhsa_user_sgpr_kernarg_preload_length 0
		.amdhsa_user_sgpr_kernarg_preload_offset 0
		.amdhsa_user_sgpr_private_segment_size 0
		.amdhsa_uses_dynamic_stack 0
		.amdhsa_enable_private_segment 0
		.amdhsa_system_sgpr_workgroup_id_x 1
		.amdhsa_system_sgpr_workgroup_id_y 0
		.amdhsa_system_sgpr_workgroup_id_z 0
		.amdhsa_system_sgpr_workgroup_info 0
		.amdhsa_system_vgpr_workitem_id 0
		.amdhsa_next_free_vgpr 20
		.amdhsa_next_free_sgpr 32
		.amdhsa_accum_offset 20
		.amdhsa_reserve_vcc 1
		.amdhsa_float_round_mode_32 0
		.amdhsa_float_round_mode_16_64 0
		.amdhsa_float_denorm_mode_32 3
		.amdhsa_float_denorm_mode_16_64 3
		.amdhsa_dx10_clamp 1
		.amdhsa_ieee_mode 1
		.amdhsa_fp16_overflow 0
		.amdhsa_tg_split 0
		.amdhsa_exception_fp_ieee_invalid_op 0
		.amdhsa_exception_fp_denorm_src 0
		.amdhsa_exception_fp_ieee_div_zero 0
		.amdhsa_exception_fp_ieee_overflow 0
		.amdhsa_exception_fp_ieee_underflow 0
		.amdhsa_exception_fp_ieee_inexact 0
		.amdhsa_exception_int_div_zero 0
	.end_amdhsa_kernel
	.section	.text._ZN5aiter30swiglu_act_and_mul_bias_kernelIDF16_DF16_hfLi2EEEvPT0_PKT_PKT1_PKT2_il,"axG",@progbits,_ZN5aiter30swiglu_act_and_mul_bias_kernelIDF16_DF16_hfLi2EEEvPT0_PKT_PKT1_PKT2_il,comdat
.Lfunc_end236:
	.size	_ZN5aiter30swiglu_act_and_mul_bias_kernelIDF16_DF16_hfLi2EEEvPT0_PKT_PKT1_PKT2_il, .Lfunc_end236-_ZN5aiter30swiglu_act_and_mul_bias_kernelIDF16_DF16_hfLi2EEEvPT0_PKT_PKT1_PKT2_il
                                        ; -- End function
	.section	.AMDGPU.csdata,"",@progbits
; Kernel info:
; codeLenInByte = 932
; NumSgprs: 38
; NumVgprs: 20
; NumAgprs: 0
; TotalNumVgprs: 20
; ScratchSize: 0
; MemoryBound: 0
; FloatMode: 240
; IeeeMode: 1
; LDSByteSize: 0 bytes/workgroup (compile time only)
; SGPRBlocks: 4
; VGPRBlocks: 2
; NumSGPRsForWavesPerEU: 38
; NumVGPRsForWavesPerEU: 20
; AccumOffset: 20
; Occupancy: 8
; WaveLimiterHint : 0
; COMPUTE_PGM_RSRC2:SCRATCH_EN: 0
; COMPUTE_PGM_RSRC2:USER_SGPR: 2
; COMPUTE_PGM_RSRC2:TRAP_HANDLER: 0
; COMPUTE_PGM_RSRC2:TGID_X_EN: 1
; COMPUTE_PGM_RSRC2:TGID_Y_EN: 0
; COMPUTE_PGM_RSRC2:TGID_Z_EN: 0
; COMPUTE_PGM_RSRC2:TIDIG_COMP_CNT: 0
; COMPUTE_PGM_RSRC3_GFX90A:ACCUM_OFFSET: 4
; COMPUTE_PGM_RSRC3_GFX90A:TG_SPLIT: 0
	.section	.text._ZN5aiter30swiglu_act_and_mul_bias_kernelIDF16_DF16_hfLi1EEEvPT0_PKT_PKT1_PKT2_il,"axG",@progbits,_ZN5aiter30swiglu_act_and_mul_bias_kernelIDF16_DF16_hfLi1EEEvPT0_PKT_PKT1_PKT2_il,comdat
	.protected	_ZN5aiter30swiglu_act_and_mul_bias_kernelIDF16_DF16_hfLi1EEEvPT0_PKT_PKT1_PKT2_il ; -- Begin function _ZN5aiter30swiglu_act_and_mul_bias_kernelIDF16_DF16_hfLi1EEEvPT0_PKT_PKT1_PKT2_il
	.globl	_ZN5aiter30swiglu_act_and_mul_bias_kernelIDF16_DF16_hfLi1EEEvPT0_PKT_PKT1_PKT2_il
	.p2align	8
	.type	_ZN5aiter30swiglu_act_and_mul_bias_kernelIDF16_DF16_hfLi1EEEvPT0_PKT_PKT1_PKT2_il,@function
_ZN5aiter30swiglu_act_and_mul_bias_kernelIDF16_DF16_hfLi1EEEvPT0_PKT_PKT1_PKT2_il: ; @_ZN5aiter30swiglu_act_and_mul_bias_kernelIDF16_DF16_hfLi1EEEvPT0_PKT_PKT1_PKT2_il
; %bb.0:
	s_load_dwordx2 s[4:5], s[0:1], 0x10
	s_load_dword s20, s[0:1], 0x20
	s_load_dwordx2 s[8:9], s[0:1], 0x28
	v_mov_b32_e32 v1, s2
	s_load_dwordx2 s[14:15], s[0:1], 0x0
	s_waitcnt lgkmcnt(0)
	global_load_ubyte v1, v1, s[4:5]
	s_add_i32 s3, s20, 1
	s_ashr_i32 s21, s20, 31
	v_mov_b64_e32 v[2:3], s[8:9]
	s_lshr_b32 s8, s3, 31
	s_mul_hi_u32 s6, s20, s2
	s_mul_i32 s9, s21, s2
	s_add_i32 s3, s3, s8
	s_mul_i32 s10, s20, s2
	s_add_i32 s11, s6, s9
	s_lshl_b32 s3, s3, 1
	s_lshl_b64 s[8:9], s[10:11], 1
	s_and_b32 s10, s3, -4
	s_mov_b32 s7, 0
	s_mov_b64 s[12:13], -1
	v_cmp_gt_i32_e64 s[4:5], s20, v0
	s_waitcnt vmcnt(0)
	v_readfirstlane_b32 s3, v1
	s_and_b32 s6, s3, 0xffff
	s_add_u32 s8, s14, s8
	v_cmp_lt_i64_e32 vcc, s[6:7], v[2:3]
	s_addc_u32 s3, s15, s9
	s_and_b32 s9, s3, 0xffff
	s_cbranch_vccnz .LBB237_5
; %bb.1:
	s_and_saveexec_b64 s[12:13], s[4:5]
	s_cbranch_execz .LBB237_4
; %bb.2:
	s_load_dword s3, s[0:1], 0x3c
	v_mov_b32_e32 v1, 0
	s_mov_b32 s5, 0
	v_lshlrev_b32_e32 v4, 1, v0
	s_mov_b64 s[14:15], 0
	s_waitcnt lgkmcnt(0)
	s_and_b32 s4, s3, 0xffff
	s_lshl_b32 s3, s4, 1
	s_mov_b32 s11, 0x20000
	v_mov_b64_e32 v[2:3], v[0:1]
.LBB237_3:                              ; =>This Inner Loop Header: Depth=1
	v_lshl_add_u64 v[2:3], v[2:3], 0, s[4:5]
	v_cmp_le_i64_e32 vcc, s[20:21], v[2:3]
	buffer_store_short v1, v4, s[8:11], 0 offen
	s_or_b64 s[14:15], vcc, s[14:15]
	v_add_u32_e32 v4, s3, v4
	s_andn2_b64 exec, exec, s[14:15]
	s_cbranch_execnz .LBB237_3
.LBB237_4:
	s_or_b64 exec, exec, s[12:13]
	s_mov_b64 s[12:13], 0
.LBB237_5:
	s_andn2_b64 vcc, exec, s[12:13]
	s_cbranch_vccnz .LBB237_9
; %bb.6:
	v_cmp_gt_i32_e32 vcc, s20, v0
	s_and_saveexec_b64 s[4:5], vcc
	s_cbranch_execz .LBB237_9
; %bb.7:
	s_load_dwordx2 s[12:13], s[0:1], 0x8
	s_load_dwordx2 s[4:5], s[0:1], 0x18
	s_mul_hi_i32 s7, s20, s6
	s_mul_i32 s6, s20, s6
	s_lshl_b64 s[6:7], s[6:7], 3
	s_load_dword s14, s[0:1], 0x3c
	s_waitcnt lgkmcnt(0)
	s_add_u32 s4, s4, s6
	s_addc_u32 s3, s5, s7
	s_lshl_b64 s[0:1], s[20:21], 2
	s_add_u32 s0, s4, s0
	s_addc_u32 s1, s3, s1
	s_and_b32 s5, s3, 0xffff
	s_mul_i32 s3, s2, s21
	s_mul_hi_u32 s15, s2, s20
	s_add_i32 s3, s15, s3
	s_mul_i32 s2, s2, s20
	s_lshl_b32 s6, s20, 2
	s_and_b32 s1, s1, 0xffff
	s_lshl_b64 s[2:3], s[2:3], 2
	s_add_u32 s12, s12, s2
	s_addc_u32 s13, s13, s3
	s_lshl_b64 s[2:3], s[20:21], 1
	s_add_u32 s16, s12, s2
	s_mov_b32 s11, 0x20000
	s_addc_u32 s2, s13, s3
	s_and_b32 s22, s14, 0xffff
	s_mov_b32 s7, s11
	s_and_b32 s13, s13, 0xffff
	s_and_b32 s17, s2, 0xffff
	s_mov_b32 s23, 0
	v_mov_b32_e32 v1, 0
	v_lshlrev_b32_e32 v2, 2, v0
	s_lshl_b32 s26, s22, 2
	v_lshlrev_b32_e32 v3, 1, v0
	s_lshl_b32 s27, s22, 1
	s_mov_b64 s[24:25], 0
	s_mov_b32 s14, s10
	s_mov_b32 s15, s11
	;; [unrolled: 1-line block ×5, first 2 shown]
	v_mov_b32_e32 v4, 0x7f800000
	s_mov_b32 s18, s10
	s_mov_b32 s19, s11
.LBB237_8:                              ; =>This Inner Loop Header: Depth=1
	buffer_load_ushort v5, v3, s[12:15], 0 offen
	buffer_load_ushort v6, v3, s[16:19], 0 offen
	buffer_load_dword v7, v2, s[4:7], 0 offen
	s_mov_b32 s2, s6
	s_mov_b32 s3, s7
	buffer_load_dword v8, v2, s[0:3], 0 offen
	v_lshl_add_u64 v[0:1], v[0:1], 0, s[22:23]
	v_cmp_le_i64_e32 vcc, s[20:21], v[0:1]
	s_or_b64 s[24:25], vcc, s[24:25]
	v_add_u32_e32 v2, s26, v2
	s_waitcnt vmcnt(3)
	v_cvt_f32_f16_e32 v5, v5
	s_waitcnt vmcnt(2)
	v_cvt_f32_f16_e32 v6, v6
	s_waitcnt vmcnt(1)
	v_add_f32_e32 v5, v5, v7
	v_min_f32_e32 v5, 0x40e00000, v5
	v_mul_f32_e32 v7, 0xbfd9db23, v5
	v_mul_f32_e32 v9, 0x3fb8aa3b, v7
	v_fma_f32 v10, v7, s28, -v9
	v_rndne_f32_e32 v11, v9
	v_fmac_f32_e32 v10, 0x32a5705f, v7
	v_sub_f32_e32 v9, v9, v11
	v_add_f32_e32 v9, v9, v10
	v_cvt_i32_f32_e32 v11, v11
	v_exp_f32_e32 v9, v9
	s_waitcnt vmcnt(0)
	v_add_f32_e32 v6, v6, v8
	v_cmp_ngt_f32_e32 vcc, s29, v7
	v_max_f32_e32 v6, 0xc0e00000, v6
	v_ldexp_f32 v8, v9, v11
	v_cndmask_b32_e32 v8, 0, v8, vcc
	v_cmp_nlt_f32_e32 vcc, s30, v7
	v_min_f32_e32 v6, 0x40e00000, v6
	v_add_f32_e32 v6, 1.0, v6
	v_cndmask_b32_e32 v7, v4, v8, vcc
	v_add_f32_e32 v7, 1.0, v7
	v_rcp_f32_e32 v7, v7
	s_nop 0
	v_mul_f32_e32 v5, v5, v7
	v_fma_mixlo_f16 v5, v6, v5, 0
	buffer_store_short v5, v3, s[8:11], 0 offen
	v_add_u32_e32 v3, s27, v3
	s_andn2_b64 exec, exec, s[24:25]
	s_cbranch_execnz .LBB237_8
.LBB237_9:
	s_endpgm
	.section	.rodata,"a",@progbits
	.p2align	6, 0x0
	.amdhsa_kernel _ZN5aiter30swiglu_act_and_mul_bias_kernelIDF16_DF16_hfLi1EEEvPT0_PKT_PKT1_PKT2_il
		.amdhsa_group_segment_fixed_size 0
		.amdhsa_private_segment_fixed_size 0
		.amdhsa_kernarg_size 304
		.amdhsa_user_sgpr_count 2
		.amdhsa_user_sgpr_dispatch_ptr 0
		.amdhsa_user_sgpr_queue_ptr 0
		.amdhsa_user_sgpr_kernarg_segment_ptr 1
		.amdhsa_user_sgpr_dispatch_id 0
		.amdhsa_user_sgpr_kernarg_preload_length 0
		.amdhsa_user_sgpr_kernarg_preload_offset 0
		.amdhsa_user_sgpr_private_segment_size 0
		.amdhsa_uses_dynamic_stack 0
		.amdhsa_enable_private_segment 0
		.amdhsa_system_sgpr_workgroup_id_x 1
		.amdhsa_system_sgpr_workgroup_id_y 0
		.amdhsa_system_sgpr_workgroup_id_z 0
		.amdhsa_system_sgpr_workgroup_info 0
		.amdhsa_system_vgpr_workitem_id 0
		.amdhsa_next_free_vgpr 12
		.amdhsa_next_free_sgpr 31
		.amdhsa_accum_offset 12
		.amdhsa_reserve_vcc 1
		.amdhsa_float_round_mode_32 0
		.amdhsa_float_round_mode_16_64 0
		.amdhsa_float_denorm_mode_32 3
		.amdhsa_float_denorm_mode_16_64 3
		.amdhsa_dx10_clamp 1
		.amdhsa_ieee_mode 1
		.amdhsa_fp16_overflow 0
		.amdhsa_tg_split 0
		.amdhsa_exception_fp_ieee_invalid_op 0
		.amdhsa_exception_fp_denorm_src 0
		.amdhsa_exception_fp_ieee_div_zero 0
		.amdhsa_exception_fp_ieee_overflow 0
		.amdhsa_exception_fp_ieee_underflow 0
		.amdhsa_exception_fp_ieee_inexact 0
		.amdhsa_exception_int_div_zero 0
	.end_amdhsa_kernel
	.section	.text._ZN5aiter30swiglu_act_and_mul_bias_kernelIDF16_DF16_hfLi1EEEvPT0_PKT_PKT1_PKT2_il,"axG",@progbits,_ZN5aiter30swiglu_act_and_mul_bias_kernelIDF16_DF16_hfLi1EEEvPT0_PKT_PKT1_PKT2_il,comdat
.Lfunc_end237:
	.size	_ZN5aiter30swiglu_act_and_mul_bias_kernelIDF16_DF16_hfLi1EEEvPT0_PKT_PKT1_PKT2_il, .Lfunc_end237-_ZN5aiter30swiglu_act_and_mul_bias_kernelIDF16_DF16_hfLi1EEEvPT0_PKT_PKT1_PKT2_il
                                        ; -- End function
	.section	.AMDGPU.csdata,"",@progbits
; Kernel info:
; codeLenInByte = 752
; NumSgprs: 37
; NumVgprs: 12
; NumAgprs: 0
; TotalNumVgprs: 12
; ScratchSize: 0
; MemoryBound: 0
; FloatMode: 240
; IeeeMode: 1
; LDSByteSize: 0 bytes/workgroup (compile time only)
; SGPRBlocks: 4
; VGPRBlocks: 1
; NumSGPRsForWavesPerEU: 37
; NumVGPRsForWavesPerEU: 12
; AccumOffset: 12
; Occupancy: 8
; WaveLimiterHint : 0
; COMPUTE_PGM_RSRC2:SCRATCH_EN: 0
; COMPUTE_PGM_RSRC2:USER_SGPR: 2
; COMPUTE_PGM_RSRC2:TRAP_HANDLER: 0
; COMPUTE_PGM_RSRC2:TGID_X_EN: 1
; COMPUTE_PGM_RSRC2:TGID_Y_EN: 0
; COMPUTE_PGM_RSRC2:TGID_Z_EN: 0
; COMPUTE_PGM_RSRC2:TIDIG_COMP_CNT: 0
; COMPUTE_PGM_RSRC3_GFX90A:ACCUM_OFFSET: 2
; COMPUTE_PGM_RSRC3_GFX90A:TG_SPLIT: 0
	.section	.text._ZN5aiter30swiglu_act_and_mul_bias_kernelItthfLi32EEEvPT0_PKT_PKT1_PKT2_il,"axG",@progbits,_ZN5aiter30swiglu_act_and_mul_bias_kernelItthfLi32EEEvPT0_PKT_PKT1_PKT2_il,comdat
	.protected	_ZN5aiter30swiglu_act_and_mul_bias_kernelItthfLi32EEEvPT0_PKT_PKT1_PKT2_il ; -- Begin function _ZN5aiter30swiglu_act_and_mul_bias_kernelItthfLi32EEEvPT0_PKT_PKT1_PKT2_il
	.globl	_ZN5aiter30swiglu_act_and_mul_bias_kernelItthfLi32EEEvPT0_PKT_PKT1_PKT2_il
	.p2align	8
	.type	_ZN5aiter30swiglu_act_and_mul_bias_kernelItthfLi32EEEvPT0_PKT_PKT1_PKT2_il,@function
_ZN5aiter30swiglu_act_and_mul_bias_kernelItthfLi32EEEvPT0_PKT_PKT1_PKT2_il: ; @_ZN5aiter30swiglu_act_and_mul_bias_kernelItthfLi32EEEvPT0_PKT_PKT1_PKT2_il
; %bb.0:
	s_load_dwordx2 s[4:5], s[0:1], 0x10
	s_load_dword s6, s[0:1], 0x20
	s_load_dwordx2 s[8:9], s[0:1], 0x28
	v_mov_b32_e32 v1, s2
	s_load_dwordx2 s[14:15], s[0:1], 0x0
	s_waitcnt lgkmcnt(0)
	global_load_ubyte v1, v1, s[4:5]
	s_add_i32 s3, s6, 1
	s_ashr_i32 s7, s6, 31
	v_mov_b64_e32 v[2:3], s[8:9]
	s_lshr_b32 s8, s3, 31
	s_mul_hi_u32 s4, s6, s2
	s_mul_i32 s9, s7, s2
	s_add_i32 s3, s3, s8
	s_mul_i32 s10, s6, s2
	s_add_i32 s11, s4, s9
	s_lshl_b32 s3, s3, 1
	s_lshl_b64 s[8:9], s[10:11], 1
	s_and_b32 s10, s3, -4
	s_mov_b32 s5, 0
	s_mov_b64 s[12:13], -1
	v_lshlrev_b32_e32 v20, 5, v0
	s_waitcnt vmcnt(0)
	v_readfirstlane_b32 s3, v1
	s_and_b32 s4, s3, 0xffff
	s_add_u32 s8, s14, s8
	v_cmp_lt_i64_e32 vcc, s[4:5], v[2:3]
	s_addc_u32 s3, s15, s9
	s_and_b32 s9, s3, 0xffff
	s_cbranch_vccnz .LBB238_5
; %bb.1:
	v_cmp_gt_i32_e32 vcc, s6, v20
	s_and_saveexec_b64 s[12:13], vcc
	s_cbranch_execz .LBB238_4
; %bb.2:
	s_load_dword s3, s[0:1], 0x3c
	s_mov_b32 s15, 0
	s_mov_b32 s20, s15
	;; [unrolled: 1-line block ×3, first 2 shown]
	v_mov_b32_e32 v21, 0
	s_waitcnt lgkmcnt(0)
	s_and_b32 s3, s3, 0xffff
	s_mov_b32 s22, s15
	s_mov_b32 s23, s15
	v_mov_b64_e32 v[2:3], s[20:21]
	v_lshlrev_b32_e32 v1, 6, v0
	s_lshl_b32 s14, s3, 5
	s_lshl_b32 s3, s3, 6
	s_mov_b64 s[16:17], 0
	s_mov_b32 s11, 0x20000
	v_mov_b64_e32 v[4:5], s[22:23]
	v_mov_b64_e32 v[6:7], v[20:21]
.LBB238_3:                              ; =>This Inner Loop Header: Depth=1
	v_lshl_add_u64 v[6:7], s[14:15], 0, v[6:7]
	v_cmp_le_i64_e32 vcc, s[6:7], v[6:7]
	buffer_store_dwordx4 v[2:5], v1, s[8:11], 0 offen
	buffer_store_dwordx4 v[2:5], v1, s[8:11], 16 offen
	;; [unrolled: 1-line block ×4, first 2 shown]
	s_or_b64 s[16:17], vcc, s[16:17]
	v_add_u32_e32 v1, s3, v1
	s_andn2_b64 exec, exec, s[16:17]
	s_cbranch_execnz .LBB238_3
.LBB238_4:
	s_or_b64 exec, exec, s[12:13]
	s_mov_b64 s[12:13], 0
.LBB238_5:
	s_andn2_b64 vcc, exec, s[12:13]
	s_cbranch_vccnz .LBB238_9
; %bb.6:
	v_cmp_gt_i32_e32 vcc, s6, v20
	s_and_saveexec_b64 s[12:13], vcc
	s_cbranch_execz .LBB238_9
; %bb.7:
	s_load_dwordx2 s[18:19], s[0:1], 0x8
	s_load_dwordx2 s[12:13], s[0:1], 0x18
	s_mul_hi_i32 s5, s6, s4
	s_mul_i32 s4, s6, s4
	s_lshl_b64 s[4:5], s[4:5], 3
	s_load_dword s3, s[0:1], 0x3c
	s_waitcnt lgkmcnt(0)
	s_add_u32 s12, s12, s4
	s_addc_u32 s4, s13, s5
	s_lshl_b64 s[0:1], s[6:7], 2
	s_add_u32 s16, s12, s0
	s_addc_u32 s0, s4, s1
	s_and_b32 s17, s0, 0xffff
	s_mul_i32 s0, s2, s7
	s_mul_hi_u32 s1, s2, s6
	s_add_i32 s1, s1, s0
	s_mul_i32 s0, s2, s6
	s_lshl_b32 s14, s6, 2
	s_and_b32 s13, s4, 0xffff
	s_lshl_b64 s[0:1], s[0:1], 2
	s_add_u32 s20, s18, s0
	s_addc_u32 s2, s19, s1
	s_lshl_b64 s[0:1], s[6:7], 1
	s_add_u32 s24, s20, s0
	s_addc_u32 s0, s2, s1
	s_mov_b32 s11, 0x20000
	s_and_b32 s25, s0, 0xffff
	s_and_b32 s0, s3, 0xffff
	s_mov_b32 s15, s11
	s_and_b32 s21, s2, 0xffff
	s_mov_b64 s[26:27], s[10:11]
	s_mov_b32 s29, 0
	v_mov_b32_e32 v21, 0
	s_lshl_b32 s28, s0, 5
	v_lshlrev_b32_e32 v52, 7, v0
	s_lshl_b32 s33, s0, 7
	v_lshlrev_b32_e32 v53, 6, v0
	s_lshl_b32 s34, s0, 6
	s_mov_b64 s[30:31], 0
	s_movk_i32 s35, 0x50
	s_movk_i32 s36, 0x60
	;; [unrolled: 1-line block ×3, first 2 shown]
	s_mov_b32 s38, 0x3fb8aa3b
	s_mov_b32 s39, 0xc2ce8ed0
	;; [unrolled: 1-line block ×3, first 2 shown]
	v_mov_b32_e32 v54, 0x7f800000
	s_mov_b32 s41, 0xc0e00000
	v_mov_b32_e32 v55, 0x40e00000
	s_mov_b32 s42, 0x7060302
	s_mov_b32 s22, s10
	;; [unrolled: 1-line block ×3, first 2 shown]
.LBB238_8:                              ; =>This Inner Loop Header: Depth=1
	buffer_load_dwordx4 v[16:19], v53, s[20:23], 0 offen
	buffer_load_dwordx4 v[12:15], v53, s[20:23], 16 offen
	;; [unrolled: 1-line block ×5, first 2 shown]
	s_mov_b32 s18, s14
	s_mov_b32 s19, s15
	v_lshl_add_u64 v[20:21], s[28:29], 0, v[20:21]
	s_waitcnt vmcnt(4)
	v_and_b32_e32 v23, 0xffff0000, v16
	v_lshlrev_b32_e32 v22, 16, v16
	v_and_b32_e32 v25, 0xffff0000, v17
	v_lshlrev_b32_e32 v24, 16, v17
	s_waitcnt vmcnt(0)
	v_and_b32_e32 v45, 0xffff0000, v2
	v_lshlrev_b32_e32 v44, 16, v2
	v_and_b32_e32 v49, 0xffff0000, v0
	v_lshlrev_b32_e32 v48, 16, v0
	;; [unrolled: 2-line block ×4, first 2 shown]
	buffer_load_dwordx4 v[0:3], v52, s[12:15], 0 offen
	v_and_b32_e32 v17, 0xffff0000, v18
	v_lshlrev_b32_e32 v16, 16, v18
	v_and_b32_e32 v27, 0xffff0000, v19
	v_lshlrev_b32_e32 v26, 16, v19
	;; [unrolled: 2-line block ×14, first 2 shown]
	s_waitcnt vmcnt(0)
	v_pk_add_f32 v[58:59], v[0:1], v[22:23]
	v_pk_add_f32 v[42:43], v[2:3], v[24:25]
	buffer_load_dwordx4 v[0:3], v52, s[12:15], 16 offen
	s_waitcnt vmcnt(0)
	v_pk_add_f32 v[24:25], v[0:1], v[16:17]
	v_pk_add_f32 v[22:23], v[2:3], v[26:27]
	buffer_load_dwordx4 v[0:3], v52, s[12:15], 32 offen
	s_waitcnt vmcnt(0)
	v_pk_add_f32 v[18:19], v[0:1], v[18:19]
	v_pk_add_f32 v[0:1], v[2:3], v[28:29]
	buffer_load_dwordx4 v[26:29], v52, s[12:15], 48 offen
	s_waitcnt vmcnt(0)
	v_pk_add_f32 v[36:37], v[26:27], v[12:13]
	v_pk_add_f32 v[2:3], v[28:29], v[30:31]
	buffer_load_dwordx4 v[26:29], v52, s[12:15], 64 offen
	s_waitcnt vmcnt(0)
	v_pk_add_f32 v[38:39], v[26:27], v[14:15]
	buffer_load_dwordx4 v[14:17], v52, s[12:15], s35 offen
	v_pk_add_f32 v[32:33], v[28:29], v[32:33]
	buffer_load_dwordx4 v[26:29], v52, s[16:19], 0 offen
	s_waitcnt vmcnt(1)
	v_pk_add_f32 v[14:15], v[14:15], v[8:9]
	buffer_load_dwordx4 v[6:9], v52, s[12:15], s36 offen
	v_pk_add_f32 v[12:13], v[16:17], v[34:35]
	s_waitcnt vmcnt(1)
	v_pk_add_f32 v[34:35], v[28:29], v[56:57]
	s_waitcnt vmcnt(0)
	v_pk_add_f32 v[16:17], v[6:7], v[10:11]
	v_pk_add_f32 v[10:11], v[8:9], v[40:41]
	buffer_load_dwordx4 v[6:9], v52, s[12:15], s37 offen
	v_pk_add_f32 v[40:41], v[26:27], v[48:49]
	buffer_load_dwordx4 v[26:29], v52, s[16:19], 16 offen
	v_min_f32_e32 v10, 0x40e00000, v10
	v_min_f32_e32 v11, 0x40e00000, v11
	s_waitcnt vmcnt(1)
	v_pk_add_f32 v[6:7], v[6:7], v[4:5]
	v_pk_add_f32 v[4:5], v[8:9], v[46:47]
	s_waitcnt vmcnt(0)
	v_pk_add_f32 v[48:49], v[26:27], v[44:45]
	v_min_f32_e32 v44, 0x40e00000, v58
	v_mul_f32_e32 v8, 0xbfd9db23, v44
	v_min_f32_e32 v45, 0x40e00000, v59
	v_mul_f32_e32 v26, 0x3fb8aa3b, v8
	v_pk_add_f32 v[50:51], v[28:29], v[50:51]
	v_mul_f32_e32 v9, 0xbfd9db23, v45
	v_fma_f32 v28, v8, s38, -v26
	v_rndne_f32_e32 v29, v26
	v_mul_f32_e32 v27, 0x3fb8aa3b, v9
	v_fmac_f32_e32 v28, 0x32a5705f, v8
	v_sub_f32_e32 v26, v26, v29
	v_add_f32_e32 v26, v26, v28
	v_fma_f32 v28, v9, s38, -v27
	v_rndne_f32_e32 v30, v27
	v_fmac_f32_e32 v28, 0x32a5705f, v9
	v_sub_f32_e32 v27, v27, v30
	v_add_f32_e32 v27, v27, v28
	v_exp_f32_e32 v26, v26
	v_cvt_i32_f32_e32 v28, v29
	v_exp_f32_e32 v27, v27
	v_cvt_i32_f32_e32 v29, v30
	v_cmp_ngt_f32_e32 vcc, s39, v8
	v_ldexp_f32 v26, v26, v28
	v_min_f32_e32 v28, 0x40e00000, v42
	v_mul_f32_e32 v30, 0xbfd9db23, v28
	v_mul_f32_e32 v31, 0x3fb8aa3b, v30
	v_ldexp_f32 v27, v27, v29
	v_min_f32_e32 v29, 0x40e00000, v43
	v_fma_f32 v42, v30, s38, -v31
	v_rndne_f32_e32 v43, v31
	v_cndmask_b32_e32 v26, 0, v26, vcc
	v_cmp_nlt_f32_e32 vcc, s40, v8
	v_fmac_f32_e32 v42, 0x32a5705f, v30
	v_sub_f32_e32 v31, v31, v43
	v_cndmask_b32_e32 v8, v54, v26, vcc
	v_add_f32_e32 v31, v31, v42
	v_add_f32_e32 v8, 1.0, v8
	v_cmp_ngt_f32_e32 vcc, s39, v9
	v_rcp_f32_e32 v46, v8
	v_exp_f32_e32 v8, v31
	v_cndmask_b32_e32 v26, 0, v27, vcc
	v_cmp_nlt_f32_e32 vcc, s40, v9
	v_cvt_i32_f32_e32 v9, v43
	v_min_f32_e32 v6, 0x40e00000, v6
	v_cndmask_b32_e32 v26, v54, v26, vcc
	v_add_f32_e32 v26, 1.0, v26
	v_ldexp_f32 v8, v8, v9
	v_mul_f32_e32 v9, 0xbfd9db23, v29
	v_rcp_f32_e32 v47, v26
	v_mul_f32_e32 v26, 0x3fb8aa3b, v9
	v_fma_f32 v27, v9, s38, -v26
	v_rndne_f32_e32 v31, v26
	v_fmac_f32_e32 v27, 0x32a5705f, v9
	v_sub_f32_e32 v26, v26, v31
	v_add_f32_e32 v26, v26, v27
	v_exp_f32_e32 v26, v26
	v_cvt_i32_f32_e32 v27, v31
	v_cmp_ngt_f32_e32 vcc, s39, v30
	v_min_f32_e32 v31, 0x40e00000, v23
	v_min_f32_e32 v23, 0x40e00000, v1
	v_cndmask_b32_e32 v8, 0, v8, vcc
	v_cmp_nlt_f32_e32 vcc, s40, v30
	v_ldexp_f32 v26, v26, v27
	v_min_f32_e32 v30, 0x40e00000, v22
	v_cndmask_b32_e32 v8, v54, v8, vcc
	v_add_f32_e32 v8, 1.0, v8
	v_cmp_ngt_f32_e32 vcc, s39, v9
	v_rcp_f32_e32 v42, v8
	v_min_f32_e32 v22, 0x40e00000, v0
	v_cndmask_b32_e32 v8, 0, v26, vcc
	v_min_f32_e32 v26, 0x40e00000, v24
	v_mul_f32_e32 v56, 0xbfd9db23, v26
	v_min_f32_e32 v0, 0x40e00000, v32
	v_med3_f32 v32, v34, s41, v55
	v_med3_f32 v34, v40, s41, v55
	v_mul_f32_e32 v40, 0x3fb8aa3b, v56
	v_min_f32_e32 v24, 0x40e00000, v18
	v_min_f32_e32 v18, 0x40e00000, v36
	;; [unrolled: 1-line block ×3, first 2 shown]
	v_med3_f32 v33, v35, s41, v55
	v_med3_f32 v35, v41, s41, v55
	;; [unrolled: 1-line block ×3, first 2 shown]
	v_fma_f32 v41, v56, s38, -v40
	v_rndne_f32_e32 v48, v40
	v_min_f32_e32 v27, 0x40e00000, v25
	v_fmac_f32_e32 v41, 0x32a5705f, v56
	v_sub_f32_e32 v40, v40, v48
	v_min_f32_e32 v25, 0x40e00000, v19
	v_min_f32_e32 v19, 0x40e00000, v37
	v_med3_f32 v37, v49, s41, v55
	v_add_f32_e32 v49, v40, v41
	v_pk_mul_f32 v[40:41], v[44:45], v[46:47]
	v_mul_f32_e32 v44, 0xbfd9db23, v27
	v_mul_f32_e32 v45, 0x3fb8aa3b, v44
	v_fma_f32 v46, v44, s38, -v45
	v_rndne_f32_e32 v47, v45
	v_fmac_f32_e32 v46, 0x32a5705f, v44
	v_sub_f32_e32 v45, v45, v47
	v_add_f32_e32 v45, v45, v46
	v_exp_f32_e32 v45, v45
	v_cvt_i32_f32_e32 v47, v47
	v_exp_f32_e32 v46, v49
	v_cvt_i32_f32_e32 v48, v48
	v_cmp_nlt_f32_e32 vcc, s40, v9
	v_ldexp_f32 v45, v45, v47
	v_mul_f32_e32 v47, 0xbfd9db23, v30
	v_cndmask_b32_e32 v8, v54, v8, vcc
	v_add_f32_e32 v8, 1.0, v8
	v_ldexp_f32 v46, v46, v48
	v_mul_f32_e32 v48, 0x3fb8aa3b, v47
	v_cmp_ngt_f32_e32 vcc, s39, v56
	v_cmp_ngt_f32_e64 s[2:3], s39, v44
	v_rcp_f32_e32 v43, v8
	v_min_f32_e32 v8, 0x40e00000, v2
	v_min_f32_e32 v2, 0x40e00000, v38
	v_med3_f32 v38, v50, s41, v55
	v_fma_f32 v49, v47, s38, -v48
	v_rndne_f32_e32 v50, v48
	v_cmp_nlt_f32_e64 s[0:1], s40, v56
	v_cmp_nlt_f32_e64 s[4:5], s40, v44
	v_cndmask_b32_e32 v44, 0, v46, vcc
	v_cndmask_b32_e64 v45, 0, v45, s[2:3]
	v_fmac_f32_e32 v49, 0x32a5705f, v47
	v_sub_f32_e32 v48, v48, v50
	v_cndmask_b32_e64 v44, v54, v44, s[0:1]
	v_cndmask_b32_e64 v45, v54, v45, s[4:5]
	v_min_f32_e32 v9, 0x40e00000, v3
	v_min_f32_e32 v3, 0x40e00000, v39
	v_med3_f32 v39, v51, s41, v55
	v_add_f32_e32 v51, v48, v49
	v_add_f32_e32 v44, 1.0, v44
	v_add_f32_e32 v45, 1.0, v45
	v_rcp_f32_e32 v48, v44
	v_rcp_f32_e32 v49, v45
	v_exp_f32_e32 v44, v51
	v_cvt_i32_f32_e32 v45, v50
	v_cmp_ngt_f32_e32 vcc, s39, v47
	v_cmp_nlt_f32_e64 s[0:1], s40, v47
	v_pk_add_f32 v[32:33], v[32:33], 1.0 op_sel_hi:[1,0]
	v_ldexp_f32 v44, v44, v45
	v_mul_f32_e32 v45, 0xbfd9db23, v31
	v_mul_f32_e32 v46, 0x3fb8aa3b, v45
	v_fma_f32 v50, v45, s38, -v46
	v_rndne_f32_e32 v51, v46
	v_fmac_f32_e32 v50, 0x32a5705f, v45
	v_sub_f32_e32 v46, v46, v51
	v_add_f32_e32 v46, v46, v50
	v_exp_f32_e32 v46, v46
	v_cvt_i32_f32_e32 v47, v51
	v_cndmask_b32_e32 v44, 0, v44, vcc
	v_cndmask_b32_e64 v44, v54, v44, s[0:1]
	v_add_f32_e32 v44, 1.0, v44
	v_ldexp_f32 v47, v46, v47
	v_cmp_ngt_f32_e32 vcc, s39, v45
	v_cmp_nlt_f32_e64 s[0:1], s40, v45
	v_rcp_f32_e32 v46, v44
	v_cndmask_b32_e32 v44, 0, v47, vcc
	v_cndmask_b32_e64 v44, v54, v44, s[0:1]
	v_add_f32_e32 v44, 1.0, v44
	v_mul_f32_e32 v50, 0xbfd9db23, v24
	v_rcp_f32_e32 v47, v44
	v_pk_mul_f32 v[44:45], v[28:29], v[42:43]
	v_mul_f32_e32 v28, 0x3fb8aa3b, v50
	v_fma_f32 v29, v50, s38, -v28
	v_rndne_f32_e32 v42, v28
	v_fmac_f32_e32 v29, 0x32a5705f, v50
	v_sub_f32_e32 v28, v28, v42
	v_add_f32_e32 v28, v28, v29
	v_exp_f32_e32 v28, v28
	v_cvt_i32_f32_e32 v29, v42
	v_pk_mul_f32 v[46:47], v[30:31], v[46:47]
	v_pk_mul_f32 v[44:45], v[32:33], v[44:45]
	v_pk_add_f32 v[38:39], v[38:39], 1.0 op_sel_hi:[1,0]
	v_ldexp_f32 v28, v28, v29
	v_mul_f32_e32 v29, 0xbfd9db23, v25
	v_mul_f32_e32 v42, 0x3fb8aa3b, v29
	v_fma_f32 v43, v29, s38, -v42
	v_rndne_f32_e32 v51, v42
	v_fmac_f32_e32 v43, 0x32a5705f, v29
	v_sub_f32_e32 v42, v42, v51
	v_add_f32_e32 v42, v42, v43
	v_exp_f32_e32 v42, v42
	v_cvt_i32_f32_e32 v43, v51
	v_cmp_ngt_f32_e32 vcc, s39, v29
	v_cmp_nlt_f32_e64 s[0:1], s40, v29
	v_pk_mul_f32 v[38:39], v[38:39], v[46:47]
	v_ldexp_f32 v42, v42, v43
	v_cndmask_b32_e32 v29, 0, v42, vcc
	v_cmp_ngt_f32_e32 vcc, s39, v50
	v_pk_mul_f32 v[42:43], v[26:27], v[48:49]
	v_cndmask_b32_e64 v29, v54, v29, s[0:1]
	v_cndmask_b32_e32 v28, 0, v28, vcc
	v_cmp_nlt_f32_e32 vcc, s40, v50
	v_mul_f32_e32 v50, 0xbfd9db23, v22
	v_mul_f32_e32 v26, 0x3fb8aa3b, v50
	v_fma_f32 v27, v50, s38, -v26
	v_rndne_f32_e32 v48, v26
	v_fmac_f32_e32 v27, 0x32a5705f, v50
	v_sub_f32_e32 v26, v26, v48
	v_add_f32_e32 v26, v26, v27
	v_exp_f32_e32 v26, v26
	v_cvt_i32_f32_e32 v27, v48
	v_cndmask_b32_e32 v28, v54, v28, vcc
	v_pk_add_f32 v[36:37], v[36:37], 1.0 op_sel_hi:[1,0]
	v_pk_add_f32 v[34:35], v[34:35], 1.0 op_sel_hi:[1,0]
	v_ldexp_f32 v26, v26, v27
	v_mul_f32_e32 v27, 0xbfd9db23, v23
	v_mul_f32_e32 v48, 0x3fb8aa3b, v27
	v_fma_f32 v49, v27, s38, -v48
	v_rndne_f32_e32 v51, v48
	v_fmac_f32_e32 v49, 0x32a5705f, v27
	v_sub_f32_e32 v48, v48, v51
	v_add_f32_e32 v48, v48, v49
	v_exp_f32_e32 v48, v48
	v_cvt_i32_f32_e32 v49, v51
	v_cmp_ngt_f32_e32 vcc, s39, v27
	v_cmp_nlt_f32_e64 s[0:1], s40, v27
	v_pk_mul_f32 v[42:43], v[36:37], v[42:43]
	v_ldexp_f32 v48, v48, v49
	v_cndmask_b32_e32 v27, 0, v48, vcc
	v_mul_f32_e32 v48, 0xbfd9db23, v18
	v_mul_f32_e32 v30, 0x3fb8aa3b, v48
	v_fma_f32 v31, v48, s38, -v30
	v_rndne_f32_e32 v49, v30
	v_fmac_f32_e32 v31, 0x32a5705f, v48
	v_sub_f32_e32 v30, v30, v49
	v_add_f32_e32 v30, v30, v31
	v_exp_f32_e32 v30, v30
	v_cvt_i32_f32_e32 v31, v49
	v_cmp_ngt_f32_e32 vcc, s39, v50
	v_cndmask_b32_e64 v27, v54, v27, s[0:1]
	v_perm_b32 v37, v39, v38, s42
	v_ldexp_f32 v30, v30, v31
	v_mul_f32_e32 v31, 0xbfd9db23, v19
	v_mul_f32_e32 v49, 0x3fb8aa3b, v31
	v_cndmask_b32_e32 v26, 0, v26, vcc
	v_cmp_nlt_f32_e32 vcc, s40, v50
	v_fma_f32 v50, v31, s38, -v49
	v_rndne_f32_e32 v51, v49
	v_fmac_f32_e32 v50, 0x32a5705f, v31
	v_sub_f32_e32 v49, v49, v51
	v_add_f32_e32 v49, v49, v50
	v_exp_f32_e32 v49, v49
	v_cvt_i32_f32_e32 v50, v51
	v_cndmask_b32_e32 v26, v54, v26, vcc
	v_cmp_ngt_f32_e32 vcc, s39, v31
	v_cmp_nlt_f32_e64 s[0:1], s40, v31
	v_ldexp_f32 v49, v49, v50
	v_cndmask_b32_e32 v31, 0, v49, vcc
	v_cmp_ngt_f32_e32 vcc, s39, v48
	v_cndmask_b32_e64 v31, v54, v31, s[0:1]
	v_perm_b32 v36, v43, v42, s42
	v_cndmask_b32_e32 v30, 0, v30, vcc
	v_cmp_nlt_f32_e32 vcc, s40, v48
	v_mul_f32_e32 v48, 0xbfd9db23, v8
	v_mul_f32_e32 v32, 0x3fb8aa3b, v48
	v_fma_f32 v33, v48, s38, -v32
	v_rndne_f32_e32 v49, v32
	v_fmac_f32_e32 v33, 0x32a5705f, v48
	v_sub_f32_e32 v32, v32, v49
	v_add_f32_e32 v32, v32, v33
	v_exp_f32_e32 v32, v32
	v_cvt_i32_f32_e32 v33, v49
	v_cndmask_b32_e32 v30, v54, v30, vcc
	v_add_f32_e32 v28, 1.0, v28
	v_add_f32_e32 v29, 1.0, v29
	v_ldexp_f32 v32, v32, v33
	v_mul_f32_e32 v33, 0xbfd9db23, v9
	v_mul_f32_e32 v49, 0x3fb8aa3b, v33
	v_fma_f32 v50, v33, s38, -v49
	v_rndne_f32_e32 v51, v49
	v_fmac_f32_e32 v50, 0x32a5705f, v33
	v_sub_f32_e32 v49, v49, v51
	v_add_f32_e32 v49, v49, v50
	v_exp_f32_e32 v49, v49
	v_cvt_i32_f32_e32 v50, v51
	v_cmp_ngt_f32_e32 vcc, s39, v33
	v_cmp_nlt_f32_e64 s[0:1], s40, v33
	v_rcp_f32_e32 v28, v28
	v_ldexp_f32 v49, v49, v50
	v_cndmask_b32_e32 v33, 0, v49, vcc
	v_cmp_ngt_f32_e32 vcc, s39, v48
	v_cndmask_b32_e64 v33, v54, v33, s[0:1]
	v_rcp_f32_e32 v29, v29
	v_cndmask_b32_e32 v32, 0, v32, vcc
	v_cmp_nlt_f32_e32 vcc, s40, v48
	v_mul_f32_e32 v48, 0xbfd9db23, v2
	v_mul_f32_e32 v46, 0x3fb8aa3b, v48
	v_fma_f32 v47, v48, s38, -v46
	v_rndne_f32_e32 v49, v46
	v_fmac_f32_e32 v47, 0x32a5705f, v48
	v_sub_f32_e32 v46, v46, v49
	v_add_f32_e32 v46, v46, v47
	v_exp_f32_e32 v46, v46
	v_cvt_i32_f32_e32 v47, v49
	v_cndmask_b32_e32 v32, v54, v32, vcc
	v_pk_mul_f32 v[28:29], v[24:25], v[28:29]
	v_add_f32_e32 v26, 1.0, v26
	v_ldexp_f32 v49, v46, v47
	v_mul_f32_e32 v46, 0xbfd9db23, v3
	v_mul_f32_e32 v47, 0x3fb8aa3b, v46
	v_fma_f32 v50, v46, s38, -v47
	v_rndne_f32_e32 v51, v47
	v_fmac_f32_e32 v50, 0x32a5705f, v46
	v_sub_f32_e32 v47, v47, v51
	v_add_f32_e32 v47, v47, v50
	v_exp_f32_e32 v47, v47
	v_cvt_i32_f32_e32 v50, v51
	v_cmp_ngt_f32_e32 vcc, s39, v46
	v_cmp_nlt_f32_e64 s[0:1], s40, v46
	v_add_f32_e32 v27, 1.0, v27
	v_ldexp_f32 v50, v47, v50
	v_pk_mul_f32 v[46:47], v[34:35], v[40:41]
	v_perm_b32 v35, v45, v44, s42
	buffer_load_dwordx4 v[38:41], v53, s[24:27], 16 offen
	v_perm_b32 v34, v47, v46, s42
	buffer_store_dwordx4 v[34:37], v53, s[8:11], 0 offen
	buffer_load_dwordx4 v[34:37], v52, s[16:19], 32 offen
	v_rcp_f32_e32 v26, v26
	v_rcp_f32_e32 v27, v27
	v_add_f32_e32 v30, 1.0, v30
	v_add_f32_e32 v31, 1.0, v31
	v_rcp_f32_e32 v30, v30
	v_rcp_f32_e32 v31, v31
	v_pk_mul_f32 v[26:27], v[22:23], v[26:27]
	v_add_f32_e32 v32, 1.0, v32
	v_add_f32_e32 v33, 1.0, v33
	v_rcp_f32_e32 v32, v32
	v_rcp_f32_e32 v33, v33
	v_min_f32_e32 v7, 0x40e00000, v7
	v_min_f32_e32 v4, 0x40e00000, v4
	;; [unrolled: 1-line block ×3, first 2 shown]
	s_waitcnt vmcnt(2)
	v_and_b32_e32 v43, 0xffff0000, v40
	v_lshlrev_b32_e32 v42, 16, v40
	v_and_b32_e32 v45, 0xffff0000, v38
	v_lshlrev_b32_e32 v44, 16, v38
	;; [unrolled: 2-line block ×4, first 2 shown]
	s_waitcnt vmcnt(0)
	v_pk_add_f32 v[40:41], v[36:37], v[40:41]
	v_pk_add_f32 v[44:45], v[34:35], v[44:45]
	buffer_load_dwordx4 v[34:37], v52, s[16:19], 48 offen
	v_cndmask_b32_e32 v38, 0, v50, vcc
	v_cmp_ngt_f32_e32 vcc, s39, v48
	v_mul_f32_e32 v50, 0xbfd9db23, v0
	v_cndmask_b32_e64 v38, v54, v38, s[0:1]
	v_cndmask_b32_e32 v39, 0, v49, vcc
	v_cmp_nlt_f32_e32 vcc, s40, v48
	s_waitcnt vmcnt(0)
	v_pk_add_f32 v[48:49], v[34:35], v[42:43]
	v_mul_f32_e32 v34, 0x3fb8aa3b, v50
	v_pk_add_f32 v[46:47], v[36:37], v[46:47]
	v_fma_f32 v35, v50, s38, -v34
	v_rndne_f32_e32 v36, v34
	v_fmac_f32_e32 v35, 0x32a5705f, v50
	v_sub_f32_e32 v34, v34, v36
	v_add_f32_e32 v34, v34, v35
	v_exp_f32_e32 v37, v34
	v_cvt_i32_f32_e32 v36, v36
	v_cndmask_b32_e32 v39, v54, v39, vcc
	v_add_f32_e32 v39, 1.0, v39
	v_add_f32_e32 v35, 1.0, v38
	v_ldexp_f32 v36, v37, v36
	v_mul_f32_e32 v37, 0xbfd9db23, v1
	v_mul_f32_e32 v38, 0x3fb8aa3b, v37
	v_rcp_f32_e32 v34, v39
	v_fma_f32 v39, v37, s38, -v38
	v_rndne_f32_e32 v42, v38
	v_fmac_f32_e32 v39, 0x32a5705f, v37
	v_sub_f32_e32 v38, v38, v42
	v_add_f32_e32 v38, v38, v39
	v_exp_f32_e32 v38, v38
	v_cvt_i32_f32_e32 v39, v42
	v_cmp_ngt_f32_e32 vcc, s39, v50
	v_med3_f32 v42, v40, s41, v55
	v_med3_f32 v40, v44, s41, v55
	v_cndmask_b32_e32 v36, 0, v36, vcc
	v_cmp_nlt_f32_e32 vcc, s40, v50
	v_ldexp_f32 v38, v38, v39
	v_min_f32_e32 v39, 0x40e00000, v15
	v_cndmask_b32_e32 v36, v54, v36, vcc
	v_cmp_ngt_f32_e32 vcc, s39, v37
	v_min_f32_e32 v15, 0x40e00000, v13
	v_min_f32_e32 v13, 0x40e00000, v17
	v_cndmask_b32_e32 v38, 0, v38, vcc
	v_cmp_nlt_f32_e32 vcc, s40, v37
	v_med3_f32 v44, v48, s41, v55
	v_med3_f32 v43, v41, s41, v55
	v_cndmask_b32_e32 v37, v54, v38, vcc
	v_min_f32_e32 v38, 0x40e00000, v14
	v_mul_f32_e32 v50, 0xbfd9db23, v38
	v_min_f32_e32 v14, 0x40e00000, v12
	v_min_f32_e32 v12, 0x40e00000, v16
	v_mul_f32_e32 v16, 0x3fb8aa3b, v50
	v_fma_f32 v17, v50, s38, -v16
	v_rndne_f32_e32 v48, v16
	v_fmac_f32_e32 v17, 0x32a5705f, v50
	v_sub_f32_e32 v16, v16, v48
	v_add_f32_e32 v16, v16, v17
	v_mul_f32_e32 v17, 0xbfd9db23, v39
	v_mul_f32_e32 v24, 0x3fb8aa3b, v17
	v_med3_f32 v41, v45, s41, v55
	v_med3_f32 v45, v49, s41, v55
	v_fma_f32 v25, v17, s38, -v24
	v_rndne_f32_e32 v49, v24
	v_fmac_f32_e32 v25, 0x32a5705f, v17
	v_sub_f32_e32 v24, v24, v49
	v_add_f32_e32 v24, v24, v25
	v_exp_f32_e32 v16, v16
	v_cvt_i32_f32_e32 v25, v48
	v_exp_f32_e32 v24, v24
	v_cmp_ngt_f32_e64 s[2:3], s39, v17
	v_cmp_nlt_f32_e64 s[4:5], s40, v17
	v_ldexp_f32 v16, v16, v25
	v_cvt_i32_f32_e32 v25, v49
	v_cmp_ngt_f32_e32 vcc, s39, v50
	v_cmp_nlt_f32_e64 s[0:1], s40, v50
	v_med3_f32 v47, v47, s41, v55
	v_ldexp_f32 v24, v24, v25
	v_mul_f32_e32 v25, 0xbfd9db23, v14
	v_mul_f32_e32 v48, 0x3fb8aa3b, v25
	v_fma_f32 v49, v25, s38, -v48
	v_rndne_f32_e32 v51, v48
	v_fmac_f32_e32 v49, 0x32a5705f, v25
	v_sub_f32_e32 v48, v48, v51
	v_add_f32_e32 v48, v48, v49
	v_cndmask_b32_e64 v17, 0, v24, s[2:3]
	v_exp_f32_e32 v24, v48
	v_cvt_i32_f32_e32 v48, v51
	v_cndmask_b32_e32 v16, 0, v16, vcc
	v_cndmask_b32_e64 v16, v54, v16, s[0:1]
	v_cmp_ngt_f32_e32 vcc, s39, v25
	v_ldexp_f32 v24, v24, v48
	v_mul_f32_e32 v48, 0xbfd9db23, v15
	v_mul_f32_e32 v49, 0x3fb8aa3b, v48
	v_fma_f32 v50, v48, s38, -v49
	v_rndne_f32_e32 v51, v49
	v_fmac_f32_e32 v50, 0x32a5705f, v48
	v_sub_f32_e32 v49, v49, v51
	v_add_f32_e32 v49, v49, v50
	v_cmp_nlt_f32_e64 s[0:1], s40, v25
	v_exp_f32_e32 v25, v49
	v_cvt_i32_f32_e32 v49, v51
	v_mul_f32_e32 v50, 0xbfd9db23, v12
	v_cndmask_b32_e32 v24, 0, v24, vcc
	v_mul_f32_e32 v22, 0x3fb8aa3b, v50
	v_ldexp_f32 v25, v25, v49
	v_cndmask_b32_e64 v24, v54, v24, s[0:1]
	v_cmp_ngt_f32_e32 vcc, s39, v48
	v_cmp_nlt_f32_e64 s[0:1], s40, v48
	v_fma_f32 v23, v50, s38, -v22
	v_rndne_f32_e32 v51, v22
	v_pk_mul_f32 v[48:49], v[18:19], v[30:31]
	v_mul_f32_e32 v18, 0xbfd9db23, v13
	v_fmac_f32_e32 v23, 0x32a5705f, v50
	v_sub_f32_e32 v22, v22, v51
	v_mul_f32_e32 v19, 0x3fb8aa3b, v18
	v_add_f32_e32 v22, v22, v23
	v_fma_f32 v23, v18, s38, -v19
	v_rndne_f32_e32 v30, v19
	v_fmac_f32_e32 v23, 0x32a5705f, v18
	v_sub_f32_e32 v19, v19, v30
	v_add_f32_e32 v19, v19, v23
	v_exp_f32_e32 v22, v22
	v_cvt_i32_f32_e32 v23, v51
	v_exp_f32_e32 v19, v19
	v_cndmask_b32_e32 v25, 0, v25, vcc
	v_cmp_ngt_f32_e32 vcc, s39, v50
	v_ldexp_f32 v22, v22, v23
	v_cvt_i32_f32_e32 v23, v30
	v_cndmask_b32_e64 v17, v54, v17, s[4:5]
	v_cmp_ngt_f32_e64 s[2:3], s39, v18
	v_cmp_nlt_f32_e64 s[4:5], s40, v18
	v_ldexp_f32 v19, v19, v23
	v_mul_f32_e32 v23, 0xbfd9db23, v10
	v_mul_f32_e32 v30, 0x3fb8aa3b, v23
	v_fma_f32 v31, v23, s38, -v30
	v_rndne_f32_e32 v51, v30
	v_fmac_f32_e32 v31, 0x32a5705f, v23
	v_sub_f32_e32 v30, v30, v51
	v_add_f32_e32 v30, v30, v31
	v_cndmask_b32_e32 v18, 0, v22, vcc
	v_exp_f32_e32 v22, v30
	v_cvt_i32_f32_e32 v30, v51
	v_cndmask_b32_e64 v25, v54, v25, s[0:1]
	v_cmp_nlt_f32_e64 s[0:1], s40, v50
	v_cmp_ngt_f32_e32 vcc, s39, v23
	v_ldexp_f32 v22, v22, v30
	v_mul_f32_e32 v30, 0xbfd9db23, v11
	v_mul_f32_e32 v31, 0x3fb8aa3b, v30
	v_fma_f32 v50, v30, s38, -v31
	v_rndne_f32_e32 v51, v31
	v_fmac_f32_e32 v50, 0x32a5705f, v30
	v_sub_f32_e32 v31, v31, v51
	v_add_f32_e32 v31, v31, v50
	v_cndmask_b32_e64 v18, v54, v18, s[0:1]
	v_cmp_nlt_f32_e64 s[0:1], s40, v23
	v_exp_f32_e32 v23, v31
	v_cvt_i32_f32_e32 v31, v51
	v_cndmask_b32_e32 v22, 0, v22, vcc
	v_mul_f32_e32 v50, 0xbfd9db23, v6
	v_cndmask_b32_e64 v22, v54, v22, s[0:1]
	v_ldexp_f32 v23, v23, v31
	v_cmp_ngt_f32_e32 vcc, s39, v30
	v_cmp_nlt_f32_e64 s[0:1], s40, v30
	v_pk_mul_f32 v[30:31], v[8:9], v[32:33]
	v_mul_f32_e32 v8, 0x3fb8aa3b, v50
	v_fma_f32 v9, v50, s38, -v8
	v_rndne_f32_e32 v32, v8
	v_fmac_f32_e32 v9, 0x32a5705f, v50
	v_sub_f32_e32 v8, v8, v32
	v_add_f32_e32 v8, v8, v9
	v_exp_f32_e32 v8, v8
	v_cvt_i32_f32_e32 v9, v32
	v_cndmask_b32_e32 v23, 0, v23, vcc
	v_cndmask_b32_e64 v23, v54, v23, s[0:1]
	v_med3_f32 v46, v46, s41, v55
	v_ldexp_f32 v8, v8, v9
	v_mul_f32_e32 v9, 0xbfd9db23, v7
	v_mul_f32_e32 v32, 0x3fb8aa3b, v9
	v_fma_f32 v33, v9, s38, -v32
	v_rndne_f32_e32 v51, v32
	v_fmac_f32_e32 v33, 0x32a5705f, v9
	v_sub_f32_e32 v32, v32, v51
	v_add_f32_e32 v32, v32, v33
	v_exp_f32_e32 v32, v32
	v_cvt_i32_f32_e32 v33, v51
	v_cmp_ngt_f32_e32 vcc, s39, v9
	v_cmp_nlt_f32_e64 s[0:1], s40, v9
	v_pk_add_f32 v[42:43], v[42:43], 1.0 op_sel_hi:[1,0]
	v_ldexp_f32 v32, v32, v33
	v_cndmask_b32_e32 v9, 0, v32, vcc
	v_mul_f32_e32 v32, 0xbfd9db23, v4
	v_cmp_ngt_f32_e32 vcc, s39, v50
	v_mul_f32_e32 v33, 0x3fb8aa3b, v32
	v_rndne_f32_e32 v51, v33
	v_cndmask_b32_e32 v8, 0, v8, vcc
	v_cmp_nlt_f32_e32 vcc, s40, v50
	v_fma_f32 v50, v32, s38, -v33
	v_fmac_f32_e32 v50, 0x32a5705f, v32
	v_sub_f32_e32 v33, v33, v51
	v_add_f32_e32 v33, v33, v50
	v_exp_f32_e32 v33, v33
	v_cvt_i32_f32_e32 v50, v51
	v_cndmask_b32_e32 v8, v54, v8, vcc
	v_cndmask_b32_e64 v9, v54, v9, s[0:1]
	v_cmp_ngt_f32_e32 vcc, s39, v32
	v_ldexp_f32 v50, v33, v50
	v_cmp_nlt_f32_e64 s[0:1], s40, v32
	v_pk_add_f32 v[32:33], v[46:47], 1.0 op_sel_hi:[1,0]
	v_pk_add_f32 v[44:45], v[44:45], 1.0 op_sel_hi:[1,0]
	;; [unrolled: 1-line block ×3, first 2 shown]
	v_pk_mul_f32 v[26:27], v[42:43], v[26:27]
	v_pk_mul_f32 v[42:43], v[32:33], v[30:31]
	buffer_load_dwordx4 v[30:33], v53, s[24:27], 32 offen
	v_pk_mul_f32 v[46:47], v[40:41], v[28:29]
	v_pk_mul_f32 v[40:41], v[44:45], v[48:49]
	v_perm_b32 v29, v43, v42, s42
	v_perm_b32 v28, v41, v40, s42
	buffer_load_dwordx4 v[40:43], v52, s[16:19], 64 offen
	v_perm_b32 v27, v27, v26, s42
	v_perm_b32 v26, v47, v46, s42
	buffer_store_dwordx4 v[26:29], v53, s[8:11], 16 offen
	buffer_load_dwordx4 v[26:29], v52, s[16:19], s35 offen
	v_mul_f32_e32 v51, 0xbfd9db23, v5
	v_add_f32_e32 v36, 1.0, v36
	v_add_f32_e32 v37, 1.0, v37
	v_rcp_f32_e32 v35, v35
	v_rcp_f32_e32 v36, v36
	;; [unrolled: 1-line block ×3, first 2 shown]
	v_add_f32_e32 v16, 1.0, v16
	v_pk_mul_f32 v[34:35], v[2:3], v[34:35]
	v_add_f32_e32 v17, 1.0, v17
	v_pk_mul_f32 v[36:37], v[0:1], v[36:37]
	buffer_load_dwordx4 v[0:3], v52, s[16:19], s37 offen
	v_rcp_f32_e32 v16, v16
	v_rcp_f32_e32 v17, v17
	v_add_f32_e32 v24, 1.0, v24
	v_add_f32_e32 v25, 1.0, v25
	v_rcp_f32_e32 v24, v24
	v_rcp_f32_e32 v25, v25
	v_pk_mul_f32 v[16:17], v[38:39], v[16:17]
	v_cndmask_b32_e32 v38, 0, v50, vcc
	v_cmp_ngt_f32_e32 vcc, s39, v51
	v_cndmask_b32_e64 v19, 0, v19, s[2:3]
	v_cndmask_b32_e64 v38, v54, v38, s[0:1]
	v_cmp_nlt_f32_e64 s[0:1], s40, v51
	v_cndmask_b32_e64 v19, v54, v19, s[4:5]
	v_pk_mul_f32 v[14:15], v[14:15], v[24:25]
	v_add_f32_e32 v18, 1.0, v18
	v_add_f32_e32 v19, 1.0, v19
	;; [unrolled: 1-line block ×7, first 2 shown]
	v_rcp_f32_e32 v18, v18
	v_rcp_f32_e32 v19, v19
	;; [unrolled: 1-line block ×7, first 2 shown]
	v_pk_mul_f32 v[12:13], v[12:13], v[18:19]
	v_pk_mul_f32 v[10:11], v[10:11], v[22:23]
	;; [unrolled: 1-line block ×3, first 2 shown]
	s_waitcnt vmcnt(4)
	v_and_b32_e32 v45, 0xffff0000, v32
	v_lshlrev_b32_e32 v44, 16, v32
	v_and_b32_e32 v47, 0xffff0000, v30
	v_lshlrev_b32_e32 v46, 16, v30
	;; [unrolled: 2-line block ×4, first 2 shown]
	s_waitcnt vmcnt(3)
	v_pk_add_f32 v[30:31], v[42:43], v[32:33]
	v_pk_add_f32 v[32:33], v[40:41], v[46:47]
	v_mul_f32_e32 v40, 0x3fb8aa3b, v51
	v_fma_f32 v41, v51, s38, -v40
	v_rndne_f32_e32 v42, v40
	v_fmac_f32_e32 v41, 0x32a5705f, v51
	v_sub_f32_e32 v40, v40, v42
	v_add_f32_e32 v40, v40, v41
	v_exp_f32_e32 v46, v40
	v_cvt_i32_f32_e32 v47, v42
	s_waitcnt vmcnt(1)
	v_pk_add_f32 v[40:41], v[28:29], v[48:49]
	v_pk_add_f32 v[42:43], v[26:27], v[44:45]
	buffer_load_dwordx4 v[26:29], v53, s[24:27], 48 offen
	v_ldexp_f32 v48, v46, v47
	v_med3_f32 v45, v31, s41, v55
	v_med3_f32 v44, v30, s41, v55
	v_med3_f32 v47, v33, s41, v55
	v_med3_f32 v46, v32, s41, v55
	buffer_load_dwordx4 v[30:33], v52, s[16:19], s36 offen
	v_med3_f32 v41, v41, s41, v55
	v_med3_f32 v40, v40, s41, v55
	;; [unrolled: 1-line block ×4, first 2 shown]
	v_cndmask_b32_e32 v39, 0, v48, vcc
	v_cndmask_b32_e64 v39, v54, v39, s[0:1]
	v_pk_add_f32 v[40:41], v[40:41], 1.0 op_sel_hi:[1,0]
	v_pk_add_f32 v[44:45], v[44:45], 1.0 op_sel_hi:[1,0]
	;; [unrolled: 1-line block ×4, first 2 shown]
	v_add_f32_e32 v39, 1.0, v39
	v_pk_mul_f32 v[24:25], v[44:45], v[36:37]
	v_pk_mul_f32 v[14:15], v[40:41], v[14:15]
	;; [unrolled: 1-line block ×4, first 2 shown]
	v_rcp_f32_e32 v39, v39
	v_perm_b32 v17, v15, v14, s42
	v_perm_b32 v15, v25, v24, s42
	;; [unrolled: 1-line block ×4, first 2 shown]
	buffer_store_dwordx4 v[14:17], v53, s[8:11], 32 offen
	v_pk_mul_f32 v[4:5], v[4:5], v[38:39]
	v_cmp_le_i64_e32 vcc, s[6:7], v[20:21]
	v_add_u32_e32 v52, s33, v52
	s_or_b64 s[30:31], vcc, s[30:31]
	s_waitcnt vmcnt(2)
	v_and_b32_e32 v15, 0xffff0000, v28
	v_lshlrev_b32_e32 v14, 16, v28
	v_and_b32_e32 v17, 0xffff0000, v26
	v_lshlrev_b32_e32 v16, 16, v26
	v_and_b32_e32 v25, 0xffff0000, v29
	v_lshlrev_b32_e32 v24, 16, v29
	v_and_b32_e32 v29, 0xffff0000, v27
	v_lshlrev_b32_e32 v28, 16, v27
	s_waitcnt vmcnt(1)
	v_pk_add_f32 v[26:27], v[32:33], v[28:29]
	v_pk_add_f32 v[2:3], v[2:3], v[24:25]
	;; [unrolled: 1-line block ×4, first 2 shown]
	v_med3_f32 v15, v27, s41, v55
	v_med3_f32 v14, v26, s41, v55
	;; [unrolled: 1-line block ×8, first 2 shown]
	v_pk_add_f32 v[2:3], v[2:3], 1.0 op_sel_hi:[1,0]
	v_pk_add_f32 v[14:15], v[14:15], 1.0 op_sel_hi:[1,0]
	;; [unrolled: 1-line block ×4, first 2 shown]
	v_pk_mul_f32 v[8:9], v[14:15], v[10:11]
	v_pk_mul_f32 v[2:3], v[2:3], v[4:5]
	;; [unrolled: 1-line block ×4, first 2 shown]
	v_perm_b32 v3, v3, v2, s42
	v_perm_b32 v1, v9, v8, s42
	;; [unrolled: 1-line block ×4, first 2 shown]
	buffer_store_dwordx4 v[0:3], v53, s[8:11], 48 offen
	v_add_u32_e32 v53, s34, v53
	s_andn2_b64 exec, exec, s[30:31]
	s_cbranch_execnz .LBB238_8
.LBB238_9:
	s_endpgm
	.section	.rodata,"a",@progbits
	.p2align	6, 0x0
	.amdhsa_kernel _ZN5aiter30swiglu_act_and_mul_bias_kernelItthfLi32EEEvPT0_PKT_PKT1_PKT2_il
		.amdhsa_group_segment_fixed_size 0
		.amdhsa_private_segment_fixed_size 0
		.amdhsa_kernarg_size 304
		.amdhsa_user_sgpr_count 2
		.amdhsa_user_sgpr_dispatch_ptr 0
		.amdhsa_user_sgpr_queue_ptr 0
		.amdhsa_user_sgpr_kernarg_segment_ptr 1
		.amdhsa_user_sgpr_dispatch_id 0
		.amdhsa_user_sgpr_kernarg_preload_length 0
		.amdhsa_user_sgpr_kernarg_preload_offset 0
		.amdhsa_user_sgpr_private_segment_size 0
		.amdhsa_uses_dynamic_stack 0
		.amdhsa_enable_private_segment 0
		.amdhsa_system_sgpr_workgroup_id_x 1
		.amdhsa_system_sgpr_workgroup_id_y 0
		.amdhsa_system_sgpr_workgroup_id_z 0
		.amdhsa_system_sgpr_workgroup_info 0
		.amdhsa_system_vgpr_workitem_id 0
		.amdhsa_next_free_vgpr 60
		.amdhsa_next_free_sgpr 43
		.amdhsa_accum_offset 60
		.amdhsa_reserve_vcc 1
		.amdhsa_float_round_mode_32 0
		.amdhsa_float_round_mode_16_64 0
		.amdhsa_float_denorm_mode_32 3
		.amdhsa_float_denorm_mode_16_64 3
		.amdhsa_dx10_clamp 1
		.amdhsa_ieee_mode 1
		.amdhsa_fp16_overflow 0
		.amdhsa_tg_split 0
		.amdhsa_exception_fp_ieee_invalid_op 0
		.amdhsa_exception_fp_denorm_src 0
		.amdhsa_exception_fp_ieee_div_zero 0
		.amdhsa_exception_fp_ieee_overflow 0
		.amdhsa_exception_fp_ieee_underflow 0
		.amdhsa_exception_fp_ieee_inexact 0
		.amdhsa_exception_int_div_zero 0
	.end_amdhsa_kernel
	.section	.text._ZN5aiter30swiglu_act_and_mul_bias_kernelItthfLi32EEEvPT0_PKT_PKT1_PKT2_il,"axG",@progbits,_ZN5aiter30swiglu_act_and_mul_bias_kernelItthfLi32EEEvPT0_PKT_PKT1_PKT2_il,comdat
.Lfunc_end238:
	.size	_ZN5aiter30swiglu_act_and_mul_bias_kernelItthfLi32EEEvPT0_PKT_PKT1_PKT2_il, .Lfunc_end238-_ZN5aiter30swiglu_act_and_mul_bias_kernelItthfLi32EEEvPT0_PKT_PKT1_PKT2_il
                                        ; -- End function
	.section	.AMDGPU.csdata,"",@progbits
; Kernel info:
; codeLenInByte = 5480
; NumSgprs: 49
; NumVgprs: 60
; NumAgprs: 0
; TotalNumVgprs: 60
; ScratchSize: 0
; MemoryBound: 0
; FloatMode: 240
; IeeeMode: 1
; LDSByteSize: 0 bytes/workgroup (compile time only)
; SGPRBlocks: 6
; VGPRBlocks: 7
; NumSGPRsForWavesPerEU: 49
; NumVGPRsForWavesPerEU: 60
; AccumOffset: 60
; Occupancy: 8
; WaveLimiterHint : 0
; COMPUTE_PGM_RSRC2:SCRATCH_EN: 0
; COMPUTE_PGM_RSRC2:USER_SGPR: 2
; COMPUTE_PGM_RSRC2:TRAP_HANDLER: 0
; COMPUTE_PGM_RSRC2:TGID_X_EN: 1
; COMPUTE_PGM_RSRC2:TGID_Y_EN: 0
; COMPUTE_PGM_RSRC2:TGID_Z_EN: 0
; COMPUTE_PGM_RSRC2:TIDIG_COMP_CNT: 0
; COMPUTE_PGM_RSRC3_GFX90A:ACCUM_OFFSET: 14
; COMPUTE_PGM_RSRC3_GFX90A:TG_SPLIT: 0
	.section	.text._ZN5aiter30swiglu_act_and_mul_bias_kernelItthfLi16EEEvPT0_PKT_PKT1_PKT2_il,"axG",@progbits,_ZN5aiter30swiglu_act_and_mul_bias_kernelItthfLi16EEEvPT0_PKT_PKT1_PKT2_il,comdat
	.protected	_ZN5aiter30swiglu_act_and_mul_bias_kernelItthfLi16EEEvPT0_PKT_PKT1_PKT2_il ; -- Begin function _ZN5aiter30swiglu_act_and_mul_bias_kernelItthfLi16EEEvPT0_PKT_PKT1_PKT2_il
	.globl	_ZN5aiter30swiglu_act_and_mul_bias_kernelItthfLi16EEEvPT0_PKT_PKT1_PKT2_il
	.p2align	8
	.type	_ZN5aiter30swiglu_act_and_mul_bias_kernelItthfLi16EEEvPT0_PKT_PKT1_PKT2_il,@function
_ZN5aiter30swiglu_act_and_mul_bias_kernelItthfLi16EEEvPT0_PKT_PKT1_PKT2_il: ; @_ZN5aiter30swiglu_act_and_mul_bias_kernelItthfLi16EEEvPT0_PKT_PKT1_PKT2_il
; %bb.0:
	s_load_dwordx2 s[4:5], s[0:1], 0x10
	s_load_dword s20, s[0:1], 0x20
	s_load_dwordx2 s[6:7], s[0:1], 0x28
	v_mov_b32_e32 v1, s2
	s_mov_b32 s9, 0
	s_waitcnt lgkmcnt(0)
	global_load_ubyte v1, v1, s[4:5]
	s_add_i32 s3, s20, 1
	s_load_dwordx2 s[4:5], s[0:1], 0x0
	v_mov_b64_e32 v[2:3], s[6:7]
	s_lshr_b32 s6, s3, 31
	s_ashr_i32 s21, s20, 31
	s_add_i32 s3, s3, s6
	s_mul_hi_u32 s8, s20, s2
	s_mul_i32 s7, s21, s2
	s_lshl_b32 s3, s3, 1
	s_mul_i32 s12, s20, s2
	s_add_i32 s13, s8, s7
	s_and_b32 s6, s3, -4
	s_lshl_b64 s[12:13], s[12:13], 1
	s_mov_b64 s[10:11], -1
	v_lshlrev_b32_e32 v32, 4, v0
	s_waitcnt vmcnt(0)
	v_readfirstlane_b32 s3, v1
	s_and_b32 s8, s3, 0xffff
	s_waitcnt lgkmcnt(0)
	s_add_u32 s4, s4, s12
	v_cmp_lt_i64_e32 vcc, s[8:9], v[2:3]
	s_addc_u32 s3, s5, s13
	s_and_b32 s5, s3, 0xffff
	s_cbranch_vccnz .LBB239_5
; %bb.1:
	v_cmp_gt_i32_e32 vcc, s20, v32
	s_and_saveexec_b64 s[10:11], vcc
	s_cbranch_execz .LBB239_4
; %bb.2:
	s_load_dword s3, s[0:1], 0x3c
	s_mov_b32 s13, 0
	s_mov_b32 s16, s13
	;; [unrolled: 1-line block ×3, first 2 shown]
	v_mov_b32_e32 v33, 0
	s_waitcnt lgkmcnt(0)
	s_and_b32 s3, s3, 0xffff
	s_mov_b32 s18, s13
	s_mov_b32 s19, s13
	v_mov_b64_e32 v[2:3], s[16:17]
	v_lshlrev_b32_e32 v1, 5, v0
	s_lshl_b32 s12, s3, 4
	s_lshl_b32 s3, s3, 5
	s_mov_b64 s[14:15], 0
	s_mov_b32 s7, 0x20000
	v_mov_b64_e32 v[4:5], s[18:19]
	v_mov_b64_e32 v[6:7], v[32:33]
.LBB239_3:                              ; =>This Inner Loop Header: Depth=1
	v_lshl_add_u64 v[6:7], s[12:13], 0, v[6:7]
	v_cmp_le_i64_e32 vcc, s[20:21], v[6:7]
	buffer_store_dwordx4 v[2:5], v1, s[4:7], 0 offen
	buffer_store_dwordx4 v[2:5], v1, s[4:7], 16 offen
	s_or_b64 s[14:15], vcc, s[14:15]
	v_add_u32_e32 v1, s3, v1
	s_andn2_b64 exec, exec, s[14:15]
	s_cbranch_execnz .LBB239_3
.LBB239_4:
	s_or_b64 exec, exec, s[10:11]
	s_mov_b64 s[10:11], 0
.LBB239_5:
	s_andn2_b64 vcc, exec, s[10:11]
	s_cbranch_vccnz .LBB239_9
; %bb.6:
	v_cmp_gt_i32_e32 vcc, s20, v32
	s_and_saveexec_b64 s[10:11], vcc
	s_cbranch_execz .LBB239_9
; %bb.7:
	s_load_dwordx2 s[12:13], s[0:1], 0x8
	s_load_dwordx2 s[10:11], s[0:1], 0x18
	s_mul_hi_i32 s9, s20, s8
	s_mul_i32 s8, s20, s8
	s_lshl_b64 s[8:9], s[8:9], 3
	s_load_dword s14, s[0:1], 0x3c
	s_waitcnt lgkmcnt(0)
	s_add_u32 s8, s10, s8
	s_addc_u32 s3, s11, s9
	s_lshl_b64 s[0:1], s[20:21], 2
	s_add_u32 s0, s8, s0
	s_addc_u32 s1, s3, s1
	s_and_b32 s9, s3, 0xffff
	s_mul_i32 s3, s2, s21
	s_mul_hi_u32 s15, s2, s20
	s_add_i32 s3, s15, s3
	s_mul_i32 s2, s2, s20
	s_lshl_b32 s10, s20, 2
	s_and_b32 s1, s1, 0xffff
	s_lshl_b64 s[2:3], s[2:3], 2
	s_add_u32 s12, s12, s2
	s_addc_u32 s13, s13, s3
	s_lshl_b64 s[2:3], s[20:21], 1
	s_add_u32 s16, s12, s2
	s_addc_u32 s2, s13, s3
	s_mov_b32 s7, 0x20000
	s_and_b32 s17, s2, 0xffff
	s_and_b32 s2, s14, 0xffff
	s_mov_b32 s11, s7
	s_and_b32 s13, s13, 0xffff
	s_mov_b32 s23, 0
	v_mov_b32_e32 v33, 0
	s_lshl_b32 s22, s2, 4
	v_lshlrev_b32_e32 v40, 6, v0
	s_lshl_b32 s26, s2, 6
	v_lshlrev_b32_e32 v41, 5, v0
	s_lshl_b32 s27, s2, 5
	s_mov_b64 s[24:25], 0
	s_mov_b32 s19, s7
	s_mov_b32 s18, s6
	;; [unrolled: 1-line block ×5, first 2 shown]
	v_mov_b32_e32 v42, 0x7f800000
	s_mov_b32 s31, 0xc0e00000
	v_mov_b32_e32 v43, 0x40e00000
	s_mov_b32 s33, 0x7060302
	s_mov_b32 s14, s6
	;; [unrolled: 1-line block ×3, first 2 shown]
.LBB239_8:                              ; =>This Inner Loop Header: Depth=1
	buffer_load_dwordx4 v[20:23], v41, s[12:15], 0 offen
	buffer_load_dwordx4 v[28:31], v40, s[8:11], 0 offen
	;; [unrolled: 1-line block ×8, first 2 shown]
	s_mov_b32 s2, s10
	s_mov_b32 s3, s11
	v_lshl_add_u64 v[32:33], s[22:23], 0, v[32:33]
	s_waitcnt vmcnt(7)
	v_and_b32_e32 v35, 0xffff0000, v20
	v_lshlrev_b32_e32 v34, 16, v20
	v_and_b32_e32 v37, 0xffff0000, v21
	v_lshlrev_b32_e32 v36, 16, v21
	;; [unrolled: 2-line block ×3, first 2 shown]
	s_waitcnt vmcnt(6)
	v_pk_add_f32 v[28:29], v[28:29], v[34:35]
	v_pk_add_f32 v[30:31], v[30:31], v[36:37]
	s_waitcnt vmcnt(5)
	v_pk_add_f32 v[36:37], v[24:25], v[20:21]
	v_min_f32_e32 v20, 0x40e00000, v28
	v_min_f32_e32 v21, 0x40e00000, v29
	v_mul_f32_e32 v22, 0xbfd9db23, v20
	v_min_f32_e32 v24, 0x40e00000, v30
	v_mul_f32_e32 v29, 0xbfd9db23, v21
	v_mul_f32_e32 v34, 0x3fb8aa3b, v22
	v_min_f32_e32 v25, 0x40e00000, v31
	v_mul_f32_e32 v30, 0xbfd9db23, v24
	v_mul_f32_e32 v35, 0x3fb8aa3b, v29
	v_fma_f32 v45, v22, s28, -v34
	v_rndne_f32_e32 v46, v34
	v_mul_f32_e32 v31, 0xbfd9db23, v25
	v_mul_f32_e32 v38, 0x3fb8aa3b, v30
	v_fma_f32 v47, v29, s28, -v35
	v_rndne_f32_e32 v48, v35
	v_fmac_f32_e32 v45, 0x32a5705f, v22
	v_sub_f32_e32 v34, v34, v46
	v_mul_f32_e32 v39, 0x3fb8aa3b, v31
	v_fma_f32 v49, v30, s28, -v38
	v_rndne_f32_e32 v50, v38
	v_add_f32_e32 v34, v34, v45
	v_fmac_f32_e32 v47, 0x32a5705f, v29
	v_sub_f32_e32 v35, v35, v48
	v_fma_f32 v51, v31, s28, -v39
	v_rndne_f32_e32 v52, v39
	v_add_f32_e32 v35, v35, v47
	v_cvt_i32_f32_e32 v46, v46
	v_fmac_f32_e32 v49, 0x32a5705f, v30
	v_sub_f32_e32 v38, v38, v50
	v_exp_f32_e32 v34, v34
	v_cvt_i32_f32_e32 v48, v48
	v_fmac_f32_e32 v51, 0x32a5705f, v31
	v_sub_f32_e32 v39, v39, v52
	v_add_f32_e32 v38, v38, v49
	v_exp_f32_e32 v35, v35
	v_cvt_i32_f32_e32 v50, v50
	v_add_f32_e32 v39, v39, v51
	v_exp_f32_e32 v38, v38
	v_cvt_i32_f32_e32 v52, v52
	v_exp_f32_e32 v39, v39
	v_ldexp_f32 v34, v34, v46
	v_cmp_ngt_f32_e32 vcc, s29, v22
	v_ldexp_f32 v35, v35, v48
	v_min_f32_e32 v28, 0x40e00000, v36
	v_cndmask_b32_e32 v34, 0, v34, vcc
	v_cmp_ngt_f32_e32 vcc, s29, v29
	v_ldexp_f32 v38, v38, v50
	v_mul_f32_e32 v36, 0xbfd9db23, v28
	v_cndmask_b32_e32 v35, 0, v35, vcc
	v_cmp_ngt_f32_e32 vcc, s29, v30
	v_ldexp_f32 v39, v39, v52
	v_mul_f32_e32 v44, 0x3fb8aa3b, v36
	v_cndmask_b32_e32 v38, 0, v38, vcc
	v_cmp_ngt_f32_e32 vcc, s29, v31
	v_fma_f32 v45, v36, s28, -v44
	v_rndne_f32_e32 v47, v44
	v_cndmask_b32_e32 v39, 0, v39, vcc
	v_cmp_nlt_f32_e32 vcc, s30, v22
	v_fmac_f32_e32 v45, 0x32a5705f, v36
	v_sub_f32_e32 v44, v44, v47
	v_cndmask_b32_e32 v22, v42, v34, vcc
	v_cmp_nlt_f32_e32 vcc, s30, v29
	v_add_f32_e32 v44, v44, v45
	v_cvt_i32_f32_e32 v47, v47
	v_cndmask_b32_e32 v29, v42, v35, vcc
	v_cmp_nlt_f32_e32 vcc, s30, v30
	v_exp_f32_e32 v44, v44
	v_add_f32_e32 v29, 1.0, v29
	v_cndmask_b32_e32 v30, v42, v38, vcc
	v_cmp_nlt_f32_e32 vcc, s30, v31
	v_add_f32_e32 v22, 1.0, v22
	v_add_f32_e32 v34, 1.0, v30
	v_cndmask_b32_e32 v31, v42, v39, vcc
	v_add_f32_e32 v35, 1.0, v31
	v_rcp_f32_e32 v31, v29
	v_min_f32_e32 v29, 0x40e00000, v37
	v_mul_f32_e32 v37, 0xbfd9db23, v29
	v_mul_f32_e32 v38, 0x3fb8aa3b, v37
	v_rcp_f32_e32 v30, v22
	v_ldexp_f32 v22, v44, v47
	v_fma_f32 v39, v37, s28, -v38
	v_rndne_f32_e32 v44, v38
	v_fmac_f32_e32 v39, 0x32a5705f, v37
	v_sub_f32_e32 v38, v38, v44
	v_add_f32_e32 v38, v38, v39
	v_exp_f32_e32 v38, v38
	v_cvt_i32_f32_e32 v39, v44
	v_cmp_ngt_f32_e32 vcc, s29, v36
	s_waitcnt vmcnt(3)
	v_and_b32_e32 v49, 0xffff0000, v6
	v_and_b32_e32 v51, 0xffff0000, v4
	v_cndmask_b32_e32 v22, 0, v22, vcc
	v_cmp_nlt_f32_e32 vcc, s30, v36
	v_ldexp_f32 v36, v38, v39
	v_lshlrev_b32_e32 v50, 16, v4
	v_cndmask_b32_e32 v22, v42, v22, vcc
	v_cmp_ngt_f32_e32 vcc, s29, v37
	v_and_b32_e32 v53, 0xffff0000, v7
	v_lshlrev_b32_e32 v52, 16, v7
	v_cndmask_b32_e32 v36, 0, v36, vcc
	v_cmp_nlt_f32_e32 vcc, s30, v37
	v_and_b32_e32 v37, 0xffff0000, v23
	v_and_b32_e32 v55, 0xffff0000, v5
	v_cndmask_b32_e32 v38, v42, v36, vcc
	v_lshlrev_b32_e32 v36, 16, v23
	v_pk_add_f32 v[26:27], v[26:27], v[36:37]
	v_lshlrev_b32_e32 v54, 16, v5
	v_min_f32_e32 v26, 0x40e00000, v26
	v_mul_f32_e32 v36, 0xbfd9db23, v26
	v_mul_f32_e32 v23, 0x3fb8aa3b, v36
	v_fma_f32 v37, v36, s28, -v23
	v_rndne_f32_e32 v39, v23
	v_fmac_f32_e32 v37, 0x32a5705f, v36
	v_sub_f32_e32 v23, v23, v39
	v_add_f32_e32 v23, v23, v37
	v_exp_f32_e32 v37, v23
	v_cvt_i32_f32_e32 v39, v39
	v_min_f32_e32 v27, 0x40e00000, v27
	v_add_f32_e32 v23, 1.0, v38
	v_mul_f32_e32 v38, 0xbfd9db23, v27
	v_ldexp_f32 v37, v37, v39
	v_mul_f32_e32 v39, 0x3fb8aa3b, v38
	v_fma_f32 v44, v38, s28, -v39
	v_rndne_f32_e32 v45, v39
	v_fmac_f32_e32 v44, 0x32a5705f, v38
	v_sub_f32_e32 v39, v39, v45
	v_add_f32_e32 v39, v39, v44
	v_exp_f32_e32 v39, v39
	v_cvt_i32_f32_e32 v44, v45
	v_cmp_ngt_f32_e32 vcc, s29, v36
	v_add_f32_e32 v22, 1.0, v22
	v_rcp_f32_e32 v34, v34
	v_cndmask_b32_e32 v37, 0, v37, vcc
	v_cmp_nlt_f32_e32 vcc, s30, v36
	v_rcp_f32_e32 v35, v35
	v_rcp_f32_e32 v22, v22
	v_cndmask_b32_e32 v36, v42, v37, vcc
	v_ldexp_f32 v37, v39, v44
	v_cmp_ngt_f32_e32 vcc, s29, v38
	v_and_b32_e32 v39, 0xffff0000, v8
	v_add_f32_e32 v36, 1.0, v36
	v_cndmask_b32_e32 v37, 0, v37, vcc
	v_cmp_nlt_f32_e32 vcc, s30, v38
	v_lshlrev_b32_e32 v38, 16, v8
	s_waitcnt vmcnt(1)
	v_pk_add_f32 v[16:17], v[16:17], v[38:39]
	v_cndmask_b32_e32 v37, v42, v37, vcc
	v_min_f32_e32 v16, 0x40e00000, v16
	v_mul_f32_e32 v8, 0xbfd9db23, v16
	v_mul_f32_e32 v38, 0x3fb8aa3b, v8
	v_fma_f32 v39, v8, s28, -v38
	v_rndne_f32_e32 v44, v38
	v_fmac_f32_e32 v39, 0x32a5705f, v8
	v_sub_f32_e32 v38, v38, v44
	v_add_f32_e32 v38, v38, v39
	v_exp_f32_e32 v38, v38
	v_cvt_i32_f32_e32 v39, v44
	v_min_f32_e32 v17, 0x40e00000, v17
	v_cmp_ngt_f32_e32 vcc, s29, v8
	v_add_f32_e32 v37, 1.0, v37
	v_ldexp_f32 v38, v38, v39
	v_mul_f32_e32 v39, 0xbfd9db23, v17
	v_mul_f32_e32 v44, 0x3fb8aa3b, v39
	v_fma_f32 v45, v39, s28, -v44
	v_rndne_f32_e32 v46, v44
	v_fmac_f32_e32 v45, 0x32a5705f, v39
	v_sub_f32_e32 v44, v44, v46
	v_add_f32_e32 v44, v44, v45
	v_exp_f32_e32 v44, v44
	v_cvt_i32_f32_e32 v45, v46
	v_cndmask_b32_e32 v38, 0, v38, vcc
	v_cmp_nlt_f32_e32 vcc, s30, v8
	v_rcp_f32_e32 v23, v23
	v_rcp_f32_e32 v36, v36
	v_cndmask_b32_e32 v8, v42, v38, vcc
	v_ldexp_f32 v38, v44, v45
	v_cmp_ngt_f32_e32 vcc, s29, v39
	v_rcp_f32_e32 v37, v37
	v_pk_mul_f32 v[20:21], v[20:21], v[30:31]
	v_cndmask_b32_e32 v38, 0, v38, vcc
	v_cmp_nlt_f32_e32 vcc, s30, v39
	v_and_b32_e32 v39, 0xffff0000, v9
	v_pk_mul_f32 v[24:25], v[24:25], v[34:35]
	v_cndmask_b32_e32 v44, v42, v38, vcc
	v_lshlrev_b32_e32 v38, 16, v9
	v_pk_add_f32 v[18:19], v[18:19], v[38:39]
	v_pk_mul_f32 v[22:23], v[28:29], v[22:23]
	v_min_f32_e32 v18, 0x40e00000, v18
	v_mul_f32_e32 v38, 0xbfd9db23, v18
	v_mul_f32_e32 v9, 0x3fb8aa3b, v38
	v_fma_f32 v39, v38, s28, -v9
	v_rndne_f32_e32 v45, v9
	v_fmac_f32_e32 v39, 0x32a5705f, v38
	v_sub_f32_e32 v9, v9, v45
	v_add_f32_e32 v9, v9, v39
	v_exp_f32_e32 v39, v9
	v_cvt_i32_f32_e32 v45, v45
	v_min_f32_e32 v19, 0x40e00000, v19
	v_add_f32_e32 v9, 1.0, v44
	v_mul_f32_e32 v44, 0xbfd9db23, v19
	v_ldexp_f32 v39, v39, v45
	v_mul_f32_e32 v45, 0x3fb8aa3b, v44
	v_fma_f32 v46, v44, s28, -v45
	v_rndne_f32_e32 v47, v45
	v_fmac_f32_e32 v46, 0x32a5705f, v44
	v_sub_f32_e32 v45, v45, v47
	v_add_f32_e32 v45, v45, v46
	v_exp_f32_e32 v45, v45
	v_cvt_i32_f32_e32 v46, v47
	v_cmp_ngt_f32_e32 vcc, s29, v38
	v_pk_mul_f32 v[26:27], v[26:27], v[36:37]
	v_add_f32_e32 v8, 1.0, v8
	v_cndmask_b32_e32 v39, 0, v39, vcc
	v_cmp_nlt_f32_e32 vcc, s30, v38
	v_rcp_f32_e32 v8, v8
	v_rcp_f32_e32 v9, v9
	v_cndmask_b32_e32 v38, v42, v39, vcc
	v_ldexp_f32 v39, v45, v46
	v_cmp_ngt_f32_e32 vcc, s29, v44
	v_and_b32_e32 v45, 0xffff0000, v10
	v_add_f32_e32 v38, 1.0, v38
	v_cndmask_b32_e32 v39, 0, v39, vcc
	v_cmp_nlt_f32_e32 vcc, s30, v44
	v_lshlrev_b32_e32 v44, 16, v10
	s_waitcnt vmcnt(0)
	v_pk_add_f32 v[12:13], v[12:13], v[44:45]
	v_cndmask_b32_e32 v39, v42, v39, vcc
	v_min_f32_e32 v12, 0x40e00000, v12
	v_mul_f32_e32 v10, 0xbfd9db23, v12
	v_mul_f32_e32 v44, 0x3fb8aa3b, v10
	v_fma_f32 v45, v10, s28, -v44
	v_rndne_f32_e32 v46, v44
	v_fmac_f32_e32 v45, 0x32a5705f, v10
	v_sub_f32_e32 v44, v44, v46
	v_add_f32_e32 v44, v44, v45
	v_exp_f32_e32 v44, v44
	v_cvt_i32_f32_e32 v45, v46
	v_min_f32_e32 v13, 0x40e00000, v13
	v_cmp_ngt_f32_e32 vcc, s29, v10
	v_add_f32_e32 v39, 1.0, v39
	v_ldexp_f32 v44, v44, v45
	v_mul_f32_e32 v45, 0xbfd9db23, v13
	v_mul_f32_e32 v46, 0x3fb8aa3b, v45
	v_fma_f32 v47, v45, s28, -v46
	v_rndne_f32_e32 v48, v46
	v_fmac_f32_e32 v47, 0x32a5705f, v45
	v_sub_f32_e32 v46, v46, v48
	v_add_f32_e32 v46, v46, v47
	v_exp_f32_e32 v46, v46
	v_cvt_i32_f32_e32 v47, v48
	v_cndmask_b32_e32 v44, 0, v44, vcc
	v_cmp_nlt_f32_e32 vcc, s30, v10
	v_lshlrev_b32_e32 v48, 16, v6
	v_rcp_f32_e32 v38, v38
	v_cndmask_b32_e32 v10, v42, v44, vcc
	v_ldexp_f32 v44, v46, v47
	v_cmp_ngt_f32_e32 vcc, s29, v45
	v_add_f32_e32 v10, 1.0, v10
	v_rcp_f32_e32 v39, v39
	v_cndmask_b32_e32 v44, 0, v44, vcc
	v_cmp_nlt_f32_e32 vcc, s30, v45
	v_and_b32_e32 v45, 0xffff0000, v11
	v_rcp_f32_e32 v10, v10
	v_cndmask_b32_e32 v46, v42, v44, vcc
	v_lshlrev_b32_e32 v44, 16, v11
	v_pk_add_f32 v[14:15], v[14:15], v[44:45]
	v_pk_mul_f32 v[8:9], v[16:17], v[8:9]
	v_min_f32_e32 v14, 0x40e00000, v14
	v_mul_f32_e32 v44, 0xbfd9db23, v14
	v_mul_f32_e32 v11, 0x3fb8aa3b, v44
	v_fma_f32 v45, v44, s28, -v11
	v_rndne_f32_e32 v47, v11
	v_fmac_f32_e32 v45, 0x32a5705f, v44
	v_sub_f32_e32 v11, v11, v47
	v_add_f32_e32 v11, v11, v45
	v_exp_f32_e32 v45, v11
	v_cvt_i32_f32_e32 v47, v47
	v_min_f32_e32 v15, 0x40e00000, v15
	v_cmp_ngt_f32_e32 vcc, s29, v44
	v_mul_f32_e32 v57, 0xbfd9db23, v15
	v_ldexp_f32 v45, v45, v47
	v_cndmask_b32_e32 v56, 0, v45, vcc
	v_cmp_nlt_f32_e32 vcc, s30, v44
	v_mul_f32_e32 v44, 0x3fb8aa3b, v57
	v_fma_f32 v45, v57, s28, -v44
	v_rndne_f32_e32 v58, v44
	v_fmac_f32_e32 v45, 0x32a5705f, v57
	v_sub_f32_e32 v44, v44, v58
	v_add_f32_e32 v11, 1.0, v46
	v_add_f32_e32 v59, v44, v45
	buffer_load_dwordx4 v[4:7], v40, s[0:3], 0 offen
	buffer_load_dwordx4 v[44:47], v40, s[0:3], 16 offen
	v_exp_f32_e32 v59, v59
	v_cvt_i32_f32_e32 v58, v58
	v_cndmask_b32_e32 v56, v42, v56, vcc
	v_cmp_ngt_f32_e32 vcc, s29, v57
	v_add_f32_e32 v56, 1.0, v56
	v_ldexp_f32 v58, v59, v58
	v_cndmask_b32_e32 v58, 0, v58, vcc
	v_cmp_nlt_f32_e32 vcc, s30, v57
	v_rcp_f32_e32 v11, v11
	v_rcp_f32_e32 v56, v56
	v_cndmask_b32_e32 v57, v42, v58, vcc
	v_add_f32_e32 v57, 1.0, v57
	v_rcp_f32_e32 v57, v57
	v_pk_mul_f32 v[16:17], v[18:19], v[38:39]
	v_pk_mul_f32 v[10:11], v[12:13], v[10:11]
	v_cmp_le_i64_e32 vcc, s[20:21], v[32:33]
	v_pk_mul_f32 v[12:13], v[14:15], v[56:57]
	s_or_b64 s[24:25], vcc, s[24:25]
	s_waitcnt vmcnt(1)
	v_pk_add_f32 v[54:55], v[6:7], v[54:55]
	s_waitcnt vmcnt(0)
	v_pk_add_f32 v[52:53], v[46:47], v[52:53]
	v_pk_add_f32 v[50:51], v[4:5], v[50:51]
	;; [unrolled: 1-line block ×3, first 2 shown]
	buffer_load_dwordx4 v[4:7], v40, s[0:3], 32 offen
	buffer_load_dwordx4 v[44:47], v40, s[0:3], 48 offen
	v_med3_f32 v55, v55, s31, v43
	v_med3_f32 v54, v54, s31, v43
	;; [unrolled: 1-line block ×8, first 2 shown]
	v_pk_add_f32 v[52:53], v[52:53], 1.0 op_sel_hi:[1,0]
	v_pk_add_f32 v[54:55], v[54:55], 1.0 op_sel_hi:[1,0]
	;; [unrolled: 1-line block ×4, first 2 shown]
	v_pk_mul_f32 v[24:25], v[54:55], v[24:25]
	v_pk_mul_f32 v[26:27], v[52:53], v[26:27]
	;; [unrolled: 1-line block ×4, first 2 shown]
	v_perm_b32 v23, v27, v26, s33
	v_perm_b32 v21, v25, v24, s33
	;; [unrolled: 1-line block ×4, first 2 shown]
	buffer_store_dwordx4 v[20:23], v41, s[4:7], 0 offen
	v_and_b32_e32 v25, 0xffff0000, v3
	v_lshlrev_b32_e32 v24, 16, v3
	v_and_b32_e32 v21, 0xffff0000, v2
	v_lshlrev_b32_e32 v20, 16, v2
	v_and_b32_e32 v23, 0xffff0000, v0
	v_lshlrev_b32_e32 v22, 16, v0
	v_and_b32_e32 v3, 0xffff0000, v1
	v_lshlrev_b32_e32 v2, 16, v1
	v_add_u32_e32 v40, s26, v40
	s_waitcnt vmcnt(2)
	v_pk_add_f32 v[0:1], v[6:7], v[2:3]
	s_waitcnt vmcnt(1)
	v_pk_add_f32 v[2:3], v[46:47], v[24:25]
	v_pk_add_f32 v[4:5], v[4:5], v[22:23]
	;; [unrolled: 1-line block ×3, first 2 shown]
	v_med3_f32 v1, v1, s31, v43
	v_med3_f32 v0, v0, s31, v43
	;; [unrolled: 1-line block ×8, first 2 shown]
	v_pk_add_f32 v[2:3], v[2:3], 1.0 op_sel_hi:[1,0]
	v_pk_add_f32 v[0:1], v[0:1], 1.0 op_sel_hi:[1,0]
	;; [unrolled: 1-line block ×4, first 2 shown]
	v_pk_mul_f32 v[0:1], v[0:1], v[16:17]
	v_pk_mul_f32 v[2:3], v[2:3], v[12:13]
	;; [unrolled: 1-line block ×4, first 2 shown]
	v_perm_b32 v3, v3, v2, s33
	v_perm_b32 v1, v1, v0, s33
	;; [unrolled: 1-line block ×4, first 2 shown]
	buffer_store_dwordx4 v[0:3], v41, s[4:7], 16 offen
	v_add_u32_e32 v41, s27, v41
	s_andn2_b64 exec, exec, s[24:25]
	s_cbranch_execnz .LBB239_8
.LBB239_9:
	s_endpgm
	.section	.rodata,"a",@progbits
	.p2align	6, 0x0
	.amdhsa_kernel _ZN5aiter30swiglu_act_and_mul_bias_kernelItthfLi16EEEvPT0_PKT_PKT1_PKT2_il
		.amdhsa_group_segment_fixed_size 0
		.amdhsa_private_segment_fixed_size 0
		.amdhsa_kernarg_size 304
		.amdhsa_user_sgpr_count 2
		.amdhsa_user_sgpr_dispatch_ptr 0
		.amdhsa_user_sgpr_queue_ptr 0
		.amdhsa_user_sgpr_kernarg_segment_ptr 1
		.amdhsa_user_sgpr_dispatch_id 0
		.amdhsa_user_sgpr_kernarg_preload_length 0
		.amdhsa_user_sgpr_kernarg_preload_offset 0
		.amdhsa_user_sgpr_private_segment_size 0
		.amdhsa_uses_dynamic_stack 0
		.amdhsa_enable_private_segment 0
		.amdhsa_system_sgpr_workgroup_id_x 1
		.amdhsa_system_sgpr_workgroup_id_y 0
		.amdhsa_system_sgpr_workgroup_id_z 0
		.amdhsa_system_sgpr_workgroup_info 0
		.amdhsa_system_vgpr_workitem_id 0
		.amdhsa_next_free_vgpr 60
		.amdhsa_next_free_sgpr 34
		.amdhsa_accum_offset 60
		.amdhsa_reserve_vcc 1
		.amdhsa_float_round_mode_32 0
		.amdhsa_float_round_mode_16_64 0
		.amdhsa_float_denorm_mode_32 3
		.amdhsa_float_denorm_mode_16_64 3
		.amdhsa_dx10_clamp 1
		.amdhsa_ieee_mode 1
		.amdhsa_fp16_overflow 0
		.amdhsa_tg_split 0
		.amdhsa_exception_fp_ieee_invalid_op 0
		.amdhsa_exception_fp_denorm_src 0
		.amdhsa_exception_fp_ieee_div_zero 0
		.amdhsa_exception_fp_ieee_overflow 0
		.amdhsa_exception_fp_ieee_underflow 0
		.amdhsa_exception_fp_ieee_inexact 0
		.amdhsa_exception_int_div_zero 0
	.end_amdhsa_kernel
	.section	.text._ZN5aiter30swiglu_act_and_mul_bias_kernelItthfLi16EEEvPT0_PKT_PKT1_PKT2_il,"axG",@progbits,_ZN5aiter30swiglu_act_and_mul_bias_kernelItthfLi16EEEvPT0_PKT_PKT1_PKT2_il,comdat
.Lfunc_end239:
	.size	_ZN5aiter30swiglu_act_and_mul_bias_kernelItthfLi16EEEvPT0_PKT_PKT1_PKT2_il, .Lfunc_end239-_ZN5aiter30swiglu_act_and_mul_bias_kernelItthfLi16EEEvPT0_PKT_PKT1_PKT2_il
                                        ; -- End function
	.section	.AMDGPU.csdata,"",@progbits
; Kernel info:
; codeLenInByte = 2948
; NumSgprs: 40
; NumVgprs: 60
; NumAgprs: 0
; TotalNumVgprs: 60
; ScratchSize: 0
; MemoryBound: 0
; FloatMode: 240
; IeeeMode: 1
; LDSByteSize: 0 bytes/workgroup (compile time only)
; SGPRBlocks: 4
; VGPRBlocks: 7
; NumSGPRsForWavesPerEU: 40
; NumVGPRsForWavesPerEU: 60
; AccumOffset: 60
; Occupancy: 8
; WaveLimiterHint : 0
; COMPUTE_PGM_RSRC2:SCRATCH_EN: 0
; COMPUTE_PGM_RSRC2:USER_SGPR: 2
; COMPUTE_PGM_RSRC2:TRAP_HANDLER: 0
; COMPUTE_PGM_RSRC2:TGID_X_EN: 1
; COMPUTE_PGM_RSRC2:TGID_Y_EN: 0
; COMPUTE_PGM_RSRC2:TGID_Z_EN: 0
; COMPUTE_PGM_RSRC2:TIDIG_COMP_CNT: 0
; COMPUTE_PGM_RSRC3_GFX90A:ACCUM_OFFSET: 14
; COMPUTE_PGM_RSRC3_GFX90A:TG_SPLIT: 0
	.section	.text._ZN5aiter30swiglu_act_and_mul_bias_kernelItthfLi8EEEvPT0_PKT_PKT1_PKT2_il,"axG",@progbits,_ZN5aiter30swiglu_act_and_mul_bias_kernelItthfLi8EEEvPT0_PKT_PKT1_PKT2_il,comdat
	.protected	_ZN5aiter30swiglu_act_and_mul_bias_kernelItthfLi8EEEvPT0_PKT_PKT1_PKT2_il ; -- Begin function _ZN5aiter30swiglu_act_and_mul_bias_kernelItthfLi8EEEvPT0_PKT_PKT1_PKT2_il
	.globl	_ZN5aiter30swiglu_act_and_mul_bias_kernelItthfLi8EEEvPT0_PKT_PKT1_PKT2_il
	.p2align	8
	.type	_ZN5aiter30swiglu_act_and_mul_bias_kernelItthfLi8EEEvPT0_PKT_PKT1_PKT2_il,@function
_ZN5aiter30swiglu_act_and_mul_bias_kernelItthfLi8EEEvPT0_PKT_PKT1_PKT2_il: ; @_ZN5aiter30swiglu_act_and_mul_bias_kernelItthfLi8EEEvPT0_PKT_PKT1_PKT2_il
; %bb.0:
	s_load_dwordx2 s[4:5], s[0:1], 0x10
	s_load_dword s20, s[0:1], 0x20
	s_load_dwordx2 s[6:7], s[0:1], 0x28
	v_mov_b32_e32 v1, s2
	s_mov_b32 s9, 0
	s_waitcnt lgkmcnt(0)
	global_load_ubyte v1, v1, s[4:5]
	s_add_i32 s3, s20, 1
	s_load_dwordx2 s[4:5], s[0:1], 0x0
	v_mov_b64_e32 v[2:3], s[6:7]
	s_lshr_b32 s6, s3, 31
	s_ashr_i32 s21, s20, 31
	s_add_i32 s3, s3, s6
	s_mul_hi_u32 s8, s20, s2
	s_mul_i32 s7, s21, s2
	s_lshl_b32 s3, s3, 1
	s_mul_i32 s12, s20, s2
	s_add_i32 s13, s8, s7
	s_and_b32 s6, s3, -4
	s_lshl_b64 s[12:13], s[12:13], 1
	s_mov_b64 s[10:11], -1
	v_lshlrev_b32_e32 v20, 3, v0
	s_waitcnt vmcnt(0)
	v_readfirstlane_b32 s3, v1
	s_and_b32 s8, s3, 0xffff
	s_waitcnt lgkmcnt(0)
	s_add_u32 s4, s4, s12
	v_cmp_lt_i64_e32 vcc, s[8:9], v[2:3]
	s_addc_u32 s3, s5, s13
	s_and_b32 s5, s3, 0xffff
	s_cbranch_vccnz .LBB240_5
; %bb.1:
	v_cmp_gt_i32_e32 vcc, s20, v20
	s_and_saveexec_b64 s[10:11], vcc
	s_cbranch_execz .LBB240_4
; %bb.2:
	s_load_dword s3, s[0:1], 0x3c
	v_mov_b32_e32 v21, 0
	s_mov_b32 s13, 0
	v_lshlrev_b32_e32 v1, 4, v0
	s_mov_b64 s[14:15], 0
	s_waitcnt lgkmcnt(0)
	s_and_b32 s3, s3, 0xffff
	s_lshl_b32 s12, s3, 3
	s_lshl_b32 s3, s3, 4
	s_mov_b32 s7, 0x20000
	v_mov_b32_e32 v2, v21
	v_mov_b32_e32 v3, v21
	;; [unrolled: 1-line block ×4, first 2 shown]
	v_mov_b64_e32 v[6:7], v[20:21]
.LBB240_3:                              ; =>This Inner Loop Header: Depth=1
	v_lshl_add_u64 v[6:7], s[12:13], 0, v[6:7]
	v_cmp_le_i64_e32 vcc, s[20:21], v[6:7]
	buffer_store_dwordx4 v[2:5], v1, s[4:7], 0 offen
	s_or_b64 s[14:15], vcc, s[14:15]
	v_add_u32_e32 v1, s3, v1
	s_andn2_b64 exec, exec, s[14:15]
	s_cbranch_execnz .LBB240_3
.LBB240_4:
	s_or_b64 exec, exec, s[10:11]
	s_mov_b64 s[10:11], 0
.LBB240_5:
	s_andn2_b64 vcc, exec, s[10:11]
	s_cbranch_vccnz .LBB240_9
; %bb.6:
	v_cmp_gt_i32_e32 vcc, s20, v20
	s_and_saveexec_b64 s[10:11], vcc
	s_cbranch_execz .LBB240_9
; %bb.7:
	s_load_dwordx2 s[12:13], s[0:1], 0x8
	s_load_dwordx2 s[10:11], s[0:1], 0x18
	s_mul_hi_i32 s9, s20, s8
	s_mul_i32 s8, s20, s8
	s_lshl_b64 s[8:9], s[8:9], 3
	s_load_dword s14, s[0:1], 0x3c
	s_waitcnt lgkmcnt(0)
	s_add_u32 s8, s10, s8
	s_addc_u32 s3, s11, s9
	s_lshl_b64 s[0:1], s[20:21], 2
	s_add_u32 s0, s8, s0
	s_addc_u32 s1, s3, s1
	s_and_b32 s9, s3, 0xffff
	s_mul_i32 s3, s2, s21
	s_mul_hi_u32 s15, s2, s20
	s_add_i32 s3, s15, s3
	s_mul_i32 s2, s2, s20
	s_lshl_b32 s10, s20, 2
	s_and_b32 s1, s1, 0xffff
	s_lshl_b64 s[2:3], s[2:3], 2
	s_add_u32 s12, s12, s2
	s_addc_u32 s13, s13, s3
	s_lshl_b64 s[2:3], s[20:21], 1
	s_add_u32 s16, s12, s2
	s_addc_u32 s2, s13, s3
	s_mov_b32 s7, 0x20000
	s_and_b32 s17, s2, 0xffff
	s_and_b32 s2, s14, 0xffff
	s_mov_b32 s11, s7
	s_and_b32 s13, s13, 0xffff
	s_mov_b32 s23, 0
	v_mov_b32_e32 v21, 0
	s_lshl_b32 s22, s2, 3
	v_lshlrev_b32_e32 v28, 5, v0
	s_lshl_b32 s26, s2, 5
	v_lshlrev_b32_e32 v29, 4, v0
	s_lshl_b32 s27, s2, 4
	s_mov_b64 s[24:25], 0
	s_mov_b32 s19, s7
	s_mov_b32 s18, s6
	;; [unrolled: 1-line block ×5, first 2 shown]
	v_mov_b32_e32 v30, 0x7f800000
	s_mov_b32 s31, 0xc0e00000
	v_mov_b32_e32 v31, 0x40e00000
	s_mov_b32 s33, 0x7060302
	s_mov_b32 s14, s6
	;; [unrolled: 1-line block ×3, first 2 shown]
.LBB240_8:                              ; =>This Inner Loop Header: Depth=1
	buffer_load_dwordx4 v[12:15], v29, s[12:15], 0 offen
	buffer_load_dwordx4 v[22:25], v28, s[8:11], 0 offen
	;; [unrolled: 1-line block ×4, first 2 shown]
	s_mov_b32 s2, s10
	s_mov_b32 s3, s11
	buffer_load_dwordx4 v[0:3], v28, s[0:3], 0 offen
	buffer_load_dwordx4 v[4:7], v28, s[0:3], 16 offen
	v_lshl_add_u64 v[20:21], s[22:23], 0, v[20:21]
	v_add_u32_e32 v28, s26, v28
	s_waitcnt vmcnt(5)
	v_and_b32_e32 v27, 0xffff0000, v12
	v_lshlrev_b32_e32 v26, 16, v12
	v_and_b32_e32 v33, 0xffff0000, v13
	v_lshlrev_b32_e32 v32, 16, v13
	;; [unrolled: 2-line block ×3, first 2 shown]
	s_waitcnt vmcnt(4)
	v_pk_add_f32 v[22:23], v[22:23], v[26:27]
	s_waitcnt vmcnt(3)
	v_pk_add_f32 v[26:27], v[16:17], v[12:13]
	v_min_f32_e32 v12, 0x40e00000, v22
	v_pk_add_f32 v[24:25], v[24:25], v[32:33]
	v_min_f32_e32 v13, 0x40e00000, v23
	v_mul_f32_e32 v14, 0xbfd9db23, v12
	v_min_f32_e32 v16, 0x40e00000, v24
	v_min_f32_e32 v23, 0x40e00000, v27
	v_mul_f32_e32 v24, 0xbfd9db23, v13
	v_mul_f32_e32 v27, 0x3fb8aa3b, v14
	v_min_f32_e32 v17, 0x40e00000, v25
	v_mul_f32_e32 v25, 0xbfd9db23, v16
	v_mul_f32_e32 v33, 0x3fb8aa3b, v24
	v_fma_f32 v37, v14, s28, -v27
	v_rndne_f32_e32 v38, v27
	v_min_f32_e32 v22, 0x40e00000, v26
	v_mul_f32_e32 v26, 0xbfd9db23, v17
	v_mul_f32_e32 v34, 0x3fb8aa3b, v25
	v_fma_f32 v39, v24, s28, -v33
	v_rndne_f32_e32 v40, v33
	v_fmac_f32_e32 v37, 0x32a5705f, v14
	v_sub_f32_e32 v27, v27, v38
	v_mul_f32_e32 v35, 0x3fb8aa3b, v26
	v_fma_f32 v41, v25, s28, -v34
	v_rndne_f32_e32 v42, v34
	v_fmac_f32_e32 v39, 0x32a5705f, v24
	v_sub_f32_e32 v33, v33, v40
	v_add_f32_e32 v27, v27, v37
	v_fma_f32 v43, v26, s28, -v35
	v_rndne_f32_e32 v44, v35
	v_cvt_i32_f32_e32 v38, v38
	v_fmac_f32_e32 v41, 0x32a5705f, v25
	v_sub_f32_e32 v34, v34, v42
	v_add_f32_e32 v33, v33, v39
	v_exp_f32_e32 v27, v27
	v_cvt_i32_f32_e32 v40, v40
	v_fmac_f32_e32 v43, 0x32a5705f, v26
	v_sub_f32_e32 v35, v35, v44
	v_add_f32_e32 v34, v34, v41
	v_exp_f32_e32 v33, v33
	v_cvt_i32_f32_e32 v42, v42
	v_add_f32_e32 v35, v35, v43
	v_exp_f32_e32 v34, v34
	v_cvt_i32_f32_e32 v44, v44
	v_exp_f32_e32 v35, v35
	v_ldexp_f32 v27, v27, v38
	v_cmp_ngt_f32_e32 vcc, s29, v14
	v_mul_f32_e32 v32, 0xbfd9db23, v22
	v_ldexp_f32 v33, v33, v40
	v_cndmask_b32_e32 v27, 0, v27, vcc
	v_cmp_ngt_f32_e32 vcc, s29, v24
	v_mul_f32_e32 v36, 0x3fb8aa3b, v32
	v_ldexp_f32 v34, v34, v42
	v_cndmask_b32_e32 v33, 0, v33, vcc
	v_cmp_ngt_f32_e32 vcc, s29, v25
	v_fma_f32 v45, v32, s28, -v36
	v_rndne_f32_e32 v46, v36
	v_ldexp_f32 v35, v35, v44
	v_cndmask_b32_e32 v34, 0, v34, vcc
	v_cmp_ngt_f32_e32 vcc, s29, v26
	v_fmac_f32_e32 v45, 0x32a5705f, v32
	v_sub_f32_e32 v36, v36, v46
	v_cndmask_b32_e32 v35, 0, v35, vcc
	v_cmp_nlt_f32_e32 vcc, s30, v14
	v_add_f32_e32 v36, v36, v45
	v_cvt_i32_f32_e32 v46, v46
	v_cndmask_b32_e32 v14, v30, v27, vcc
	v_cmp_nlt_f32_e32 vcc, s30, v24
	v_exp_f32_e32 v36, v36
	v_add_f32_e32 v14, 1.0, v14
	v_cndmask_b32_e32 v24, v30, v33, vcc
	v_cmp_nlt_f32_e32 vcc, s30, v25
	v_add_f32_e32 v27, 1.0, v24
	v_ldexp_f32 v36, v36, v46
	v_cndmask_b32_e32 v25, v30, v34, vcc
	v_cmp_nlt_f32_e32 vcc, s30, v26
	v_add_f32_e32 v33, 1.0, v25
	v_rcp_f32_e32 v25, v27
	v_cndmask_b32_e32 v26, v30, v35, vcc
	v_add_f32_e32 v34, 1.0, v26
	v_rcp_f32_e32 v26, v33
	v_mul_f32_e32 v33, 0xbfd9db23, v23
	v_rcp_f32_e32 v27, v34
	v_cmp_ngt_f32_e32 vcc, s29, v32
	v_mul_f32_e32 v34, 0x3fb8aa3b, v33
	v_rcp_f32_e32 v24, v14
	v_cndmask_b32_e32 v14, 0, v36, vcc
	v_fma_f32 v35, v33, s28, -v34
	v_rndne_f32_e32 v36, v34
	v_fmac_f32_e32 v35, 0x32a5705f, v33
	v_sub_f32_e32 v34, v34, v36
	v_add_f32_e32 v34, v34, v35
	v_exp_f32_e32 v34, v34
	v_cvt_i32_f32_e32 v35, v36
	v_cmp_nlt_f32_e32 vcc, s30, v32
	s_waitcnt vmcnt(2)
	v_and_b32_e32 v39, 0xffff0000, v11
	v_lshlrev_b32_e32 v38, 16, v11
	v_cndmask_b32_e32 v14, v30, v14, vcc
	v_ldexp_f32 v32, v34, v35
	v_cmp_ngt_f32_e32 vcc, s29, v33
	v_add_f32_e32 v14, 1.0, v14
	v_rcp_f32_e32 v14, v14
	v_cndmask_b32_e32 v32, 0, v32, vcc
	v_cmp_nlt_f32_e32 vcc, s30, v33
	v_and_b32_e32 v33, 0xffff0000, v15
	v_and_b32_e32 v11, 0xffff0000, v9
	v_cndmask_b32_e32 v34, v30, v32, vcc
	v_lshlrev_b32_e32 v32, 16, v15
	v_pk_add_f32 v[18:19], v[18:19], v[32:33]
	s_waitcnt vmcnt(0)
	v_pk_add_f32 v[6:7], v[6:7], v[38:39]
	v_min_f32_e32 v18, 0x40e00000, v18
	v_mul_f32_e32 v32, 0xbfd9db23, v18
	v_mul_f32_e32 v15, 0x3fb8aa3b, v32
	v_fma_f32 v33, v32, s28, -v15
	v_rndne_f32_e32 v35, v15
	v_fmac_f32_e32 v33, 0x32a5705f, v32
	v_sub_f32_e32 v15, v15, v35
	v_add_f32_e32 v15, v15, v33
	v_exp_f32_e32 v33, v15
	v_cvt_i32_f32_e32 v35, v35
	v_min_f32_e32 v19, 0x40e00000, v19
	v_add_f32_e32 v15, 1.0, v34
	v_mul_f32_e32 v34, 0xbfd9db23, v19
	v_ldexp_f32 v33, v33, v35
	v_mul_f32_e32 v35, 0x3fb8aa3b, v34
	v_fma_f32 v36, v34, s28, -v35
	v_rndne_f32_e32 v37, v35
	v_fmac_f32_e32 v36, 0x32a5705f, v34
	v_sub_f32_e32 v35, v35, v37
	v_add_f32_e32 v35, v35, v36
	v_exp_f32_e32 v35, v35
	v_cvt_i32_f32_e32 v36, v37
	v_cmp_ngt_f32_e32 vcc, s29, v32
	v_rcp_f32_e32 v15, v15
	v_and_b32_e32 v37, 0xffff0000, v8
	v_cndmask_b32_e32 v33, 0, v33, vcc
	v_cmp_nlt_f32_e32 vcc, s30, v32
	v_med3_f32 v7, v7, s31, v31
	v_med3_f32 v6, v6, s31, v31
	v_cndmask_b32_e32 v32, v30, v33, vcc
	v_ldexp_f32 v33, v35, v36
	v_cmp_ngt_f32_e32 vcc, s29, v34
	v_add_f32_e32 v32, 1.0, v32
	v_rcp_f32_e32 v32, v32
	v_cndmask_b32_e32 v33, 0, v33, vcc
	v_cmp_nlt_f32_e32 vcc, s30, v34
	v_and_b32_e32 v35, 0xffff0000, v10
	v_lshlrev_b32_e32 v34, 16, v10
	v_cndmask_b32_e32 v33, v30, v33, vcc
	v_add_f32_e32 v33, 1.0, v33
	v_rcp_f32_e32 v33, v33
	v_lshlrev_b32_e32 v36, 16, v8
	v_lshlrev_b32_e32 v10, 16, v9
	v_pk_add_f32 v[2:3], v[2:3], v[10:11]
	v_pk_add_f32 v[0:1], v[0:1], v[36:37]
	;; [unrolled: 1-line block ×3, first 2 shown]
	v_med3_f32 v3, v3, s31, v31
	v_med3_f32 v2, v2, s31, v31
	;; [unrolled: 1-line block ×6, first 2 shown]
	v_pk_add_f32 v[6:7], v[6:7], 1.0 op_sel_hi:[1,0]
	v_pk_add_f32 v[2:3], v[2:3], 1.0 op_sel_hi:[1,0]
	;; [unrolled: 1-line block ×4, first 2 shown]
	v_pk_mul_f32 v[8:9], v[12:13], v[24:25]
	v_pk_mul_f32 v[10:11], v[16:17], v[26:27]
	;; [unrolled: 1-line block ×8, first 2 shown]
	v_perm_b32 v3, v3, v2, s33
	v_perm_b32 v1, v11, v10, s33
	;; [unrolled: 1-line block ×4, first 2 shown]
	v_cmp_le_i64_e32 vcc, s[20:21], v[20:21]
	buffer_store_dwordx4 v[0:3], v29, s[4:7], 0 offen
	s_or_b64 s[24:25], vcc, s[24:25]
	v_add_u32_e32 v29, s27, v29
	s_andn2_b64 exec, exec, s[24:25]
	s_cbranch_execnz .LBB240_8
.LBB240_9:
	s_endpgm
	.section	.rodata,"a",@progbits
	.p2align	6, 0x0
	.amdhsa_kernel _ZN5aiter30swiglu_act_and_mul_bias_kernelItthfLi8EEEvPT0_PKT_PKT1_PKT2_il
		.amdhsa_group_segment_fixed_size 0
		.amdhsa_private_segment_fixed_size 0
		.amdhsa_kernarg_size 304
		.amdhsa_user_sgpr_count 2
		.amdhsa_user_sgpr_dispatch_ptr 0
		.amdhsa_user_sgpr_queue_ptr 0
		.amdhsa_user_sgpr_kernarg_segment_ptr 1
		.amdhsa_user_sgpr_dispatch_id 0
		.amdhsa_user_sgpr_kernarg_preload_length 0
		.amdhsa_user_sgpr_kernarg_preload_offset 0
		.amdhsa_user_sgpr_private_segment_size 0
		.amdhsa_uses_dynamic_stack 0
		.amdhsa_enable_private_segment 0
		.amdhsa_system_sgpr_workgroup_id_x 1
		.amdhsa_system_sgpr_workgroup_id_y 0
		.amdhsa_system_sgpr_workgroup_id_z 0
		.amdhsa_system_sgpr_workgroup_info 0
		.amdhsa_system_vgpr_workitem_id 0
		.amdhsa_next_free_vgpr 47
		.amdhsa_next_free_sgpr 34
		.amdhsa_accum_offset 48
		.amdhsa_reserve_vcc 1
		.amdhsa_float_round_mode_32 0
		.amdhsa_float_round_mode_16_64 0
		.amdhsa_float_denorm_mode_32 3
		.amdhsa_float_denorm_mode_16_64 3
		.amdhsa_dx10_clamp 1
		.amdhsa_ieee_mode 1
		.amdhsa_fp16_overflow 0
		.amdhsa_tg_split 0
		.amdhsa_exception_fp_ieee_invalid_op 0
		.amdhsa_exception_fp_denorm_src 0
		.amdhsa_exception_fp_ieee_div_zero 0
		.amdhsa_exception_fp_ieee_overflow 0
		.amdhsa_exception_fp_ieee_underflow 0
		.amdhsa_exception_fp_ieee_inexact 0
		.amdhsa_exception_int_div_zero 0
	.end_amdhsa_kernel
	.section	.text._ZN5aiter30swiglu_act_and_mul_bias_kernelItthfLi8EEEvPT0_PKT_PKT1_PKT2_il,"axG",@progbits,_ZN5aiter30swiglu_act_and_mul_bias_kernelItthfLi8EEEvPT0_PKT_PKT1_PKT2_il,comdat
.Lfunc_end240:
	.size	_ZN5aiter30swiglu_act_and_mul_bias_kernelItthfLi8EEEvPT0_PKT_PKT1_PKT2_il, .Lfunc_end240-_ZN5aiter30swiglu_act_and_mul_bias_kernelItthfLi8EEEvPT0_PKT_PKT1_PKT2_il
                                        ; -- End function
	.section	.AMDGPU.csdata,"",@progbits
; Kernel info:
; codeLenInByte = 1768
; NumSgprs: 40
; NumVgprs: 47
; NumAgprs: 0
; TotalNumVgprs: 47
; ScratchSize: 0
; MemoryBound: 0
; FloatMode: 240
; IeeeMode: 1
; LDSByteSize: 0 bytes/workgroup (compile time only)
; SGPRBlocks: 4
; VGPRBlocks: 5
; NumSGPRsForWavesPerEU: 40
; NumVGPRsForWavesPerEU: 47
; AccumOffset: 48
; Occupancy: 8
; WaveLimiterHint : 0
; COMPUTE_PGM_RSRC2:SCRATCH_EN: 0
; COMPUTE_PGM_RSRC2:USER_SGPR: 2
; COMPUTE_PGM_RSRC2:TRAP_HANDLER: 0
; COMPUTE_PGM_RSRC2:TGID_X_EN: 1
; COMPUTE_PGM_RSRC2:TGID_Y_EN: 0
; COMPUTE_PGM_RSRC2:TGID_Z_EN: 0
; COMPUTE_PGM_RSRC2:TIDIG_COMP_CNT: 0
; COMPUTE_PGM_RSRC3_GFX90A:ACCUM_OFFSET: 11
; COMPUTE_PGM_RSRC3_GFX90A:TG_SPLIT: 0
	.section	.text._ZN5aiter30swiglu_act_and_mul_bias_kernelItthfLi4EEEvPT0_PKT_PKT1_PKT2_il,"axG",@progbits,_ZN5aiter30swiglu_act_and_mul_bias_kernelItthfLi4EEEvPT0_PKT_PKT1_PKT2_il,comdat
	.protected	_ZN5aiter30swiglu_act_and_mul_bias_kernelItthfLi4EEEvPT0_PKT_PKT1_PKT2_il ; -- Begin function _ZN5aiter30swiglu_act_and_mul_bias_kernelItthfLi4EEEvPT0_PKT_PKT1_PKT2_il
	.globl	_ZN5aiter30swiglu_act_and_mul_bias_kernelItthfLi4EEEvPT0_PKT_PKT1_PKT2_il
	.p2align	8
	.type	_ZN5aiter30swiglu_act_and_mul_bias_kernelItthfLi4EEEvPT0_PKT_PKT1_PKT2_il,@function
_ZN5aiter30swiglu_act_and_mul_bias_kernelItthfLi4EEEvPT0_PKT_PKT1_PKT2_il: ; @_ZN5aiter30swiglu_act_and_mul_bias_kernelItthfLi4EEEvPT0_PKT_PKT1_PKT2_il
; %bb.0:
	s_load_dwordx2 s[4:5], s[0:1], 0x10
	s_load_dword s20, s[0:1], 0x20
	s_load_dwordx2 s[6:7], s[0:1], 0x28
	v_mov_b32_e32 v1, s2
	s_mov_b32 s9, 0
	s_waitcnt lgkmcnt(0)
	global_load_ubyte v1, v1, s[4:5]
	s_add_i32 s3, s20, 1
	s_load_dwordx2 s[4:5], s[0:1], 0x0
	v_mov_b64_e32 v[2:3], s[6:7]
	s_lshr_b32 s6, s3, 31
	s_ashr_i32 s21, s20, 31
	s_add_i32 s3, s3, s6
	s_mul_hi_u32 s8, s20, s2
	s_mul_i32 s7, s21, s2
	s_lshl_b32 s3, s3, 1
	s_mul_i32 s12, s20, s2
	s_add_i32 s13, s8, s7
	s_and_b32 s6, s3, -4
	s_lshl_b64 s[12:13], s[12:13], 1
	s_mov_b64 s[10:11], -1
	v_lshlrev_b32_e32 v8, 2, v0
	s_waitcnt vmcnt(0)
	v_readfirstlane_b32 s3, v1
	s_and_b32 s8, s3, 0xffff
	s_waitcnt lgkmcnt(0)
	s_add_u32 s4, s4, s12
	v_cmp_lt_i64_e32 vcc, s[8:9], v[2:3]
	s_addc_u32 s3, s5, s13
	s_and_b32 s5, s3, 0xffff
	s_cbranch_vccnz .LBB241_5
; %bb.1:
	v_cmp_gt_i32_e32 vcc, s20, v8
	s_and_saveexec_b64 s[10:11], vcc
	s_cbranch_execz .LBB241_4
; %bb.2:
	s_load_dword s3, s[0:1], 0x3c
	v_mov_b32_e32 v9, 0
	s_mov_b32 s13, 0
	v_lshlrev_b32_e32 v1, 3, v0
	s_mov_b64 s[14:15], 0
	s_waitcnt lgkmcnt(0)
	s_and_b32 s3, s3, 0xffff
	s_lshl_b32 s12, s3, 2
	s_lshl_b32 s3, s3, 3
	s_mov_b32 s7, 0x20000
	v_mov_b32_e32 v2, v9
	v_mov_b32_e32 v3, v9
	v_mov_b64_e32 v[4:5], v[8:9]
.LBB241_3:                              ; =>This Inner Loop Header: Depth=1
	v_lshl_add_u64 v[4:5], s[12:13], 0, v[4:5]
	v_cmp_le_i64_e32 vcc, s[20:21], v[4:5]
	buffer_store_dwordx2 v[2:3], v1, s[4:7], 0 offen
	s_or_b64 s[14:15], vcc, s[14:15]
	v_add_u32_e32 v1, s3, v1
	s_andn2_b64 exec, exec, s[14:15]
	s_cbranch_execnz .LBB241_3
.LBB241_4:
	s_or_b64 exec, exec, s[10:11]
	s_mov_b64 s[10:11], 0
.LBB241_5:
	s_andn2_b64 vcc, exec, s[10:11]
	s_cbranch_vccnz .LBB241_9
; %bb.6:
	v_cmp_gt_i32_e32 vcc, s20, v8
	s_and_saveexec_b64 s[10:11], vcc
	s_cbranch_execz .LBB241_9
; %bb.7:
	s_load_dwordx2 s[12:13], s[0:1], 0x8
	s_load_dwordx2 s[10:11], s[0:1], 0x18
	s_mul_hi_i32 s9, s20, s8
	s_mul_i32 s8, s20, s8
	s_lshl_b64 s[8:9], s[8:9], 3
	s_load_dword s14, s[0:1], 0x3c
	s_waitcnt lgkmcnt(0)
	s_add_u32 s8, s10, s8
	s_addc_u32 s3, s11, s9
	s_lshl_b64 s[0:1], s[20:21], 2
	s_add_u32 s0, s8, s0
	s_addc_u32 s1, s3, s1
	s_and_b32 s9, s3, 0xffff
	s_mul_i32 s3, s2, s21
	s_mul_hi_u32 s15, s2, s20
	s_add_i32 s3, s15, s3
	s_mul_i32 s2, s2, s20
	s_lshl_b32 s10, s20, 2
	s_and_b32 s1, s1, 0xffff
	s_lshl_b64 s[2:3], s[2:3], 2
	s_add_u32 s12, s12, s2
	s_addc_u32 s13, s13, s3
	s_lshl_b64 s[2:3], s[20:21], 1
	s_add_u32 s16, s12, s2
	s_addc_u32 s2, s13, s3
	s_mov_b32 s7, 0x20000
	s_and_b32 s17, s2, 0xffff
	s_and_b32 s2, s14, 0xffff
	s_mov_b32 s11, s7
	s_and_b32 s13, s13, 0xffff
	s_mov_b32 s23, 0
	v_mov_b32_e32 v9, 0
	s_lshl_b32 s22, s2, 2
	v_lshlrev_b32_e32 v14, 4, v0
	s_lshl_b32 s26, s2, 4
	v_lshlrev_b32_e32 v15, 3, v0
	s_lshl_b32 s27, s2, 3
	s_mov_b64 s[24:25], 0
	s_mov_b32 s19, s7
	s_mov_b32 s18, s6
	;; [unrolled: 1-line block ×5, first 2 shown]
	v_mov_b32_e32 v16, 0x7f800000
	s_mov_b32 s31, 0xc0e00000
	v_mov_b32_e32 v17, 0x40e00000
	s_mov_b32 s33, 0x7060302
	s_mov_b32 s14, s6
	;; [unrolled: 1-line block ×3, first 2 shown]
.LBB241_8:                              ; =>This Inner Loop Header: Depth=1
	buffer_load_dwordx2 v[10:11], v15, s[12:15], 0 offen
	buffer_load_dwordx2 v[12:13], v15, s[16:19], 0 offen
	buffer_load_dwordx4 v[0:3], v14, s[8:11], 0 offen
	s_mov_b32 s2, s10
	s_mov_b32 s3, s11
	buffer_load_dwordx4 v[4:7], v14, s[0:3], 0 offen
	v_lshl_add_u64 v[8:9], s[22:23], 0, v[8:9]
	v_cmp_le_i64_e32 vcc, s[20:21], v[8:9]
	s_or_b64 s[24:25], vcc, s[24:25]
	v_add_u32_e32 v14, s26, v14
	s_waitcnt vmcnt(3)
	v_and_b32_e32 v19, 0xffff0000, v10
	v_lshlrev_b32_e32 v18, 16, v10
	s_waitcnt vmcnt(1)
	v_pk_add_f32 v[0:1], v[0:1], v[18:19]
	v_and_b32_e32 v21, 0xffff0000, v11
	v_lshlrev_b32_e32 v20, 16, v11
	v_and_b32_e32 v11, 0xffff0000, v12
	v_lshlrev_b32_e32 v10, 16, v12
	v_min_f32_e32 v0, 0x40e00000, v0
	v_pk_add_f32 v[2:3], v[2:3], v[20:21]
	s_waitcnt vmcnt(0)
	v_pk_add_f32 v[4:5], v[4:5], v[10:11]
	v_min_f32_e32 v1, 0x40e00000, v1
	v_mul_f32_e32 v10, 0xbfd9db23, v0
	v_and_b32_e32 v23, 0xffff0000, v13
	v_lshlrev_b32_e32 v22, 16, v13
	v_min_f32_e32 v2, 0x40e00000, v2
	v_mul_f32_e32 v11, 0xbfd9db23, v1
	v_mul_f32_e32 v18, 0x3fb8aa3b, v10
	v_pk_add_f32 v[6:7], v[6:7], v[22:23]
	v_min_f32_e32 v3, 0x40e00000, v3
	v_mul_f32_e32 v12, 0xbfd9db23, v2
	v_mul_f32_e32 v19, 0x3fb8aa3b, v11
	v_fma_f32 v22, v10, s28, -v18
	v_rndne_f32_e32 v23, v18
	v_mul_f32_e32 v13, 0xbfd9db23, v3
	v_mul_f32_e32 v20, 0x3fb8aa3b, v12
	v_fma_f32 v24, v11, s28, -v19
	v_rndne_f32_e32 v25, v19
	v_fmac_f32_e32 v22, 0x32a5705f, v10
	v_sub_f32_e32 v18, v18, v23
	v_mul_f32_e32 v21, 0x3fb8aa3b, v13
	v_fma_f32 v26, v12, s28, -v20
	v_rndne_f32_e32 v27, v20
	v_fmac_f32_e32 v24, 0x32a5705f, v11
	v_sub_f32_e32 v19, v19, v25
	v_add_f32_e32 v18, v18, v22
	v_fma_f32 v28, v13, s28, -v21
	v_rndne_f32_e32 v29, v21
	v_cvt_i32_f32_e32 v23, v23
	v_fmac_f32_e32 v26, 0x32a5705f, v12
	v_sub_f32_e32 v20, v20, v27
	v_add_f32_e32 v19, v19, v24
	v_exp_f32_e32 v18, v18
	v_cvt_i32_f32_e32 v25, v25
	v_fmac_f32_e32 v28, 0x32a5705f, v13
	v_sub_f32_e32 v21, v21, v29
	v_add_f32_e32 v20, v20, v26
	v_exp_f32_e32 v19, v19
	v_cvt_i32_f32_e32 v27, v27
	v_add_f32_e32 v21, v21, v28
	v_exp_f32_e32 v20, v20
	v_cvt_i32_f32_e32 v29, v29
	v_exp_f32_e32 v21, v21
	v_ldexp_f32 v18, v18, v23
	v_cmp_ngt_f32_e32 vcc, s29, v10
	v_ldexp_f32 v19, v19, v25
	v_ldexp_f32 v20, v20, v27
	v_cndmask_b32_e32 v18, 0, v18, vcc
	v_cmp_ngt_f32_e32 vcc, s29, v11
	v_ldexp_f32 v21, v21, v29
	v_med3_f32 v7, v7, s31, v17
	v_cndmask_b32_e32 v19, 0, v19, vcc
	v_cmp_ngt_f32_e32 vcc, s29, v12
	v_med3_f32 v6, v6, s31, v17
	v_med3_f32 v5, v5, s31, v17
	v_cndmask_b32_e32 v20, 0, v20, vcc
	v_cmp_ngt_f32_e32 vcc, s29, v13
	v_med3_f32 v4, v4, s31, v17
	v_pk_add_f32 v[6:7], v[6:7], 1.0 op_sel_hi:[1,0]
	v_cndmask_b32_e32 v21, 0, v21, vcc
	v_cmp_nlt_f32_e32 vcc, s30, v10
	v_pk_add_f32 v[4:5], v[4:5], 1.0 op_sel_hi:[1,0]
	s_nop 0
	v_cndmask_b32_e32 v10, v16, v18, vcc
	v_cmp_nlt_f32_e32 vcc, s30, v11
	v_add_f32_e32 v10, 1.0, v10
	v_rcp_f32_e32 v10, v10
	v_cndmask_b32_e32 v11, v16, v19, vcc
	v_cmp_nlt_f32_e32 vcc, s30, v12
	v_add_f32_e32 v11, 1.0, v11
	v_rcp_f32_e32 v11, v11
	;; [unrolled: 4-line block ×3, first 2 shown]
	v_cndmask_b32_e32 v13, v16, v21, vcc
	v_add_f32_e32 v13, 1.0, v13
	v_rcp_f32_e32 v13, v13
	v_pk_mul_f32 v[0:1], v[0:1], v[10:11]
	v_pk_mul_f32 v[2:3], v[2:3], v[12:13]
	s_nop 0
	v_pk_mul_f32 v[2:3], v[6:7], v[2:3]
	v_pk_mul_f32 v[0:1], v[4:5], v[0:1]
	v_perm_b32 v3, v3, v2, s33
	v_perm_b32 v2, v1, v0, s33
	buffer_store_dwordx2 v[2:3], v15, s[4:7], 0 offen
	v_add_u32_e32 v15, s27, v15
	s_andn2_b64 exec, exec, s[24:25]
	s_cbranch_execnz .LBB241_8
.LBB241_9:
	s_endpgm
	.section	.rodata,"a",@progbits
	.p2align	6, 0x0
	.amdhsa_kernel _ZN5aiter30swiglu_act_and_mul_bias_kernelItthfLi4EEEvPT0_PKT_PKT1_PKT2_il
		.amdhsa_group_segment_fixed_size 0
		.amdhsa_private_segment_fixed_size 0
		.amdhsa_kernarg_size 304
		.amdhsa_user_sgpr_count 2
		.amdhsa_user_sgpr_dispatch_ptr 0
		.amdhsa_user_sgpr_queue_ptr 0
		.amdhsa_user_sgpr_kernarg_segment_ptr 1
		.amdhsa_user_sgpr_dispatch_id 0
		.amdhsa_user_sgpr_kernarg_preload_length 0
		.amdhsa_user_sgpr_kernarg_preload_offset 0
		.amdhsa_user_sgpr_private_segment_size 0
		.amdhsa_uses_dynamic_stack 0
		.amdhsa_enable_private_segment 0
		.amdhsa_system_sgpr_workgroup_id_x 1
		.amdhsa_system_sgpr_workgroup_id_y 0
		.amdhsa_system_sgpr_workgroup_id_z 0
		.amdhsa_system_sgpr_workgroup_info 0
		.amdhsa_system_vgpr_workitem_id 0
		.amdhsa_next_free_vgpr 30
		.amdhsa_next_free_sgpr 34
		.amdhsa_accum_offset 32
		.amdhsa_reserve_vcc 1
		.amdhsa_float_round_mode_32 0
		.amdhsa_float_round_mode_16_64 0
		.amdhsa_float_denorm_mode_32 3
		.amdhsa_float_denorm_mode_16_64 3
		.amdhsa_dx10_clamp 1
		.amdhsa_ieee_mode 1
		.amdhsa_fp16_overflow 0
		.amdhsa_tg_split 0
		.amdhsa_exception_fp_ieee_invalid_op 0
		.amdhsa_exception_fp_denorm_src 0
		.amdhsa_exception_fp_ieee_div_zero 0
		.amdhsa_exception_fp_ieee_overflow 0
		.amdhsa_exception_fp_ieee_underflow 0
		.amdhsa_exception_fp_ieee_inexact 0
		.amdhsa_exception_int_div_zero 0
	.end_amdhsa_kernel
	.section	.text._ZN5aiter30swiglu_act_and_mul_bias_kernelItthfLi4EEEvPT0_PKT_PKT1_PKT2_il,"axG",@progbits,_ZN5aiter30swiglu_act_and_mul_bias_kernelItthfLi4EEEvPT0_PKT_PKT1_PKT2_il,comdat
.Lfunc_end241:
	.size	_ZN5aiter30swiglu_act_and_mul_bias_kernelItthfLi4EEEvPT0_PKT_PKT1_PKT2_il, .Lfunc_end241-_ZN5aiter30swiglu_act_and_mul_bias_kernelItthfLi4EEEvPT0_PKT_PKT1_PKT2_il
                                        ; -- End function
	.section	.AMDGPU.csdata,"",@progbits
; Kernel info:
; codeLenInByte = 1200
; NumSgprs: 40
; NumVgprs: 30
; NumAgprs: 0
; TotalNumVgprs: 30
; ScratchSize: 0
; MemoryBound: 0
; FloatMode: 240
; IeeeMode: 1
; LDSByteSize: 0 bytes/workgroup (compile time only)
; SGPRBlocks: 4
; VGPRBlocks: 3
; NumSGPRsForWavesPerEU: 40
; NumVGPRsForWavesPerEU: 30
; AccumOffset: 32
; Occupancy: 8
; WaveLimiterHint : 0
; COMPUTE_PGM_RSRC2:SCRATCH_EN: 0
; COMPUTE_PGM_RSRC2:USER_SGPR: 2
; COMPUTE_PGM_RSRC2:TRAP_HANDLER: 0
; COMPUTE_PGM_RSRC2:TGID_X_EN: 1
; COMPUTE_PGM_RSRC2:TGID_Y_EN: 0
; COMPUTE_PGM_RSRC2:TGID_Z_EN: 0
; COMPUTE_PGM_RSRC2:TIDIG_COMP_CNT: 0
; COMPUTE_PGM_RSRC3_GFX90A:ACCUM_OFFSET: 7
; COMPUTE_PGM_RSRC3_GFX90A:TG_SPLIT: 0
	.section	.text._ZN5aiter30swiglu_act_and_mul_bias_kernelItthfLi2EEEvPT0_PKT_PKT1_PKT2_il,"axG",@progbits,_ZN5aiter30swiglu_act_and_mul_bias_kernelItthfLi2EEEvPT0_PKT_PKT1_PKT2_il,comdat
	.protected	_ZN5aiter30swiglu_act_and_mul_bias_kernelItthfLi2EEEvPT0_PKT_PKT1_PKT2_il ; -- Begin function _ZN5aiter30swiglu_act_and_mul_bias_kernelItthfLi2EEEvPT0_PKT_PKT1_PKT2_il
	.globl	_ZN5aiter30swiglu_act_and_mul_bias_kernelItthfLi2EEEvPT0_PKT_PKT1_PKT2_il
	.p2align	8
	.type	_ZN5aiter30swiglu_act_and_mul_bias_kernelItthfLi2EEEvPT0_PKT_PKT1_PKT2_il,@function
_ZN5aiter30swiglu_act_and_mul_bias_kernelItthfLi2EEEvPT0_PKT_PKT1_PKT2_il: ; @_ZN5aiter30swiglu_act_and_mul_bias_kernelItthfLi2EEEvPT0_PKT_PKT1_PKT2_il
; %bb.0:
	s_load_dwordx2 s[4:5], s[0:1], 0x10
	s_load_dword s20, s[0:1], 0x20
	s_load_dwordx2 s[6:7], s[0:1], 0x28
	v_mov_b32_e32 v1, s2
	s_mov_b32 s9, 0
	s_waitcnt lgkmcnt(0)
	global_load_ubyte v1, v1, s[4:5]
	s_add_i32 s3, s20, 1
	s_load_dwordx2 s[4:5], s[0:1], 0x0
	v_mov_b64_e32 v[4:5], s[6:7]
	s_lshr_b32 s6, s3, 31
	s_ashr_i32 s21, s20, 31
	s_add_i32 s3, s3, s6
	s_mul_hi_u32 s8, s20, s2
	s_mul_i32 s7, s21, s2
	s_lshl_b32 s3, s3, 1
	s_mul_i32 s12, s20, s2
	s_add_i32 s13, s8, s7
	s_and_b32 s6, s3, -4
	s_lshl_b64 s[12:13], s[12:13], 1
	s_mov_b64 s[10:11], -1
	v_lshlrev_b32_e32 v2, 1, v0
	s_waitcnt vmcnt(0)
	v_readfirstlane_b32 s3, v1
	s_and_b32 s8, s3, 0xffff
	s_waitcnt lgkmcnt(0)
	s_add_u32 s4, s4, s12
	v_cmp_lt_i64_e32 vcc, s[8:9], v[4:5]
	s_addc_u32 s3, s5, s13
	s_and_b32 s5, s3, 0xffff
	s_cbranch_vccnz .LBB242_5
; %bb.1:
	v_cmp_gt_i32_e32 vcc, s20, v2
	s_and_saveexec_b64 s[10:11], vcc
	s_cbranch_execz .LBB242_4
; %bb.2:
	s_load_dword s3, s[0:1], 0x3c
	v_mov_b32_e32 v3, 0
	s_mov_b32 s13, 0
	v_lshlrev_b32_e32 v1, 2, v0
	s_mov_b64 s[14:15], 0
	s_waitcnt lgkmcnt(0)
	s_and_b32 s3, s3, 0xffff
	s_lshl_b32 s12, s3, 1
	s_lshl_b32 s3, s3, 2
	s_mov_b32 s7, 0x20000
	v_mov_b64_e32 v[4:5], v[2:3]
.LBB242_3:                              ; =>This Inner Loop Header: Depth=1
	v_lshl_add_u64 v[4:5], s[12:13], 0, v[4:5]
	v_cmp_le_i64_e32 vcc, s[20:21], v[4:5]
	buffer_store_dword v3, v1, s[4:7], 0 offen
	s_or_b64 s[14:15], vcc, s[14:15]
	v_add_u32_e32 v1, s3, v1
	s_andn2_b64 exec, exec, s[14:15]
	s_cbranch_execnz .LBB242_3
.LBB242_4:
	s_or_b64 exec, exec, s[10:11]
	s_mov_b64 s[10:11], 0
.LBB242_5:
	s_andn2_b64 vcc, exec, s[10:11]
	s_cbranch_vccnz .LBB242_9
; %bb.6:
	v_cmp_gt_i32_e32 vcc, s20, v2
	s_and_saveexec_b64 s[10:11], vcc
	s_cbranch_execz .LBB242_9
; %bb.7:
	s_load_dwordx2 s[12:13], s[0:1], 0x8
	s_load_dwordx2 s[10:11], s[0:1], 0x18
	s_mul_hi_i32 s9, s20, s8
	s_mul_i32 s8, s20, s8
	s_lshl_b64 s[8:9], s[8:9], 3
	s_load_dword s14, s[0:1], 0x3c
	s_waitcnt lgkmcnt(0)
	s_add_u32 s8, s10, s8
	s_addc_u32 s3, s11, s9
	s_lshl_b64 s[0:1], s[20:21], 2
	s_add_u32 s0, s8, s0
	s_addc_u32 s1, s3, s1
	s_and_b32 s9, s3, 0xffff
	s_mul_i32 s3, s2, s21
	s_mul_hi_u32 s15, s2, s20
	s_add_i32 s3, s15, s3
	s_mul_i32 s2, s2, s20
	s_lshl_b32 s10, s20, 2
	s_and_b32 s1, s1, 0xffff
	s_lshl_b64 s[2:3], s[2:3], 2
	s_add_u32 s12, s12, s2
	s_addc_u32 s13, s13, s3
	s_lshl_b64 s[2:3], s[20:21], 1
	s_add_u32 s16, s12, s2
	s_addc_u32 s2, s13, s3
	s_mov_b32 s7, 0x20000
	s_and_b32 s17, s2, 0xffff
	s_and_b32 s2, s14, 0xffff
	s_mov_b32 s11, s7
	s_and_b32 s13, s13, 0xffff
	s_mov_b32 s23, 0
	v_mov_b32_e32 v3, 0
	s_lshl_b32 s22, s2, 1
	v_lshlrev_b32_e32 v1, 3, v0
	s_lshl_b32 s26, s2, 3
	v_lshlrev_b32_e32 v0, 2, v0
	s_lshl_b32 s27, s2, 2
	s_mov_b64 s[24:25], 0
	s_mov_b32 s19, s7
	s_mov_b32 s18, s6
	s_mov_b32 s28, 0x3fb8aa3b
	s_mov_b32 s29, 0xc2ce8ed0
	s_mov_b32 s30, 0x42b17218
	v_mov_b32_e32 v4, 0x7f800000
	s_mov_b32 s31, 0xc0e00000
	v_mov_b32_e32 v5, 0x40e00000
	s_mov_b32 s33, 0x7060302
	s_mov_b32 s14, s6
	;; [unrolled: 1-line block ×3, first 2 shown]
.LBB242_8:                              ; =>This Inner Loop Header: Depth=1
	buffer_load_dword v11, v0, s[12:15], 0 offen
	buffer_load_dword v13, v0, s[16:19], 0 offen
	buffer_load_dwordx2 v[6:7], v1, s[8:11], 0 offen
	s_mov_b32 s2, s10
	s_mov_b32 s3, s11
	buffer_load_dwordx2 v[8:9], v1, s[0:3], 0 offen
	v_lshl_add_u64 v[2:3], s[22:23], 0, v[2:3]
	v_cmp_le_i64_e32 vcc, s[20:21], v[2:3]
	s_or_b64 s[24:25], vcc, s[24:25]
	v_add_u32_e32 v1, s26, v1
	s_waitcnt vmcnt(3)
	v_lshlrev_b32_e32 v10, 16, v11
	v_and_b32_e32 v11, 0xffff0000, v11
	s_waitcnt vmcnt(1)
	v_pk_add_f32 v[6:7], v[6:7], v[10:11]
	v_lshlrev_b32_e32 v12, 16, v13
	v_min_f32_e32 v6, 0x40e00000, v6
	v_min_f32_e32 v7, 0x40e00000, v7
	v_mul_f32_e32 v10, 0xbfd9db23, v6
	v_mul_f32_e32 v11, 0xbfd9db23, v7
	;; [unrolled: 1-line block ×4, first 2 shown]
	v_fma_f32 v16, v10, s28, -v14
	v_rndne_f32_e32 v17, v14
	v_fma_f32 v18, v11, s28, -v15
	v_rndne_f32_e32 v19, v15
	v_fmac_f32_e32 v16, 0x32a5705f, v10
	v_sub_f32_e32 v14, v14, v17
	v_fmac_f32_e32 v18, 0x32a5705f, v11
	v_sub_f32_e32 v15, v15, v19
	v_add_f32_e32 v14, v14, v16
	v_cvt_i32_f32_e32 v17, v17
	v_add_f32_e32 v15, v15, v18
	v_exp_f32_e32 v14, v14
	v_cvt_i32_f32_e32 v19, v19
	v_exp_f32_e32 v15, v15
	v_and_b32_e32 v13, 0xffff0000, v13
	s_waitcnt vmcnt(0)
	v_pk_add_f32 v[8:9], v[8:9], v[12:13]
	v_ldexp_f32 v12, v14, v17
	v_cmp_ngt_f32_e32 vcc, s29, v10
	v_ldexp_f32 v13, v15, v19
	v_med3_f32 v9, v9, s31, v5
	v_cndmask_b32_e32 v12, 0, v12, vcc
	v_cmp_ngt_f32_e32 vcc, s29, v11
	v_med3_f32 v8, v8, s31, v5
	v_pk_add_f32 v[8:9], v[8:9], 1.0 op_sel_hi:[1,0]
	v_cndmask_b32_e32 v13, 0, v13, vcc
	v_cmp_nlt_f32_e32 vcc, s30, v10
	s_nop 1
	v_cndmask_b32_e32 v10, v4, v12, vcc
	v_cmp_nlt_f32_e32 vcc, s30, v11
	v_add_f32_e32 v10, 1.0, v10
	v_rcp_f32_e32 v10, v10
	v_cndmask_b32_e32 v11, v4, v13, vcc
	v_add_f32_e32 v11, 1.0, v11
	v_rcp_f32_e32 v11, v11
	s_nop 0
	v_pk_mul_f32 v[6:7], v[6:7], v[10:11]
	s_nop 0
	v_pk_mul_f32 v[6:7], v[8:9], v[6:7]
	s_nop 0
	v_perm_b32 v6, v7, v6, s33
	buffer_store_dword v6, v0, s[4:7], 0 offen
	v_add_u32_e32 v0, s27, v0
	s_andn2_b64 exec, exec, s[24:25]
	s_cbranch_execnz .LBB242_8
.LBB242_9:
	s_endpgm
	.section	.rodata,"a",@progbits
	.p2align	6, 0x0
	.amdhsa_kernel _ZN5aiter30swiglu_act_and_mul_bias_kernelItthfLi2EEEvPT0_PKT_PKT1_PKT2_il
		.amdhsa_group_segment_fixed_size 0
		.amdhsa_private_segment_fixed_size 0
		.amdhsa_kernarg_size 304
		.amdhsa_user_sgpr_count 2
		.amdhsa_user_sgpr_dispatch_ptr 0
		.amdhsa_user_sgpr_queue_ptr 0
		.amdhsa_user_sgpr_kernarg_segment_ptr 1
		.amdhsa_user_sgpr_dispatch_id 0
		.amdhsa_user_sgpr_kernarg_preload_length 0
		.amdhsa_user_sgpr_kernarg_preload_offset 0
		.amdhsa_user_sgpr_private_segment_size 0
		.amdhsa_uses_dynamic_stack 0
		.amdhsa_enable_private_segment 0
		.amdhsa_system_sgpr_workgroup_id_x 1
		.amdhsa_system_sgpr_workgroup_id_y 0
		.amdhsa_system_sgpr_workgroup_id_z 0
		.amdhsa_system_sgpr_workgroup_info 0
		.amdhsa_system_vgpr_workitem_id 0
		.amdhsa_next_free_vgpr 20
		.amdhsa_next_free_sgpr 34
		.amdhsa_accum_offset 20
		.amdhsa_reserve_vcc 1
		.amdhsa_float_round_mode_32 0
		.amdhsa_float_round_mode_16_64 0
		.amdhsa_float_denorm_mode_32 3
		.amdhsa_float_denorm_mode_16_64 3
		.amdhsa_dx10_clamp 1
		.amdhsa_ieee_mode 1
		.amdhsa_fp16_overflow 0
		.amdhsa_tg_split 0
		.amdhsa_exception_fp_ieee_invalid_op 0
		.amdhsa_exception_fp_denorm_src 0
		.amdhsa_exception_fp_ieee_div_zero 0
		.amdhsa_exception_fp_ieee_overflow 0
		.amdhsa_exception_fp_ieee_underflow 0
		.amdhsa_exception_fp_ieee_inexact 0
		.amdhsa_exception_int_div_zero 0
	.end_amdhsa_kernel
	.section	.text._ZN5aiter30swiglu_act_and_mul_bias_kernelItthfLi2EEEvPT0_PKT_PKT1_PKT2_il,"axG",@progbits,_ZN5aiter30swiglu_act_and_mul_bias_kernelItthfLi2EEEvPT0_PKT_PKT1_PKT2_il,comdat
.Lfunc_end242:
	.size	_ZN5aiter30swiglu_act_and_mul_bias_kernelItthfLi2EEEvPT0_PKT_PKT1_PKT2_il, .Lfunc_end242-_ZN5aiter30swiglu_act_and_mul_bias_kernelItthfLi2EEEvPT0_PKT_PKT1_PKT2_il
                                        ; -- End function
	.section	.AMDGPU.csdata,"",@progbits
; Kernel info:
; codeLenInByte = 928
; NumSgprs: 40
; NumVgprs: 20
; NumAgprs: 0
; TotalNumVgprs: 20
; ScratchSize: 0
; MemoryBound: 0
; FloatMode: 240
; IeeeMode: 1
; LDSByteSize: 0 bytes/workgroup (compile time only)
; SGPRBlocks: 4
; VGPRBlocks: 2
; NumSGPRsForWavesPerEU: 40
; NumVGPRsForWavesPerEU: 20
; AccumOffset: 20
; Occupancy: 8
; WaveLimiterHint : 0
; COMPUTE_PGM_RSRC2:SCRATCH_EN: 0
; COMPUTE_PGM_RSRC2:USER_SGPR: 2
; COMPUTE_PGM_RSRC2:TRAP_HANDLER: 0
; COMPUTE_PGM_RSRC2:TGID_X_EN: 1
; COMPUTE_PGM_RSRC2:TGID_Y_EN: 0
; COMPUTE_PGM_RSRC2:TGID_Z_EN: 0
; COMPUTE_PGM_RSRC2:TIDIG_COMP_CNT: 0
; COMPUTE_PGM_RSRC3_GFX90A:ACCUM_OFFSET: 4
; COMPUTE_PGM_RSRC3_GFX90A:TG_SPLIT: 0
	.section	.text._ZN5aiter30swiglu_act_and_mul_bias_kernelItthfLi1EEEvPT0_PKT_PKT1_PKT2_il,"axG",@progbits,_ZN5aiter30swiglu_act_and_mul_bias_kernelItthfLi1EEEvPT0_PKT_PKT1_PKT2_il,comdat
	.protected	_ZN5aiter30swiglu_act_and_mul_bias_kernelItthfLi1EEEvPT0_PKT_PKT1_PKT2_il ; -- Begin function _ZN5aiter30swiglu_act_and_mul_bias_kernelItthfLi1EEEvPT0_PKT_PKT1_PKT2_il
	.globl	_ZN5aiter30swiglu_act_and_mul_bias_kernelItthfLi1EEEvPT0_PKT_PKT1_PKT2_il
	.p2align	8
	.type	_ZN5aiter30swiglu_act_and_mul_bias_kernelItthfLi1EEEvPT0_PKT_PKT1_PKT2_il,@function
_ZN5aiter30swiglu_act_and_mul_bias_kernelItthfLi1EEEvPT0_PKT_PKT1_PKT2_il: ; @_ZN5aiter30swiglu_act_and_mul_bias_kernelItthfLi1EEEvPT0_PKT_PKT1_PKT2_il
; %bb.0:
	s_load_dwordx2 s[4:5], s[0:1], 0x10
	s_load_dword s20, s[0:1], 0x20
	s_load_dwordx2 s[8:9], s[0:1], 0x28
	v_mov_b32_e32 v1, s2
	s_load_dwordx2 s[14:15], s[0:1], 0x0
	s_waitcnt lgkmcnt(0)
	global_load_ubyte v1, v1, s[4:5]
	s_add_i32 s3, s20, 1
	s_ashr_i32 s21, s20, 31
	v_mov_b64_e32 v[2:3], s[8:9]
	s_lshr_b32 s8, s3, 31
	s_mul_hi_u32 s6, s20, s2
	s_mul_i32 s9, s21, s2
	s_add_i32 s3, s3, s8
	s_mul_i32 s10, s20, s2
	s_add_i32 s11, s6, s9
	s_lshl_b32 s3, s3, 1
	s_lshl_b64 s[8:9], s[10:11], 1
	s_and_b32 s10, s3, -4
	s_mov_b32 s7, 0
	s_mov_b64 s[12:13], -1
	v_cmp_gt_i32_e64 s[4:5], s20, v0
	s_waitcnt vmcnt(0)
	v_readfirstlane_b32 s3, v1
	s_and_b32 s6, s3, 0xffff
	s_add_u32 s8, s14, s8
	v_cmp_lt_i64_e32 vcc, s[6:7], v[2:3]
	s_addc_u32 s3, s15, s9
	s_and_b32 s9, s3, 0xffff
	s_cbranch_vccnz .LBB243_5
; %bb.1:
	s_and_saveexec_b64 s[12:13], s[4:5]
	s_cbranch_execz .LBB243_4
; %bb.2:
	s_load_dword s3, s[0:1], 0x3c
	v_mov_b32_e32 v1, 0
	s_mov_b32 s5, 0
	v_lshlrev_b32_e32 v4, 1, v0
	s_mov_b64 s[14:15], 0
	s_waitcnt lgkmcnt(0)
	s_and_b32 s4, s3, 0xffff
	s_lshl_b32 s3, s4, 1
	s_mov_b32 s11, 0x20000
	v_mov_b64_e32 v[2:3], v[0:1]
.LBB243_3:                              ; =>This Inner Loop Header: Depth=1
	v_lshl_add_u64 v[2:3], v[2:3], 0, s[4:5]
	v_cmp_le_i64_e32 vcc, s[20:21], v[2:3]
	buffer_store_short v1, v4, s[8:11], 0 offen
	s_or_b64 s[14:15], vcc, s[14:15]
	v_add_u32_e32 v4, s3, v4
	s_andn2_b64 exec, exec, s[14:15]
	s_cbranch_execnz .LBB243_3
.LBB243_4:
	s_or_b64 exec, exec, s[12:13]
	s_mov_b64 s[12:13], 0
.LBB243_5:
	s_andn2_b64 vcc, exec, s[12:13]
	s_cbranch_vccnz .LBB243_9
; %bb.6:
	v_cmp_gt_i32_e32 vcc, s20, v0
	s_and_saveexec_b64 s[4:5], vcc
	s_cbranch_execz .LBB243_9
; %bb.7:
	s_load_dwordx2 s[12:13], s[0:1], 0x8
	s_load_dwordx2 s[4:5], s[0:1], 0x18
	s_mul_hi_i32 s7, s20, s6
	s_mul_i32 s6, s20, s6
	s_lshl_b64 s[6:7], s[6:7], 3
	s_load_dword s14, s[0:1], 0x3c
	s_waitcnt lgkmcnt(0)
	s_add_u32 s4, s4, s6
	s_addc_u32 s3, s5, s7
	s_lshl_b64 s[0:1], s[20:21], 2
	s_add_u32 s0, s4, s0
	s_addc_u32 s1, s3, s1
	s_and_b32 s5, s3, 0xffff
	s_mul_i32 s3, s2, s21
	s_mul_hi_u32 s15, s2, s20
	s_add_i32 s3, s15, s3
	s_mul_i32 s2, s2, s20
	s_lshl_b32 s6, s20, 2
	s_and_b32 s1, s1, 0xffff
	s_lshl_b64 s[2:3], s[2:3], 2
	s_add_u32 s12, s12, s2
	s_addc_u32 s13, s13, s3
	s_lshl_b64 s[2:3], s[20:21], 1
	s_add_u32 s16, s12, s2
	s_mov_b32 s11, 0x20000
	s_addc_u32 s2, s13, s3
	s_and_b32 s22, s14, 0xffff
	s_mov_b32 s7, s11
	s_and_b32 s13, s13, 0xffff
	s_and_b32 s17, s2, 0xffff
	s_mov_b32 s23, 0
	v_mov_b32_e32 v1, 0
	v_lshlrev_b32_e32 v2, 2, v0
	s_lshl_b32 s26, s22, 2
	v_lshlrev_b32_e32 v3, 1, v0
	s_lshl_b32 s27, s22, 1
	s_mov_b64 s[24:25], 0
	s_mov_b32 s14, s10
	s_mov_b32 s15, s11
	;; [unrolled: 1-line block ×5, first 2 shown]
	v_mov_b32_e32 v4, 0x7f800000
	s_mov_b32 s18, s10
	s_mov_b32 s19, s11
.LBB243_8:                              ; =>This Inner Loop Header: Depth=1
	buffer_load_ushort v5, v3, s[12:15], 0 offen
	buffer_load_dword v6, v2, s[4:7], 0 offen
	buffer_load_ushort v7, v3, s[16:19], 0 offen
	s_mov_b32 s2, s6
	s_mov_b32 s3, s7
	buffer_load_dword v8, v2, s[0:3], 0 offen
	v_lshl_add_u64 v[0:1], v[0:1], 0, s[22:23]
	v_cmp_le_i64_e32 vcc, s[20:21], v[0:1]
	s_or_b64 s[24:25], vcc, s[24:25]
	v_add_u32_e32 v2, s26, v2
	s_waitcnt vmcnt(3)
	v_lshlrev_b32_e32 v5, 16, v5
	s_waitcnt vmcnt(2)
	v_add_f32_e32 v5, v5, v6
	v_min_f32_e32 v5, 0x40e00000, v5
	v_mul_f32_e32 v6, 0xbfd9db23, v5
	v_mul_f32_e32 v9, 0x3fb8aa3b, v6
	v_fma_f32 v10, v6, s28, -v9
	v_rndne_f32_e32 v11, v9
	v_fmac_f32_e32 v10, 0x32a5705f, v6
	v_sub_f32_e32 v9, v9, v11
	v_add_f32_e32 v9, v9, v10
	v_cvt_i32_f32_e32 v11, v11
	v_exp_f32_e32 v9, v9
	s_waitcnt vmcnt(1)
	v_lshlrev_b32_e32 v7, 16, v7
	s_waitcnt vmcnt(0)
	v_add_f32_e32 v7, v7, v8
	v_cmp_ngt_f32_e32 vcc, s29, v6
	v_ldexp_f32 v8, v9, v11
	v_max_f32_e32 v7, 0xc0e00000, v7
	v_cndmask_b32_e32 v8, 0, v8, vcc
	v_cmp_nlt_f32_e32 vcc, s30, v6
	v_min_f32_e32 v7, 0x40e00000, v7
	v_add_f32_e32 v7, 1.0, v7
	v_cndmask_b32_e32 v6, v4, v8, vcc
	v_add_f32_e32 v6, 1.0, v6
	v_rcp_f32_e32 v6, v6
	s_nop 0
	v_mul_f32_e32 v5, v5, v6
	v_mul_f32_e32 v5, v7, v5
	v_lshrrev_b32_e32 v5, 16, v5
	buffer_store_short v5, v3, s[8:11], 0 offen
	v_add_u32_e32 v3, s27, v3
	s_andn2_b64 exec, exec, s[24:25]
	s_cbranch_execnz .LBB243_8
.LBB243_9:
	s_endpgm
	.section	.rodata,"a",@progbits
	.p2align	6, 0x0
	.amdhsa_kernel _ZN5aiter30swiglu_act_and_mul_bias_kernelItthfLi1EEEvPT0_PKT_PKT1_PKT2_il
		.amdhsa_group_segment_fixed_size 0
		.amdhsa_private_segment_fixed_size 0
		.amdhsa_kernarg_size 304
		.amdhsa_user_sgpr_count 2
		.amdhsa_user_sgpr_dispatch_ptr 0
		.amdhsa_user_sgpr_queue_ptr 0
		.amdhsa_user_sgpr_kernarg_segment_ptr 1
		.amdhsa_user_sgpr_dispatch_id 0
		.amdhsa_user_sgpr_kernarg_preload_length 0
		.amdhsa_user_sgpr_kernarg_preload_offset 0
		.amdhsa_user_sgpr_private_segment_size 0
		.amdhsa_uses_dynamic_stack 0
		.amdhsa_enable_private_segment 0
		.amdhsa_system_sgpr_workgroup_id_x 1
		.amdhsa_system_sgpr_workgroup_id_y 0
		.amdhsa_system_sgpr_workgroup_id_z 0
		.amdhsa_system_sgpr_workgroup_info 0
		.amdhsa_system_vgpr_workitem_id 0
		.amdhsa_next_free_vgpr 12
		.amdhsa_next_free_sgpr 31
		.amdhsa_accum_offset 12
		.amdhsa_reserve_vcc 1
		.amdhsa_float_round_mode_32 0
		.amdhsa_float_round_mode_16_64 0
		.amdhsa_float_denorm_mode_32 3
		.amdhsa_float_denorm_mode_16_64 3
		.amdhsa_dx10_clamp 1
		.amdhsa_ieee_mode 1
		.amdhsa_fp16_overflow 0
		.amdhsa_tg_split 0
		.amdhsa_exception_fp_ieee_invalid_op 0
		.amdhsa_exception_fp_denorm_src 0
		.amdhsa_exception_fp_ieee_div_zero 0
		.amdhsa_exception_fp_ieee_overflow 0
		.amdhsa_exception_fp_ieee_underflow 0
		.amdhsa_exception_fp_ieee_inexact 0
		.amdhsa_exception_int_div_zero 0
	.end_amdhsa_kernel
	.section	.text._ZN5aiter30swiglu_act_and_mul_bias_kernelItthfLi1EEEvPT0_PKT_PKT1_PKT2_il,"axG",@progbits,_ZN5aiter30swiglu_act_and_mul_bias_kernelItthfLi1EEEvPT0_PKT_PKT1_PKT2_il,comdat
.Lfunc_end243:
	.size	_ZN5aiter30swiglu_act_and_mul_bias_kernelItthfLi1EEEvPT0_PKT_PKT1_PKT2_il, .Lfunc_end243-_ZN5aiter30swiglu_act_and_mul_bias_kernelItthfLi1EEEvPT0_PKT_PKT1_PKT2_il
                                        ; -- End function
	.section	.AMDGPU.csdata,"",@progbits
; Kernel info:
; codeLenInByte = 752
; NumSgprs: 37
; NumVgprs: 12
; NumAgprs: 0
; TotalNumVgprs: 12
; ScratchSize: 0
; MemoryBound: 0
; FloatMode: 240
; IeeeMode: 1
; LDSByteSize: 0 bytes/workgroup (compile time only)
; SGPRBlocks: 4
; VGPRBlocks: 1
; NumSGPRsForWavesPerEU: 37
; NumVGPRsForWavesPerEU: 12
; AccumOffset: 12
; Occupancy: 8
; WaveLimiterHint : 0
; COMPUTE_PGM_RSRC2:SCRATCH_EN: 0
; COMPUTE_PGM_RSRC2:USER_SGPR: 2
; COMPUTE_PGM_RSRC2:TRAP_HANDLER: 0
; COMPUTE_PGM_RSRC2:TGID_X_EN: 1
; COMPUTE_PGM_RSRC2:TGID_Y_EN: 0
; COMPUTE_PGM_RSRC2:TGID_Z_EN: 0
; COMPUTE_PGM_RSRC2:TIDIG_COMP_CNT: 0
; COMPUTE_PGM_RSRC3_GFX90A:ACCUM_OFFSET: 2
; COMPUTE_PGM_RSRC3_GFX90A:TG_SPLIT: 0
	.section	.text._ZN5aiter30swiglu_act_and_mul_bias_kernelIftafLi16EEEvPT0_PKT_PKT1_PKT2_il,"axG",@progbits,_ZN5aiter30swiglu_act_and_mul_bias_kernelIftafLi16EEEvPT0_PKT_PKT1_PKT2_il,comdat
	.protected	_ZN5aiter30swiglu_act_and_mul_bias_kernelIftafLi16EEEvPT0_PKT_PKT1_PKT2_il ; -- Begin function _ZN5aiter30swiglu_act_and_mul_bias_kernelIftafLi16EEEvPT0_PKT_PKT1_PKT2_il
	.globl	_ZN5aiter30swiglu_act_and_mul_bias_kernelIftafLi16EEEvPT0_PKT_PKT1_PKT2_il
	.p2align	8
	.type	_ZN5aiter30swiglu_act_and_mul_bias_kernelIftafLi16EEEvPT0_PKT_PKT1_PKT2_il,@function
_ZN5aiter30swiglu_act_and_mul_bias_kernelIftafLi16EEEvPT0_PKT_PKT1_PKT2_il: ; @_ZN5aiter30swiglu_act_and_mul_bias_kernelIftafLi16EEEvPT0_PKT_PKT1_PKT2_il
; %bb.0:
	s_load_dwordx2 s[4:5], s[0:1], 0x10
	s_load_dword s58, s[0:1], 0x20
	s_load_dwordx2 s[8:9], s[0:1], 0x28
	v_mov_b32_e32 v1, s2
	s_load_dwordx2 s[10:11], s[0:1], 0x0
	s_waitcnt lgkmcnt(0)
	global_load_ubyte v1, v1, s[4:5]
	s_ashr_i32 s59, s58, 31
	s_mul_hi_u32 s3, s58, s2
	s_mul_i32 s4, s59, s2
	s_add_i32 s13, s3, s4
	s_mov_b32 s5, 0
	s_mul_i32 s12, s58, s2
	v_mov_b64_e32 v[2:3], s[8:9]
	s_lshl_b64 s[8:9], s[12:13], 1
	s_mov_b64 s[6:7], -1
	v_lshlrev_b32_e32 v44, 4, v0
	s_waitcnt vmcnt(0)
	v_readfirstlane_b32 s3, v1
	s_nop 1
	v_mov_b32_e32 v4, s3
	s_sext_i32_i8 s3, s3
	v_readfirstlane_b32 s4, v4
	s_bfe_i64 s[4:5], s[4:5], 0x80000
	s_add_u32 s60, s10, s8
	v_cmp_lt_i64_e32 vcc, s[4:5], v[2:3]
	s_addc_u32 s5, s11, s9
	s_add_i32 s8, s58, 1
	s_lshr_b32 s9, s8, 31
	s_add_i32 s8, s8, s9
	s_and_b32 s61, s5, 0xffff
	s_lshl_b32 s5, s8, 1
	s_and_b32 s62, s5, -4
	s_cmp_gt_i32 s3, -1
	s_cselect_b64 s[8:9], -1, 0
	s_and_b64 s[8:9], s[8:9], vcc
	s_and_b64 vcc, exec, s[8:9]
	s_cbranch_vccnz .LBB244_5
; %bb.1:
	v_cmp_gt_i32_e32 vcc, s58, v44
	s_and_saveexec_b64 s[6:7], vcc
	s_cbranch_execz .LBB244_4
; %bb.2:
	s_load_dword s3, s[0:1], 0x3c
	s_mov_b32 s9, 0
	s_mov_b32 s12, s9
	s_mov_b32 s13, s9
	v_mov_b32_e32 v45, 0
	s_waitcnt lgkmcnt(0)
	s_and_b32 s3, s3, 0xffff
	s_mov_b32 s14, s9
	s_mov_b32 s15, s9
	v_mov_b64_e32 v[2:3], s[12:13]
	v_lshlrev_b32_e32 v1, 5, v0
	s_lshl_b32 s8, s3, 4
	s_lshl_b32 s3, s3, 5
	s_mov_b64 s[10:11], 0
	s_mov_b32 s63, 0x20000
	v_mov_b64_e32 v[4:5], s[14:15]
	v_mov_b64_e32 v[6:7], v[44:45]
.LBB244_3:                              ; =>This Inner Loop Header: Depth=1
	v_lshl_add_u64 v[6:7], s[8:9], 0, v[6:7]
	v_cmp_le_i64_e32 vcc, s[58:59], v[6:7]
	buffer_store_dwordx4 v[2:5], v1, s[60:63], 0 offen
	buffer_store_dwordx4 v[2:5], v1, s[60:63], 16 offen
	s_or_b64 s[10:11], vcc, s[10:11]
	v_add_u32_e32 v1, s3, v1
	s_andn2_b64 exec, exec, s[10:11]
	s_cbranch_execnz .LBB244_3
.LBB244_4:
	s_or_b64 exec, exec, s[6:7]
	s_mov_b64 s[6:7], 0
.LBB244_5:
	s_andn2_b64 vcc, exec, s[6:7]
	s_cbranch_vccnz .LBB244_9
; %bb.6:
	v_cmp_gt_i32_e32 vcc, s58, v44
	s_and_saveexec_b64 s[6:7], vcc
	s_cbranch_execz .LBB244_9
; %bb.7:
	s_load_dwordx2 s[6:7], s[0:1], 0x8
	s_load_dwordx2 s[8:9], s[0:1], 0x18
	s_mul_hi_i32 s5, s58, s4
	s_mul_i32 s4, s58, s4
	s_lshl_b32 s66, s58, 2
	s_lshl_b64 s[4:5], s[4:5], 3
	s_waitcnt lgkmcnt(0)
	s_add_u32 s68, s8, s4
	s_load_dword s10, s[0:1], 0x3c
	s_addc_u32 s3, s9, s5
	s_lshl_b64 s[0:1], s[58:59], 2
	s_add_u32 s64, s68, s0
	s_addc_u32 s4, s3, s1
	s_and_b32 s69, s3, 0xffff
	s_and_b32 s65, s4, 0xffff
	s_mul_i32 s3, s2, s59
	s_mul_hi_u32 s4, s2, s58
	s_add_i32 s3, s4, s3
	s_mul_i32 s2, s2, s58
	s_lshl_b64 s[2:3], s[2:3], 3
	s_add_u32 s72, s6, s2
	s_addc_u32 s2, s7, s3
	s_add_u32 s76, s72, s0
	s_addc_u32 s0, s2, s1
	s_mov_b32 s63, 0x20000
	s_and_b32 s77, s0, 0xffff
	s_waitcnt lgkmcnt(0)
	s_and_b32 s0, s10, 0xffff
	s_mov_b32 s81, 0
	s_mov_b32 s67, s63
	s_and_b32 s73, s2, 0xffff
	v_mov_b32_e32 v45, 0
	s_lshl_b32 s80, s0, 4
	v_lshlrev_b32_e32 v54, 5, v0
	s_lshl_b32 s33, s0, 5
	v_lshlrev_b32_e32 v55, 6, v0
	s_lshl_b32 s84, s0, 6
	s_mov_b64 s[82:83], 0
	s_mov_b32 s74, s66
	s_mov_b32 s75, s63
	;; [unrolled: 1-line block ×5, first 2 shown]
	v_mov_b32_e32 v56, 0x7f800000
	s_mov_b32 s88, 0xc0e00000
	v_mov_b32_e32 v57, 0x40e00000
	s_mov_b32 s89, 0x7060302
	s_mov_b32 s78, s66
	;; [unrolled: 1-line block ×5, first 2 shown]
.LBB244_8:                              ; =>This Inner Loop Header: Depth=1
	buffer_load_dwordx4 v[20:23], v55, s[72:75], 0 offen
	buffer_load_dwordx4 v[24:27], v55, s[68:71], 0 offen
	;; [unrolled: 1-line block ×13, first 2 shown]
	v_lshl_add_u64 v[44:45], s[80:81], 0, v[44:45]
	v_cmp_le_i64_e64 s[52:53], s[58:59], v[44:45]
	s_or_b64 s[82:83], s[52:53], s[82:83]
	s_waitcnt vmcnt(11)
	v_pk_add_f32 v[46:47], v[22:23], v[26:27]
	v_pk_add_f32 v[48:49], v[20:21], v[24:25]
	buffer_load_dwordx4 v[20:23], v55, s[64:67], 16 offen
	buffer_load_dwordx4 v[24:27], v55, s[64:67], 32 offen
	s_waitcnt vmcnt(9)
	v_pk_add_f32 v[42:43], v[38:39], v[42:43]
	v_pk_add_f32 v[40:41], v[36:37], v[40:41]
	buffer_load_dwordx4 v[36:39], v55, s[64:67], 48 offen
	v_pk_add_f32 v[52:53], v[58:59], v[62:63]
	v_pk_add_f32 v[50:51], v[60:61], v[64:65]
	v_add_u32_e32 v55, s84, v55
	s_waitcnt vmcnt(4)
	v_pk_add_f32 v[28:29], v[28:29], v[32:33]
	s_waitcnt vmcnt(3)
	v_pk_add_f32 v[18:19], v[10:11], v[18:19]
	v_pk_add_f32 v[32:33], v[8:9], v[16:17]
	v_med3_f32 v16, v18, s88, v57
	v_med3_f32 v18, v32, s88, v57
	v_pk_add_f32 v[30:31], v[30:31], v[34:35]
	v_min_f32_e32 v11, 0x40e00000, v43
	v_med3_f32 v17, v19, s88, v57
	v_med3_f32 v19, v33, s88, v57
	v_min_f32_e32 v8, 0x40e00000, v40
	v_min_f32_e32 v9, 0x40e00000, v41
	v_mul_f32_e32 v40, 0xbfd9db23, v8
	v_mul_f32_e32 v41, 0xbfd9db23, v9
	;; [unrolled: 1-line block ×3, first 2 shown]
	v_cmp_ngt_f32_e64 s[24:25], s86, v40
	v_cmp_nlt_f32_e64 s[14:15], s87, v40
	v_cmp_ngt_f32_e64 s[26:27], s86, v41
	v_cmp_nlt_f32_e64 s[16:17], s87, v41
	v_min_f32_e32 v10, 0x40e00000, v42
	v_mul_f32_e32 v42, 0xbfd9db23, v10
	v_mul_f32_e32 v61, 0x3fb8aa3b, v42
	v_fma_f32 v62, v42, s85, -v61
	v_fmac_f32_e32 v62, 0x32a5705f, v42
	v_cmp_ngt_f32_e64 s[28:29], s86, v42
	v_cmp_nlt_f32_e64 s[18:19], s87, v42
	s_waitcnt vmcnt(2)
	v_pk_add_f32 v[22:23], v[14:15], v[22:23]
	s_waitcnt vmcnt(1)
	v_pk_add_f32 v[58:59], v[0:1], v[24:25]
	v_min_f32_e32 v0, 0x40e00000, v48
	v_min_f32_e32 v1, 0x40e00000, v49
	v_mul_f32_e32 v32, 0xbfd9db23, v0
	v_pk_add_f32 v[34:35], v[12:13], v[20:21]
	v_pk_add_f32 v[26:27], v[2:3], v[26:27]
	v_min_f32_e32 v2, 0x40e00000, v46
	v_mul_f32_e32 v33, 0xbfd9db23, v1
	v_mul_f32_e32 v43, 0x3fb8aa3b, v32
	v_min_f32_e32 v3, 0x40e00000, v47
	v_med3_f32 v20, v22, s88, v57
	v_med3_f32 v22, v34, s88, v57
	;; [unrolled: 1-line block ×4, first 2 shown]
	v_mul_f32_e32 v34, 0xbfd9db23, v2
	v_mul_f32_e32 v46, 0x3fb8aa3b, v33
	v_fma_f32 v58, v32, s85, -v43
	s_waitcnt vmcnt(0)
	v_pk_add_f32 v[36:37], v[4:5], v[36:37]
	v_min_f32_e32 v4, 0x40e00000, v52
	v_med3_f32 v21, v23, s88, v57
	v_med3_f32 v23, v35, s88, v57
	v_mul_f32_e32 v35, 0xbfd9db23, v3
	v_cmp_ngt_f32_e64 s[42:43], s86, v32
	v_cmp_nlt_f32_e32 vcc, s87, v32
	v_mul_f32_e32 v47, 0x3fb8aa3b, v34
	v_fmac_f32_e32 v58, 0x32a5705f, v32
	v_fma_f32 v32, v33, s85, -v46
	v_min_f32_e32 v5, 0x40e00000, v53
	v_min_f32_e32 v14, 0x40e00000, v30
	v_med3_f32 v30, v36, s88, v57
	v_mul_f32_e32 v36, 0xbfd9db23, v4
	v_cmp_ngt_f32_e64 s[44:45], s86, v33
	v_cmp_nlt_f32_e64 s[0:1], s87, v33
	v_mul_f32_e32 v48, 0x3fb8aa3b, v35
	v_fmac_f32_e32 v32, 0x32a5705f, v33
	v_fma_f32 v33, v34, s85, -v47
	v_pk_add_f32 v[38:39], v[6:7], v[38:39]
	v_min_f32_e32 v6, 0x40e00000, v50
	v_min_f32_e32 v15, 0x40e00000, v31
	v_med3_f32 v31, v37, s88, v57
	v_mul_f32_e32 v37, 0xbfd9db23, v5
	v_cmp_ngt_f32_e64 s[46:47], s86, v34
	v_cmp_nlt_f32_e64 s[2:3], s87, v34
	v_mul_f32_e32 v49, 0x3fb8aa3b, v36
	v_fmac_f32_e32 v33, 0x32a5705f, v34
	v_fma_f32 v34, v35, s85, -v48
	v_min_f32_e32 v7, 0x40e00000, v51
	v_min_f32_e32 v12, 0x40e00000, v28
	v_med3_f32 v28, v38, s88, v57
	v_mul_f32_e32 v38, 0xbfd9db23, v6
	v_cmp_ngt_f32_e64 s[48:49], s86, v35
	v_cmp_nlt_f32_e64 s[4:5], s87, v35
	v_mul_f32_e32 v50, 0x3fb8aa3b, v37
	v_fmac_f32_e32 v34, 0x32a5705f, v35
	v_fma_f32 v35, v36, s85, -v49
	v_min_f32_e32 v13, 0x40e00000, v29
	v_med3_f32 v29, v39, s88, v57
	v_mul_f32_e32 v39, 0xbfd9db23, v7
	v_cmp_ngt_f32_e64 s[50:51], s86, v36
	v_cmp_nlt_f32_e64 s[6:7], s87, v36
	v_mul_f32_e32 v51, 0x3fb8aa3b, v38
	v_fmac_f32_e32 v35, 0x32a5705f, v36
	v_fma_f32 v36, v37, s85, -v50
	v_cmp_ngt_f32_e64 s[40:41], s86, v37
	v_cmp_nlt_f32_e64 s[8:9], s87, v37
	v_mul_f32_e32 v52, 0x3fb8aa3b, v39
	v_fmac_f32_e32 v36, 0x32a5705f, v37
	v_fma_f32 v37, v38, s85, -v51
	v_cmp_ngt_f32_e64 s[20:21], s86, v38
	v_cmp_nlt_f32_e64 s[10:11], s87, v38
	v_mul_f32_e32 v53, 0x3fb8aa3b, v40
	v_fmac_f32_e32 v37, 0x32a5705f, v38
	v_fma_f32 v38, v39, s85, -v52
	v_cmp_ngt_f32_e64 s[22:23], s86, v39
	v_cmp_nlt_f32_e64 s[12:13], s87, v39
	v_fmac_f32_e32 v38, 0x32a5705f, v39
	v_fma_f32 v39, v40, s85, -v53
	v_fmac_f32_e32 v39, 0x32a5705f, v40
	v_fma_f32 v40, v41, s85, -v60
	v_fmac_f32_e32 v40, 0x32a5705f, v41
	v_mul_f32_e32 v41, 0xbfd9db23, v11
	v_mul_f32_e32 v63, 0x3fb8aa3b, v41
	v_fma_f32 v64, v41, s85, -v63
	v_cmp_ngt_f32_e64 s[36:37], s86, v41
	v_cmp_nlt_f32_e64 s[30:31], s87, v41
	v_fmac_f32_e32 v64, 0x32a5705f, v41
	v_mul_f32_e32 v41, 0xbfd9db23, v12
	v_mul_f32_e32 v65, 0x3fb8aa3b, v41
	v_fma_f32 v66, v41, s85, -v65
	v_rndne_f32_e32 v67, v43
	v_cmp_ngt_f32_e64 s[38:39], s86, v41
	v_cmp_nlt_f32_e64 s[34:35], s87, v41
	v_fmac_f32_e32 v66, 0x32a5705f, v41
	v_sub_f32_e32 v41, v43, v67
	v_rndne_f32_e32 v69, v46
	v_add_f32_e32 v68, v41, v58
	v_sub_f32_e32 v41, v46, v69
	v_rndne_f32_e32 v71, v47
	v_add_f32_e32 v70, v41, v32
	;; [unrolled: 3-line block ×5, first 2 shown]
	v_sub_f32_e32 v32, v50, v58
	v_med3_f32 v25, v27, s88, v57
	v_med3_f32 v27, v59, s88, v57
	v_add_f32_e32 v59, v32, v36
	v_rndne_f32_e32 v32, v51
	v_sub_f32_e32 v33, v51, v32
	v_rndne_f32_e32 v34, v52
	v_add_f32_e32 v35, v33, v37
	v_sub_f32_e32 v33, v52, v34
	v_add_f32_e32 v51, v33, v38
	v_rndne_f32_e32 v33, v53
	v_sub_f32_e32 v36, v53, v33
	v_add_f32_e32 v49, v36, v39
	v_rndne_f32_e32 v39, v60
	v_sub_f32_e32 v36, v60, v39
	v_mul_f32_e32 v60, 0xbfd9db23, v13
	v_mul_f32_e32 v43, 0x3fb8aa3b, v60
	v_rndne_f32_e32 v41, v61
	v_fma_f32 v47, v60, s85, -v43
	v_rndne_f32_e32 v48, v43
	v_sub_f32_e32 v37, v61, v41
	v_fmac_f32_e32 v47, 0x32a5705f, v60
	v_sub_f32_e32 v43, v43, v48
	v_mul_f32_e32 v61, 0xbfd9db23, v14
	v_add_f32_e32 v43, v43, v47
	v_mul_f32_e32 v47, 0x3fb8aa3b, v61
	v_fma_f32 v50, v61, s85, -v47
	v_rndne_f32_e32 v52, v47
	v_add_f32_e32 v37, v37, v62
	v_fmac_f32_e32 v50, 0x32a5705f, v61
	v_sub_f32_e32 v47, v47, v52
	v_mul_f32_e32 v62, 0xbfd9db23, v15
	v_rndne_f32_e32 v42, v63
	v_add_f32_e32 v47, v47, v50
	v_mul_f32_e32 v50, 0x3fb8aa3b, v62
	v_sub_f32_e32 v38, v63, v42
	v_fma_f32 v63, v62, s85, -v50
	v_rndne_f32_e32 v53, v50
	v_fmac_f32_e32 v63, 0x32a5705f, v62
	v_sub_f32_e32 v50, v50, v53
	v_add_f32_e32 v38, v38, v64
	v_add_f32_e32 v50, v50, v63
	v_cvt_i32_f32_e32 v63, v67
	v_exp_f32_e32 v64, v68
	v_rndne_f32_e32 v46, v65
	v_add_f32_e32 v36, v36, v40
	v_sub_f32_e32 v40, v65, v46
	v_ldexp_f32 v63, v64, v63
	v_cvt_i32_f32_e32 v64, v69
	v_exp_f32_e32 v65, v70
	v_cvt_i32_f32_e32 v58, v58
	v_exp_f32_e32 v59, v59
	;; [unrolled: 2-line block ×3, first 2 shown]
	v_add_f32_e32 v40, v40, v66
	v_ldexp_f32 v64, v65, v64
	v_cvt_i32_f32_e32 v65, v71
	v_exp_f32_e32 v66, v72
	v_ldexp_f32 v58, v59, v58
	v_ldexp_f32 v59, v35, v32
	v_cvt_i32_f32_e32 v32, v34
	v_exp_f32_e32 v34, v51
	v_ldexp_f32 v65, v66, v65
	v_cvt_i32_f32_e32 v66, v73
	v_exp_f32_e32 v67, v74
	v_cndmask_b32_e64 v51, 0, v58, s[40:41]
	v_ldexp_f32 v58, v34, v32
	v_cvt_i32_f32_e32 v32, v33
	v_exp_f32_e32 v33, v49
	v_ldexp_f32 v66, v67, v66
	v_cvt_i32_f32_e32 v67, v75
	v_exp_f32_e32 v68, v76
	v_ldexp_f32 v49, v33, v32
	v_pk_add_f32 v[32:33], v[16:17], 1.0 op_sel_hi:[1,0]
	v_pk_add_f32 v[16:17], v[22:23], 1.0 op_sel_hi:[1,0]
	;; [unrolled: 1-line block ×5, first 2 shown]
	v_cvt_i32_f32_e32 v28, v39
	v_cvt_i32_f32_e32 v29, v41
	;; [unrolled: 1-line block ×7, first 2 shown]
	v_exp_f32_e32 v36, v36
	v_exp_f32_e32 v37, v37
	;; [unrolled: 1-line block ×7, first 2 shown]
	v_ldexp_f32 v67, v68, v67
	v_cmp_ngt_f32_e64 s[52:53], s86, v60
	v_cmp_nlt_f32_e64 s[54:55], s87, v60
	v_cndmask_b32_e64 v60, 0, v63, s[42:43]
	v_cmp_ngt_f32_e64 s[56:57], s86, v61
	v_cndmask_b32_e64 v63, 0, v64, s[44:45]
	v_cmp_nlt_f32_e64 s[42:43], s87, v61
	v_cndmask_b32_e64 v61, 0, v65, s[46:47]
	v_cmp_ngt_f32_e64 s[46:47], s86, v62
	v_cndmask_b32_e64 v64, 0, v66, s[48:49]
	v_cmp_nlt_f32_e64 s[44:45], s87, v62
	v_cndmask_b32_e64 v62, 0, v67, s[50:51]
	v_ldexp_f32 v28, v36, v28
	v_ldexp_f32 v29, v37, v29
	;; [unrolled: 1-line block ×7, first 2 shown]
	v_cndmask_b32_e64 v39, 0, v59, s[20:21]
	v_cndmask_b32_e64 v40, 0, v58, s[22:23]
	;; [unrolled: 1-line block ×10, first 2 shown]
	v_cndmask_b32_e32 v42, v56, v60, vcc
	v_cndmask_b32_e64 v43, v56, v63, s[0:1]
	v_cndmask_b32_e64 v46, v56, v61, s[2:3]
	;; [unrolled: 1-line block ×15, first 2 shown]
	v_add_f32_e32 v42, 1.0, v42
	v_add_f32_e32 v43, 1.0, v43
	;; [unrolled: 1-line block ×16, first 2 shown]
	v_rcp_f32_e32 v28, v42
	v_rcp_f32_e32 v29, v43
	;; [unrolled: 1-line block ×16, first 2 shown]
	v_pk_add_f32 v[20:21], v[20:21], 1.0 op_sel_hi:[1,0]
	v_pk_mul_f32 v[0:1], v[0:1], v[28:29]
	v_pk_mul_f32 v[2:3], v[2:3], v[30:31]
	;; [unrolled: 1-line block ×4, first 2 shown]
	v_pk_add_f32 v[24:25], v[24:25], 1.0 op_sel_hi:[1,0]
	v_pk_add_f32 v[26:27], v[26:27], 1.0 op_sel_hi:[1,0]
	v_pk_mul_f32 v[8:9], v[8:9], v[40:41]
	v_pk_mul_f32 v[10:11], v[10:11], v[42:43]
	;; [unrolled: 1-line block ×12, first 2 shown]
	v_perm_b32 v3, v3, v2, s89
	v_perm_b32 v1, v29, v28, s89
	;; [unrolled: 1-line block ×8, first 2 shown]
	buffer_store_dwordx4 v[0:3], v54, s[60:63], 0 offen
	buffer_store_dwordx4 v[4:7], v54, s[60:63], 16 offen
	v_add_u32_e32 v54, s33, v54
	s_andn2_b64 exec, exec, s[82:83]
	s_cbranch_execnz .LBB244_8
.LBB244_9:
	s_endpgm
	.section	.rodata,"a",@progbits
	.p2align	6, 0x0
	.amdhsa_kernel _ZN5aiter30swiglu_act_and_mul_bias_kernelIftafLi16EEEvPT0_PKT_PKT1_PKT2_il
		.amdhsa_group_segment_fixed_size 0
		.amdhsa_private_segment_fixed_size 0
		.amdhsa_kernarg_size 304
		.amdhsa_user_sgpr_count 2
		.amdhsa_user_sgpr_dispatch_ptr 0
		.amdhsa_user_sgpr_queue_ptr 0
		.amdhsa_user_sgpr_kernarg_segment_ptr 1
		.amdhsa_user_sgpr_dispatch_id 0
		.amdhsa_user_sgpr_kernarg_preload_length 0
		.amdhsa_user_sgpr_kernarg_preload_offset 0
		.amdhsa_user_sgpr_private_segment_size 0
		.amdhsa_uses_dynamic_stack 0
		.amdhsa_enable_private_segment 0
		.amdhsa_system_sgpr_workgroup_id_x 1
		.amdhsa_system_sgpr_workgroup_id_y 0
		.amdhsa_system_sgpr_workgroup_id_z 0
		.amdhsa_system_sgpr_workgroup_info 0
		.amdhsa_system_vgpr_workitem_id 0
		.amdhsa_next_free_vgpr 77
		.amdhsa_next_free_sgpr 90
		.amdhsa_accum_offset 80
		.amdhsa_reserve_vcc 1
		.amdhsa_float_round_mode_32 0
		.amdhsa_float_round_mode_16_64 0
		.amdhsa_float_denorm_mode_32 3
		.amdhsa_float_denorm_mode_16_64 3
		.amdhsa_dx10_clamp 1
		.amdhsa_ieee_mode 1
		.amdhsa_fp16_overflow 0
		.amdhsa_tg_split 0
		.amdhsa_exception_fp_ieee_invalid_op 0
		.amdhsa_exception_fp_denorm_src 0
		.amdhsa_exception_fp_ieee_div_zero 0
		.amdhsa_exception_fp_ieee_overflow 0
		.amdhsa_exception_fp_ieee_underflow 0
		.amdhsa_exception_fp_ieee_inexact 0
		.amdhsa_exception_int_div_zero 0
	.end_amdhsa_kernel
	.section	.text._ZN5aiter30swiglu_act_and_mul_bias_kernelIftafLi16EEEvPT0_PKT_PKT1_PKT2_il,"axG",@progbits,_ZN5aiter30swiglu_act_and_mul_bias_kernelIftafLi16EEEvPT0_PKT_PKT1_PKT2_il,comdat
.Lfunc_end244:
	.size	_ZN5aiter30swiglu_act_and_mul_bias_kernelIftafLi16EEEvPT0_PKT_PKT1_PKT2_il, .Lfunc_end244-_ZN5aiter30swiglu_act_and_mul_bias_kernelIftafLi16EEEvPT0_PKT_PKT1_PKT2_il
                                        ; -- End function
	.section	.AMDGPU.csdata,"",@progbits
; Kernel info:
; codeLenInByte = 3056
; NumSgprs: 96
; NumVgprs: 77
; NumAgprs: 0
; TotalNumVgprs: 77
; ScratchSize: 0
; MemoryBound: 0
; FloatMode: 240
; IeeeMode: 1
; LDSByteSize: 0 bytes/workgroup (compile time only)
; SGPRBlocks: 11
; VGPRBlocks: 9
; NumSGPRsForWavesPerEU: 96
; NumVGPRsForWavesPerEU: 77
; AccumOffset: 80
; Occupancy: 6
; WaveLimiterHint : 0
; COMPUTE_PGM_RSRC2:SCRATCH_EN: 0
; COMPUTE_PGM_RSRC2:USER_SGPR: 2
; COMPUTE_PGM_RSRC2:TRAP_HANDLER: 0
; COMPUTE_PGM_RSRC2:TGID_X_EN: 1
; COMPUTE_PGM_RSRC2:TGID_Y_EN: 0
; COMPUTE_PGM_RSRC2:TGID_Z_EN: 0
; COMPUTE_PGM_RSRC2:TIDIG_COMP_CNT: 0
; COMPUTE_PGM_RSRC3_GFX90A:ACCUM_OFFSET: 19
; COMPUTE_PGM_RSRC3_GFX90A:TG_SPLIT: 0
	.section	.text._ZN5aiter30swiglu_act_and_mul_bias_kernelIftafLi8EEEvPT0_PKT_PKT1_PKT2_il,"axG",@progbits,_ZN5aiter30swiglu_act_and_mul_bias_kernelIftafLi8EEEvPT0_PKT_PKT1_PKT2_il,comdat
	.protected	_ZN5aiter30swiglu_act_and_mul_bias_kernelIftafLi8EEEvPT0_PKT_PKT1_PKT2_il ; -- Begin function _ZN5aiter30swiglu_act_and_mul_bias_kernelIftafLi8EEEvPT0_PKT_PKT1_PKT2_il
	.globl	_ZN5aiter30swiglu_act_and_mul_bias_kernelIftafLi8EEEvPT0_PKT_PKT1_PKT2_il
	.p2align	8
	.type	_ZN5aiter30swiglu_act_and_mul_bias_kernelIftafLi8EEEvPT0_PKT_PKT1_PKT2_il,@function
_ZN5aiter30swiglu_act_and_mul_bias_kernelIftafLi8EEEvPT0_PKT_PKT1_PKT2_il: ; @_ZN5aiter30swiglu_act_and_mul_bias_kernelIftafLi8EEEvPT0_PKT_PKT1_PKT2_il
; %bb.0:
	s_load_dwordx2 s[4:5], s[0:1], 0x10
	s_load_dword s14, s[0:1], 0x20
	s_load_dwordx2 s[8:9], s[0:1], 0x28
	v_mov_b32_e32 v1, s2
	s_load_dwordx2 s[10:11], s[0:1], 0x0
	s_waitcnt lgkmcnt(0)
	global_load_ubyte v1, v1, s[4:5]
	s_ashr_i32 s15, s14, 31
	s_mul_hi_u32 s3, s14, s2
	s_mul_i32 s4, s15, s2
	s_add_i32 s13, s3, s4
	s_mov_b32 s5, 0
	s_mul_i32 s12, s14, s2
	v_mov_b64_e32 v[2:3], s[8:9]
	s_lshl_b64 s[8:9], s[12:13], 1
	s_mov_b64 s[6:7], -1
	v_lshlrev_b32_e32 v32, 3, v0
	s_waitcnt vmcnt(0)
	v_readfirstlane_b32 s3, v1
	s_nop 1
	v_mov_b32_e32 v4, s3
	s_sext_i32_i8 s3, s3
	v_readfirstlane_b32 s4, v4
	s_bfe_i64 s[4:5], s[4:5], 0x80000
	s_add_u32 s16, s10, s8
	v_cmp_lt_i64_e32 vcc, s[4:5], v[2:3]
	s_addc_u32 s5, s11, s9
	s_add_i32 s8, s14, 1
	s_lshr_b32 s9, s8, 31
	s_add_i32 s8, s8, s9
	s_and_b32 s17, s5, 0xffff
	s_lshl_b32 s5, s8, 1
	s_and_b32 s18, s5, -4
	s_cmp_gt_i32 s3, -1
	s_cselect_b64 s[8:9], -1, 0
	s_and_b64 s[8:9], s[8:9], vcc
	s_and_b64 vcc, exec, s[8:9]
	s_cbranch_vccnz .LBB245_5
; %bb.1:
	v_cmp_gt_i32_e32 vcc, s14, v32
	s_and_saveexec_b64 s[6:7], vcc
	s_cbranch_execz .LBB245_4
; %bb.2:
	s_load_dword s3, s[0:1], 0x3c
	v_mov_b32_e32 v33, 0
	s_mov_b32 s9, 0
	v_lshlrev_b32_e32 v1, 4, v0
	s_mov_b64 s[10:11], 0
	s_waitcnt lgkmcnt(0)
	s_and_b32 s3, s3, 0xffff
	s_lshl_b32 s8, s3, 3
	s_lshl_b32 s3, s3, 4
	s_mov_b32 s19, 0x20000
	v_mov_b32_e32 v2, v33
	v_mov_b32_e32 v3, v33
	v_mov_b32_e32 v4, v33
	v_mov_b32_e32 v5, v33
	v_mov_b64_e32 v[6:7], v[32:33]
.LBB245_3:                              ; =>This Inner Loop Header: Depth=1
	v_lshl_add_u64 v[6:7], s[8:9], 0, v[6:7]
	v_cmp_le_i64_e32 vcc, s[14:15], v[6:7]
	buffer_store_dwordx4 v[2:5], v1, s[16:19], 0 offen
	s_or_b64 s[10:11], vcc, s[10:11]
	v_add_u32_e32 v1, s3, v1
	s_andn2_b64 exec, exec, s[10:11]
	s_cbranch_execnz .LBB245_3
.LBB245_4:
	s_or_b64 exec, exec, s[6:7]
	s_mov_b64 s[6:7], 0
.LBB245_5:
	s_andn2_b64 vcc, exec, s[6:7]
	s_cbranch_vccnz .LBB245_9
; %bb.6:
	v_cmp_gt_i32_e32 vcc, s14, v32
	s_and_saveexec_b64 s[6:7], vcc
	s_cbranch_execz .LBB245_9
; %bb.7:
	s_load_dwordx2 s[6:7], s[0:1], 0x8
	s_load_dwordx2 s[8:9], s[0:1], 0x18
	s_mul_hi_i32 s5, s14, s4
	s_mul_i32 s4, s14, s4
	s_lshl_b32 s22, s14, 2
	s_lshl_b64 s[4:5], s[4:5], 3
	s_waitcnt lgkmcnt(0)
	s_add_u32 s24, s8, s4
	s_load_dword s10, s[0:1], 0x3c
	s_addc_u32 s3, s9, s5
	s_lshl_b64 s[0:1], s[14:15], 2
	s_add_u32 s20, s24, s0
	s_addc_u32 s4, s3, s1
	s_and_b32 s25, s3, 0xffff
	s_and_b32 s21, s4, 0xffff
	s_mul_i32 s3, s2, s15
	s_mul_hi_u32 s4, s2, s14
	s_add_i32 s3, s4, s3
	s_mul_i32 s2, s2, s14
	s_lshl_b64 s[2:3], s[2:3], 3
	s_add_u32 s28, s6, s2
	s_addc_u32 s2, s7, s3
	s_add_u32 s36, s28, s0
	s_addc_u32 s0, s2, s1
	s_mov_b32 s19, 0x20000
	s_and_b32 s37, s0, 0xffff
	s_waitcnt lgkmcnt(0)
	s_and_b32 s0, s10, 0xffff
	s_mov_b32 s35, 0
	s_mov_b32 s23, s19
	s_and_b32 s29, s2, 0xffff
	v_mov_b32_e32 v33, 0
	s_lshl_b32 s34, s0, 3
	v_lshlrev_b32_e32 v34, 4, v0
	s_lshl_b32 s33, s0, 4
	v_lshlrev_b32_e32 v35, 5, v0
	s_lshl_b32 s42, s0, 5
	s_mov_b64 s[40:41], 0
	s_mov_b32 s30, s22
	s_mov_b32 s31, s19
	;; [unrolled: 1-line block ×5, first 2 shown]
	v_mov_b32_e32 v36, 0x7f800000
	s_mov_b32 s46, 0xc0e00000
	v_mov_b32_e32 v37, 0x40e00000
	s_mov_b32 s47, 0x7060302
	s_mov_b32 s38, s22
	;; [unrolled: 1-line block ×5, first 2 shown]
.LBB245_8:                              ; =>This Inner Loop Header: Depth=1
	buffer_load_dwordx4 v[0:3], v35, s[28:31], 0 offen
	buffer_load_dwordx4 v[4:7], v35, s[28:31], 16 offen
	;; [unrolled: 1-line block ×8, first 2 shown]
	v_lshl_add_u64 v[32:33], s[34:35], 0, v[32:33]
	v_cmp_le_i64_e32 vcc, s[14:15], v[32:33]
	s_or_b64 s[40:41], vcc, s[40:41]
	v_add_u32_e32 v35, s42, v35
	s_waitcnt vmcnt(5)
	v_pk_add_f32 v[2:3], v[2:3], v[18:19]
	v_pk_add_f32 v[0:1], v[0:1], v[16:17]
	s_waitcnt vmcnt(4)
	v_pk_add_f32 v[6:7], v[6:7], v[22:23]
	v_pk_add_f32 v[4:5], v[4:5], v[20:21]
	s_waitcnt vmcnt(1)
	v_pk_add_f32 v[10:11], v[10:11], v[26:27]
	s_waitcnt vmcnt(0)
	v_pk_add_f32 v[14:15], v[14:15], v[30:31]
	v_pk_add_f32 v[8:9], v[8:9], v[24:25]
	;; [unrolled: 1-line block ×3, first 2 shown]
	v_min_f32_e32 v1, 0x40e00000, v1
	v_min_f32_e32 v0, 0x40e00000, v0
	;; [unrolled: 1-line block ×8, first 2 shown]
	v_med3_f32 v11, v11, s46, v37
	v_med3_f32 v10, v10, s46, v37
	;; [unrolled: 1-line block ×8, first 2 shown]
	v_mul_f32_e32 v18, 0xbfd9db23, v0
	v_mul_f32_e32 v19, 0xbfd9db23, v1
	;; [unrolled: 1-line block ×8, first 2 shown]
	v_pk_add_f32 v[8:9], v[14:15], 1.0 op_sel_hi:[1,0]
	v_pk_add_f32 v[14:15], v[10:11], 1.0 op_sel_hi:[1,0]
	;; [unrolled: 1-line block ×4, first 2 shown]
	v_mul_f32_e32 v16, 0x3fb8aa3b, v18
	v_mul_f32_e32 v17, 0x3fb8aa3b, v19
	;; [unrolled: 1-line block ×8, first 2 shown]
	v_fma_f32 v38, v18, s43, -v16
	v_rndne_f32_e32 v39, v16
	v_fma_f32 v40, v19, s43, -v17
	v_rndne_f32_e32 v41, v17
	;; [unrolled: 2-line block ×8, first 2 shown]
	v_fmac_f32_e32 v38, 0x32a5705f, v18
	v_sub_f32_e32 v16, v16, v39
	v_fmac_f32_e32 v40, 0x32a5705f, v19
	v_sub_f32_e32 v17, v17, v41
	;; [unrolled: 2-line block ×8, first 2 shown]
	v_add_f32_e32 v16, v16, v38
	v_add_f32_e32 v17, v17, v40
	;; [unrolled: 1-line block ×8, first 2 shown]
	v_cvt_i32_f32_e32 v39, v39
	v_cvt_i32_f32_e32 v41, v41
	;; [unrolled: 1-line block ×8, first 2 shown]
	v_exp_f32_e32 v16, v16
	v_exp_f32_e32 v17, v17
	;; [unrolled: 1-line block ×8, first 2 shown]
	v_ldexp_f32 v16, v16, v39
	v_ldexp_f32 v17, v17, v41
	v_cmp_ngt_f32_e32 vcc, s44, v19
	v_ldexp_f32 v26, v26, v43
	v_cmp_ngt_f32_e64 s[0:1], s44, v20
	v_ldexp_f32 v27, v27, v45
	v_cmp_ngt_f32_e64 s[2:3], s44, v21
	;; [unrolled: 2-line block ×6, first 2 shown]
	v_cmp_ngt_f32_e64 s[12:13], s44, v18
	v_cndmask_b32_e32 v17, 0, v17, vcc
	v_cmp_nlt_f32_e32 vcc, s45, v19
	v_cndmask_b32_e64 v16, 0, v16, s[12:13]
	v_cndmask_b32_e64 v19, 0, v26, s[0:1]
	v_cmp_nlt_f32_e64 s[0:1], s45, v20
	v_cndmask_b32_e64 v20, 0, v27, s[2:3]
	v_cmp_nlt_f32_e64 s[2:3], s45, v21
	;; [unrolled: 2-line block ×6, first 2 shown]
	v_cmp_nlt_f32_e64 s[12:13], s45, v18
	v_cndmask_b32_e32 v17, v36, v17, vcc
	v_cndmask_b32_e64 v18, v36, v19, s[0:1]
	v_cndmask_b32_e64 v16, v36, v16, s[12:13]
	;; [unrolled: 1-line block ×7, first 2 shown]
	v_add_f32_e32 v16, 1.0, v16
	v_add_f32_e32 v17, 1.0, v17
	;; [unrolled: 1-line block ×8, first 2 shown]
	v_rcp_f32_e32 v16, v16
	v_rcp_f32_e32 v17, v17
	;; [unrolled: 1-line block ×8, first 2 shown]
	v_pk_mul_f32 v[0:1], v[0:1], v[16:17]
	v_pk_mul_f32 v[2:3], v[2:3], v[18:19]
	;; [unrolled: 1-line block ×8, first 2 shown]
	v_perm_b32 v3, v3, v2, s47
	v_perm_b32 v1, v15, v14, s47
	;; [unrolled: 1-line block ×4, first 2 shown]
	buffer_store_dwordx4 v[0:3], v34, s[16:19], 0 offen
	v_add_u32_e32 v34, s33, v34
	s_andn2_b64 exec, exec, s[40:41]
	s_cbranch_execnz .LBB245_8
.LBB245_9:
	s_endpgm
	.section	.rodata,"a",@progbits
	.p2align	6, 0x0
	.amdhsa_kernel _ZN5aiter30swiglu_act_and_mul_bias_kernelIftafLi8EEEvPT0_PKT_PKT1_PKT2_il
		.amdhsa_group_segment_fixed_size 0
		.amdhsa_private_segment_fixed_size 0
		.amdhsa_kernarg_size 304
		.amdhsa_user_sgpr_count 2
		.amdhsa_user_sgpr_dispatch_ptr 0
		.amdhsa_user_sgpr_queue_ptr 0
		.amdhsa_user_sgpr_kernarg_segment_ptr 1
		.amdhsa_user_sgpr_dispatch_id 0
		.amdhsa_user_sgpr_kernarg_preload_length 0
		.amdhsa_user_sgpr_kernarg_preload_offset 0
		.amdhsa_user_sgpr_private_segment_size 0
		.amdhsa_uses_dynamic_stack 0
		.amdhsa_enable_private_segment 0
		.amdhsa_system_sgpr_workgroup_id_x 1
		.amdhsa_system_sgpr_workgroup_id_y 0
		.amdhsa_system_sgpr_workgroup_id_z 0
		.amdhsa_system_sgpr_workgroup_info 0
		.amdhsa_system_vgpr_workitem_id 0
		.amdhsa_next_free_vgpr 54
		.amdhsa_next_free_sgpr 48
		.amdhsa_accum_offset 56
		.amdhsa_reserve_vcc 1
		.amdhsa_float_round_mode_32 0
		.amdhsa_float_round_mode_16_64 0
		.amdhsa_float_denorm_mode_32 3
		.amdhsa_float_denorm_mode_16_64 3
		.amdhsa_dx10_clamp 1
		.amdhsa_ieee_mode 1
		.amdhsa_fp16_overflow 0
		.amdhsa_tg_split 0
		.amdhsa_exception_fp_ieee_invalid_op 0
		.amdhsa_exception_fp_denorm_src 0
		.amdhsa_exception_fp_ieee_div_zero 0
		.amdhsa_exception_fp_ieee_overflow 0
		.amdhsa_exception_fp_ieee_underflow 0
		.amdhsa_exception_fp_ieee_inexact 0
		.amdhsa_exception_int_div_zero 0
	.end_amdhsa_kernel
	.section	.text._ZN5aiter30swiglu_act_and_mul_bias_kernelIftafLi8EEEvPT0_PKT_PKT1_PKT2_il,"axG",@progbits,_ZN5aiter30swiglu_act_and_mul_bias_kernelIftafLi8EEEvPT0_PKT_PKT1_PKT2_il,comdat
.Lfunc_end245:
	.size	_ZN5aiter30swiglu_act_and_mul_bias_kernelIftafLi8EEEvPT0_PKT_PKT1_PKT2_il, .Lfunc_end245-_ZN5aiter30swiglu_act_and_mul_bias_kernelIftafLi8EEEvPT0_PKT_PKT1_PKT2_il
                                        ; -- End function
	.section	.AMDGPU.csdata,"",@progbits
; Kernel info:
; codeLenInByte = 1824
; NumSgprs: 54
; NumVgprs: 54
; NumAgprs: 0
; TotalNumVgprs: 54
; ScratchSize: 0
; MemoryBound: 0
; FloatMode: 240
; IeeeMode: 1
; LDSByteSize: 0 bytes/workgroup (compile time only)
; SGPRBlocks: 6
; VGPRBlocks: 6
; NumSGPRsForWavesPerEU: 54
; NumVGPRsForWavesPerEU: 54
; AccumOffset: 56
; Occupancy: 8
; WaveLimiterHint : 0
; COMPUTE_PGM_RSRC2:SCRATCH_EN: 0
; COMPUTE_PGM_RSRC2:USER_SGPR: 2
; COMPUTE_PGM_RSRC2:TRAP_HANDLER: 0
; COMPUTE_PGM_RSRC2:TGID_X_EN: 1
; COMPUTE_PGM_RSRC2:TGID_Y_EN: 0
; COMPUTE_PGM_RSRC2:TGID_Z_EN: 0
; COMPUTE_PGM_RSRC2:TIDIG_COMP_CNT: 0
; COMPUTE_PGM_RSRC3_GFX90A:ACCUM_OFFSET: 13
; COMPUTE_PGM_RSRC3_GFX90A:TG_SPLIT: 0
	.section	.text._ZN5aiter30swiglu_act_and_mul_bias_kernelIftafLi4EEEvPT0_PKT_PKT1_PKT2_il,"axG",@progbits,_ZN5aiter30swiglu_act_and_mul_bias_kernelIftafLi4EEEvPT0_PKT_PKT1_PKT2_il,comdat
	.protected	_ZN5aiter30swiglu_act_and_mul_bias_kernelIftafLi4EEEvPT0_PKT_PKT1_PKT2_il ; -- Begin function _ZN5aiter30swiglu_act_and_mul_bias_kernelIftafLi4EEEvPT0_PKT_PKT1_PKT2_il
	.globl	_ZN5aiter30swiglu_act_and_mul_bias_kernelIftafLi4EEEvPT0_PKT_PKT1_PKT2_il
	.p2align	8
	.type	_ZN5aiter30swiglu_act_and_mul_bias_kernelIftafLi4EEEvPT0_PKT_PKT1_PKT2_il,@function
_ZN5aiter30swiglu_act_and_mul_bias_kernelIftafLi4EEEvPT0_PKT_PKT1_PKT2_il: ; @_ZN5aiter30swiglu_act_and_mul_bias_kernelIftafLi4EEEvPT0_PKT_PKT1_PKT2_il
; %bb.0:
	s_load_dwordx2 s[4:5], s[0:1], 0x10
	s_load_dword s6, s[0:1], 0x20
	s_load_dwordx2 s[8:9], s[0:1], 0x28
	v_mov_b32_e32 v1, s2
	s_load_dwordx2 s[10:11], s[0:1], 0x0
	s_waitcnt lgkmcnt(0)
	global_load_ubyte v1, v1, s[4:5]
	s_ashr_i32 s7, s6, 31
	s_mul_hi_u32 s3, s6, s2
	s_mul_i32 s4, s7, s2
	s_add_i32 s15, s3, s4
	s_mov_b32 s5, 0
	s_mul_i32 s14, s6, s2
	v_mov_b64_e32 v[2:3], s[8:9]
	s_lshl_b64 s[8:9], s[14:15], 1
	s_mov_b64 s[12:13], -1
	v_lshlrev_b32_e32 v16, 2, v0
	s_waitcnt vmcnt(0)
	v_readfirstlane_b32 s3, v1
	s_nop 1
	v_mov_b32_e32 v4, s3
	s_sext_i32_i8 s3, s3
	v_readfirstlane_b32 s4, v4
	s_bfe_i64 s[4:5], s[4:5], 0x80000
	s_add_u32 s8, s10, s8
	v_cmp_lt_i64_e32 vcc, s[4:5], v[2:3]
	s_addc_u32 s5, s11, s9
	s_add_i32 s10, s6, 1
	s_lshr_b32 s11, s10, 31
	s_add_i32 s10, s10, s11
	s_and_b32 s9, s5, 0xffff
	s_lshl_b32 s5, s10, 1
	s_and_b32 s10, s5, -4
	s_cmp_gt_i32 s3, -1
	s_cselect_b64 s[14:15], -1, 0
	s_and_b64 s[14:15], s[14:15], vcc
	s_and_b64 vcc, exec, s[14:15]
	s_cbranch_vccnz .LBB246_5
; %bb.1:
	v_cmp_gt_i32_e32 vcc, s6, v16
	s_and_saveexec_b64 s[12:13], vcc
	s_cbranch_execz .LBB246_4
; %bb.2:
	s_load_dword s3, s[0:1], 0x3c
	v_mov_b32_e32 v17, 0
	s_mov_b32 s15, 0
	v_lshlrev_b32_e32 v1, 3, v0
	s_mov_b64 s[16:17], 0
	s_waitcnt lgkmcnt(0)
	s_and_b32 s3, s3, 0xffff
	s_lshl_b32 s14, s3, 2
	s_lshl_b32 s3, s3, 3
	s_mov_b32 s11, 0x20000
	v_mov_b32_e32 v2, v17
	v_mov_b32_e32 v3, v17
	v_mov_b64_e32 v[4:5], v[16:17]
.LBB246_3:                              ; =>This Inner Loop Header: Depth=1
	v_lshl_add_u64 v[4:5], s[14:15], 0, v[4:5]
	v_cmp_le_i64_e32 vcc, s[6:7], v[4:5]
	buffer_store_dwordx2 v[2:3], v1, s[8:11], 0 offen
	s_or_b64 s[16:17], vcc, s[16:17]
	v_add_u32_e32 v1, s3, v1
	s_andn2_b64 exec, exec, s[16:17]
	s_cbranch_execnz .LBB246_3
.LBB246_4:
	s_or_b64 exec, exec, s[12:13]
	s_mov_b64 s[12:13], 0
.LBB246_5:
	s_andn2_b64 vcc, exec, s[12:13]
	s_cbranch_vccnz .LBB246_9
; %bb.6:
	v_cmp_gt_i32_e32 vcc, s6, v16
	s_and_saveexec_b64 s[12:13], vcc
	s_cbranch_execz .LBB246_9
; %bb.7:
	s_load_dwordx2 s[18:19], s[0:1], 0x8
	s_load_dwordx2 s[12:13], s[0:1], 0x18
	s_mul_hi_i32 s5, s6, s4
	s_mul_i32 s4, s6, s4
	s_lshl_b32 s14, s6, 2
	s_lshl_b64 s[4:5], s[4:5], 3
	s_waitcnt lgkmcnt(0)
	s_add_u32 s16, s12, s4
	s_load_dword s22, s[0:1], 0x3c
	s_addc_u32 s3, s13, s5
	s_lshl_b64 s[0:1], s[6:7], 2
	s_add_u32 s12, s16, s0
	s_addc_u32 s4, s3, s1
	s_and_b32 s17, s3, 0xffff
	s_and_b32 s13, s4, 0xffff
	s_mul_i32 s3, s2, s7
	s_mul_hi_u32 s4, s2, s6
	s_add_i32 s3, s4, s3
	s_mul_i32 s2, s2, s6
	s_lshl_b64 s[2:3], s[2:3], 3
	s_add_u32 s20, s18, s2
	s_addc_u32 s2, s19, s3
	s_add_u32 s24, s20, s0
	s_addc_u32 s0, s2, s1
	s_mov_b32 s11, 0x20000
	s_and_b32 s25, s0, 0xffff
	s_waitcnt lgkmcnt(0)
	s_and_b32 s0, s22, 0xffff
	s_mov_b32 s29, 0
	s_mov_b32 s15, s11
	s_and_b32 s21, s2, 0xffff
	v_mov_b32_e32 v17, 0
	s_lshl_b32 s28, s0, 2
	v_lshlrev_b32_e32 v18, 3, v0
	s_lshl_b32 s33, s0, 3
	v_lshlrev_b32_e32 v19, 4, v0
	s_lshl_b32 s34, s0, 4
	s_mov_b64 s[30:31], 0
	s_mov_b32 s22, s14
	s_mov_b32 s23, s11
	;; [unrolled: 1-line block ×5, first 2 shown]
	v_mov_b32_e32 v20, 0x7f800000
	s_mov_b32 s38, 0xc0e00000
	v_mov_b32_e32 v21, 0x40e00000
	s_mov_b32 s39, 0x7060302
	s_mov_b32 s26, s14
	;; [unrolled: 1-line block ×5, first 2 shown]
.LBB246_8:                              ; =>This Inner Loop Header: Depth=1
	buffer_load_dwordx4 v[4:7], v19, s[16:19], 0 offen
	buffer_load_dwordx4 v[8:11], v19, s[20:23], 0 offen
	;; [unrolled: 1-line block ×4, first 2 shown]
	v_lshl_add_u64 v[16:17], s[28:29], 0, v[16:17]
	v_cmp_le_i64_e32 vcc, s[6:7], v[16:17]
	s_or_b64 s[30:31], vcc, s[30:31]
	v_add_u32_e32 v19, s34, v19
	s_waitcnt vmcnt(2)
	v_pk_add_f32 v[6:7], v[10:11], v[6:7]
	v_pk_add_f32 v[4:5], v[8:9], v[4:5]
	v_min_f32_e32 v7, 0x40e00000, v7
	v_min_f32_e32 v5, 0x40e00000, v5
	;; [unrolled: 1-line block ×4, first 2 shown]
	v_mul_f32_e32 v8, 0xbfd9db23, v4
	v_mul_f32_e32 v9, 0xbfd9db23, v5
	;; [unrolled: 1-line block ×4, first 2 shown]
	s_waitcnt vmcnt(0)
	v_pk_add_f32 v[2:3], v[2:3], v[14:15]
	v_pk_add_f32 v[0:1], v[0:1], v[12:13]
	v_mul_f32_e32 v12, 0x3fb8aa3b, v8
	v_mul_f32_e32 v13, 0x3fb8aa3b, v9
	v_mul_f32_e32 v14, 0x3fb8aa3b, v10
	v_mul_f32_e32 v15, 0x3fb8aa3b, v11
	v_fma_f32 v22, v8, s35, -v12
	v_rndne_f32_e32 v23, v12
	v_fma_f32 v24, v9, s35, -v13
	v_rndne_f32_e32 v25, v13
	;; [unrolled: 2-line block ×4, first 2 shown]
	v_fmac_f32_e32 v22, 0x32a5705f, v8
	v_sub_f32_e32 v12, v12, v23
	v_fmac_f32_e32 v24, 0x32a5705f, v9
	v_sub_f32_e32 v13, v13, v25
	;; [unrolled: 2-line block ×4, first 2 shown]
	v_add_f32_e32 v12, v12, v22
	v_add_f32_e32 v13, v13, v24
	;; [unrolled: 1-line block ×4, first 2 shown]
	v_cvt_i32_f32_e32 v23, v23
	v_cvt_i32_f32_e32 v25, v25
	;; [unrolled: 1-line block ×4, first 2 shown]
	v_exp_f32_e32 v12, v12
	v_exp_f32_e32 v13, v13
	;; [unrolled: 1-line block ×4, first 2 shown]
	v_ldexp_f32 v12, v12, v23
	v_ldexp_f32 v13, v13, v25
	v_cmp_ngt_f32_e32 vcc, s36, v9
	v_ldexp_f32 v14, v14, v27
	v_cmp_ngt_f32_e64 s[0:1], s36, v10
	v_ldexp_f32 v15, v15, v29
	v_cmp_ngt_f32_e64 s[2:3], s36, v11
	v_cmp_ngt_f32_e64 s[4:5], s36, v8
	v_cndmask_b32_e32 v13, 0, v13, vcc
	v_cmp_nlt_f32_e32 vcc, s37, v9
	v_cndmask_b32_e64 v12, 0, v12, s[4:5]
	v_cndmask_b32_e64 v9, 0, v14, s[0:1]
	v_cmp_nlt_f32_e64 s[0:1], s37, v10
	v_cndmask_b32_e64 v10, 0, v15, s[2:3]
	v_cmp_nlt_f32_e64 s[2:3], s37, v11
	v_cmp_nlt_f32_e64 s[4:5], s37, v8
	v_cndmask_b32_e32 v11, v20, v13, vcc
	v_cndmask_b32_e64 v9, v20, v9, s[0:1]
	v_cndmask_b32_e64 v8, v20, v12, s[4:5]
	;; [unrolled: 1-line block ×3, first 2 shown]
	v_add_f32_e32 v8, 1.0, v8
	v_add_f32_e32 v11, 1.0, v11
	;; [unrolled: 1-line block ×4, first 2 shown]
	v_rcp_f32_e32 v8, v8
	v_rcp_f32_e32 v9, v11
	;; [unrolled: 1-line block ×4, first 2 shown]
	v_med3_f32 v3, v3, s38, v21
	v_med3_f32 v2, v2, s38, v21
	;; [unrolled: 1-line block ×4, first 2 shown]
	v_pk_add_f32 v[2:3], v[2:3], 1.0 op_sel_hi:[1,0]
	v_pk_add_f32 v[0:1], v[0:1], 1.0 op_sel_hi:[1,0]
	v_pk_mul_f32 v[4:5], v[4:5], v[8:9]
	v_pk_mul_f32 v[6:7], v[6:7], v[10:11]
	;; [unrolled: 1-line block ×4, first 2 shown]
	s_nop 0
	v_perm_b32 v3, v3, v2, s39
	v_perm_b32 v2, v1, v0, s39
	buffer_store_dwordx2 v[2:3], v18, s[8:11], 0 offen
	v_add_u32_e32 v18, s33, v18
	s_andn2_b64 exec, exec, s[30:31]
	s_cbranch_execnz .LBB246_8
.LBB246_9:
	s_endpgm
	.section	.rodata,"a",@progbits
	.p2align	6, 0x0
	.amdhsa_kernel _ZN5aiter30swiglu_act_and_mul_bias_kernelIftafLi4EEEvPT0_PKT_PKT1_PKT2_il
		.amdhsa_group_segment_fixed_size 0
		.amdhsa_private_segment_fixed_size 0
		.amdhsa_kernarg_size 304
		.amdhsa_user_sgpr_count 2
		.amdhsa_user_sgpr_dispatch_ptr 0
		.amdhsa_user_sgpr_queue_ptr 0
		.amdhsa_user_sgpr_kernarg_segment_ptr 1
		.amdhsa_user_sgpr_dispatch_id 0
		.amdhsa_user_sgpr_kernarg_preload_length 0
		.amdhsa_user_sgpr_kernarg_preload_offset 0
		.amdhsa_user_sgpr_private_segment_size 0
		.amdhsa_uses_dynamic_stack 0
		.amdhsa_enable_private_segment 0
		.amdhsa_system_sgpr_workgroup_id_x 1
		.amdhsa_system_sgpr_workgroup_id_y 0
		.amdhsa_system_sgpr_workgroup_id_z 0
		.amdhsa_system_sgpr_workgroup_info 0
		.amdhsa_system_vgpr_workitem_id 0
		.amdhsa_next_free_vgpr 30
		.amdhsa_next_free_sgpr 40
		.amdhsa_accum_offset 32
		.amdhsa_reserve_vcc 1
		.amdhsa_float_round_mode_32 0
		.amdhsa_float_round_mode_16_64 0
		.amdhsa_float_denorm_mode_32 3
		.amdhsa_float_denorm_mode_16_64 3
		.amdhsa_dx10_clamp 1
		.amdhsa_ieee_mode 1
		.amdhsa_fp16_overflow 0
		.amdhsa_tg_split 0
		.amdhsa_exception_fp_ieee_invalid_op 0
		.amdhsa_exception_fp_denorm_src 0
		.amdhsa_exception_fp_ieee_div_zero 0
		.amdhsa_exception_fp_ieee_overflow 0
		.amdhsa_exception_fp_ieee_underflow 0
		.amdhsa_exception_fp_ieee_inexact 0
		.amdhsa_exception_int_div_zero 0
	.end_amdhsa_kernel
	.section	.text._ZN5aiter30swiglu_act_and_mul_bias_kernelIftafLi4EEEvPT0_PKT_PKT1_PKT2_il,"axG",@progbits,_ZN5aiter30swiglu_act_and_mul_bias_kernelIftafLi4EEEvPT0_PKT_PKT1_PKT2_il,comdat
.Lfunc_end246:
	.size	_ZN5aiter30swiglu_act_and_mul_bias_kernelIftafLi4EEEvPT0_PKT_PKT1_PKT2_il, .Lfunc_end246-_ZN5aiter30swiglu_act_and_mul_bias_kernelIftafLi4EEEvPT0_PKT_PKT1_PKT2_il
                                        ; -- End function
	.section	.AMDGPU.csdata,"",@progbits
; Kernel info:
; codeLenInByte = 1220
; NumSgprs: 46
; NumVgprs: 30
; NumAgprs: 0
; TotalNumVgprs: 30
; ScratchSize: 0
; MemoryBound: 0
; FloatMode: 240
; IeeeMode: 1
; LDSByteSize: 0 bytes/workgroup (compile time only)
; SGPRBlocks: 5
; VGPRBlocks: 3
; NumSGPRsForWavesPerEU: 46
; NumVGPRsForWavesPerEU: 30
; AccumOffset: 32
; Occupancy: 8
; WaveLimiterHint : 0
; COMPUTE_PGM_RSRC2:SCRATCH_EN: 0
; COMPUTE_PGM_RSRC2:USER_SGPR: 2
; COMPUTE_PGM_RSRC2:TRAP_HANDLER: 0
; COMPUTE_PGM_RSRC2:TGID_X_EN: 1
; COMPUTE_PGM_RSRC2:TGID_Y_EN: 0
; COMPUTE_PGM_RSRC2:TGID_Z_EN: 0
; COMPUTE_PGM_RSRC2:TIDIG_COMP_CNT: 0
; COMPUTE_PGM_RSRC3_GFX90A:ACCUM_OFFSET: 7
; COMPUTE_PGM_RSRC3_GFX90A:TG_SPLIT: 0
	.section	.text._ZN5aiter30swiglu_act_and_mul_bias_kernelIftafLi2EEEvPT0_PKT_PKT1_PKT2_il,"axG",@progbits,_ZN5aiter30swiglu_act_and_mul_bias_kernelIftafLi2EEEvPT0_PKT_PKT1_PKT2_il,comdat
	.protected	_ZN5aiter30swiglu_act_and_mul_bias_kernelIftafLi2EEEvPT0_PKT_PKT1_PKT2_il ; -- Begin function _ZN5aiter30swiglu_act_and_mul_bias_kernelIftafLi2EEEvPT0_PKT_PKT1_PKT2_il
	.globl	_ZN5aiter30swiglu_act_and_mul_bias_kernelIftafLi2EEEvPT0_PKT_PKT1_PKT2_il
	.p2align	8
	.type	_ZN5aiter30swiglu_act_and_mul_bias_kernelIftafLi2EEEvPT0_PKT_PKT1_PKT2_il,@function
_ZN5aiter30swiglu_act_and_mul_bias_kernelIftafLi2EEEvPT0_PKT_PKT1_PKT2_il: ; @_ZN5aiter30swiglu_act_and_mul_bias_kernelIftafLi2EEEvPT0_PKT_PKT1_PKT2_il
; %bb.0:
	s_load_dwordx2 s[4:5], s[0:1], 0x10
	s_load_dword s24, s[0:1], 0x20
	s_load_dwordx2 s[6:7], s[0:1], 0x28
	v_mov_b32_e32 v1, s2
	s_mov_b32 s9, 0
	s_waitcnt lgkmcnt(0)
	global_load_ubyte v1, v1, s[4:5]
	s_ashr_i32 s25, s24, 31
	s_load_dwordx2 s[4:5], s[0:1], 0x0
	s_mul_hi_u32 s3, s24, s2
	v_mov_b64_e32 v[2:3], s[6:7]
	s_mul_i32 s6, s25, s2
	s_add_i32 s13, s3, s6
	s_mul_i32 s12, s24, s2
	s_lshl_b64 s[6:7], s[12:13], 1
	s_mov_b64 s[10:11], -1
	s_waitcnt vmcnt(0)
	v_readfirstlane_b32 s3, v1
	s_nop 1
	v_mov_b32_e32 v4, s3
	s_sext_i32_i8 s3, s3
	v_readfirstlane_b32 s8, v4
	s_bfe_i64 s[8:9], s[8:9], 0x80000
	s_waitcnt lgkmcnt(0)
	s_add_u32 s4, s4, s6
	s_addc_u32 s5, s5, s7
	s_add_i32 s6, s24, 1
	s_lshr_b32 s7, s6, 31
	s_add_i32 s6, s6, s7
	s_lshl_b32 s6, s6, 1
	s_and_b32 s5, s5, 0xffff
	s_and_b32 s6, s6, -4
	s_cmp_gt_i32 s3, -1
	v_cmp_lt_i64_e32 vcc, s[8:9], v[2:3]
	s_cselect_b64 s[12:13], -1, 0
	s_and_b64 s[12:13], s[12:13], vcc
	s_and_b64 vcc, exec, s[12:13]
	v_lshlrev_b32_e32 v2, 1, v0
	s_cbranch_vccnz .LBB247_5
; %bb.1:
	v_cmp_gt_i32_e32 vcc, s24, v2
	s_and_saveexec_b64 s[10:11], vcc
	s_cbranch_execz .LBB247_4
; %bb.2:
	s_load_dword s3, s[0:1], 0x3c
	v_mov_b32_e32 v3, 0
	s_mov_b32 s13, 0
	v_lshlrev_b32_e32 v1, 2, v0
	s_mov_b64 s[14:15], 0
	s_waitcnt lgkmcnt(0)
	s_and_b32 s3, s3, 0xffff
	s_lshl_b32 s12, s3, 1
	s_lshl_b32 s3, s3, 2
	s_mov_b32 s7, 0x20000
	v_mov_b64_e32 v[4:5], v[2:3]
.LBB247_3:                              ; =>This Inner Loop Header: Depth=1
	v_lshl_add_u64 v[4:5], s[12:13], 0, v[4:5]
	v_cmp_le_i64_e32 vcc, s[24:25], v[4:5]
	buffer_store_dword v3, v1, s[4:7], 0 offen
	s_or_b64 s[14:15], vcc, s[14:15]
	v_add_u32_e32 v1, s3, v1
	s_andn2_b64 exec, exec, s[14:15]
	s_cbranch_execnz .LBB247_3
.LBB247_4:
	s_or_b64 exec, exec, s[10:11]
	s_mov_b64 s[10:11], 0
.LBB247_5:
	s_andn2_b64 vcc, exec, s[10:11]
	s_cbranch_vccnz .LBB247_9
; %bb.6:
	v_cmp_gt_i32_e32 vcc, s24, v2
	s_and_saveexec_b64 s[10:11], vcc
	s_cbranch_execz .LBB247_9
; %bb.7:
	s_load_dwordx2 s[14:15], s[0:1], 0x8
	s_load_dwordx2 s[12:13], s[0:1], 0x18
	s_mul_hi_i32 s9, s24, s8
	s_mul_i32 s8, s24, s8
	s_lshl_b32 s10, s24, 2
	s_lshl_b64 s[8:9], s[8:9], 3
	s_waitcnt lgkmcnt(0)
	s_add_u32 s12, s12, s8
	s_load_dword s18, s[0:1], 0x3c
	s_addc_u32 s7, s13, s9
	s_lshl_b64 s[0:1], s[24:25], 2
	s_add_u32 s8, s12, s0
	s_mul_i32 s16, s2, s25
	s_mul_hi_u32 s17, s2, s24
	s_addc_u32 s9, s7, s1
	s_add_i32 s17, s17, s16
	s_mul_i32 s16, s2, s24
	s_and_b32 s13, s7, 0xffff
	s_and_b32 s9, s9, 0xffff
	s_lshl_b64 s[16:17], s[16:17], 3
	s_add_u32 s16, s14, s16
	s_addc_u32 s2, s15, s17
	s_add_u32 s20, s16, s0
	s_addc_u32 s0, s2, s1
	s_mov_b32 s7, 0x20000
	s_and_b32 s21, s0, 0xffff
	s_waitcnt lgkmcnt(0)
	s_and_b32 s0, s18, 0xffff
	s_mov_b32 s3, 0
	s_mov_b32 s11, s7
	s_and_b32 s17, s2, 0xffff
	v_mov_b32_e32 v3, 0
	s_lshl_b32 s2, s0, 1
	v_lshlrev_b32_e32 v1, 2, v0
	s_lshl_b32 s28, s0, 2
	v_lshlrev_b32_e32 v0, 3, v0
	s_lshl_b32 s29, s0, 3
	s_mov_b64 s[26:27], 0
	s_mov_b32 s18, s10
	s_mov_b32 s19, s7
	s_mov_b32 s30, 0x3fb8aa3b
	s_mov_b32 s31, 0xc2ce8ed0
	s_mov_b32 s33, 0x42b17218
	v_mov_b32_e32 v4, 0x7f800000
	s_mov_b32 s34, 0xc0e00000
	v_mov_b32_e32 v5, 0x40e00000
	s_mov_b32 s35, 0x7060302
	s_mov_b32 s22, s10
	;; [unrolled: 1-line block ×5, first 2 shown]
.LBB247_8:                              ; =>This Inner Loop Header: Depth=1
	buffer_load_dwordx2 v[6:7], v0, s[16:19], 0 offen
	buffer_load_dwordx2 v[8:9], v0, s[20:23], 0 offen
	;; [unrolled: 1-line block ×4, first 2 shown]
	v_lshl_add_u64 v[2:3], s[2:3], 0, v[2:3]
	v_cmp_le_i64_e32 vcc, s[24:25], v[2:3]
	s_or_b64 s[26:27], vcc, s[26:27]
	v_add_u32_e32 v0, s29, v0
	s_waitcnt vmcnt(1)
	v_pk_add_f32 v[6:7], v[6:7], v[10:11]
	s_nop 0
	v_min_f32_e32 v7, 0x40e00000, v7
	v_min_f32_e32 v6, 0x40e00000, v6
	v_mul_f32_e32 v10, 0xbfd9db23, v6
	v_mul_f32_e32 v11, 0xbfd9db23, v7
	s_waitcnt vmcnt(0)
	v_pk_add_f32 v[8:9], v[8:9], v[12:13]
	v_mul_f32_e32 v12, 0x3fb8aa3b, v10
	v_mul_f32_e32 v13, 0x3fb8aa3b, v11
	v_fma_f32 v14, v10, s30, -v12
	v_rndne_f32_e32 v15, v12
	v_fma_f32 v16, v11, s30, -v13
	v_rndne_f32_e32 v17, v13
	v_fmac_f32_e32 v14, 0x32a5705f, v10
	v_sub_f32_e32 v12, v12, v15
	v_fmac_f32_e32 v16, 0x32a5705f, v11
	v_sub_f32_e32 v13, v13, v17
	v_add_f32_e32 v12, v12, v14
	v_add_f32_e32 v13, v13, v16
	v_cvt_i32_f32_e32 v15, v15
	v_cvt_i32_f32_e32 v17, v17
	v_exp_f32_e32 v12, v12
	v_exp_f32_e32 v13, v13
	v_cmp_ngt_f32_e32 vcc, s31, v11
	v_cmp_ngt_f32_e64 s[0:1], s31, v10
	v_ldexp_f32 v12, v12, v15
	v_ldexp_f32 v13, v13, v17
	v_cndmask_b32_e64 v12, 0, v12, s[0:1]
	v_cndmask_b32_e32 v13, 0, v13, vcc
	v_cmp_nlt_f32_e32 vcc, s33, v11
	v_cmp_nlt_f32_e64 s[0:1], s33, v10
	v_med3_f32 v9, v9, s34, v5
	v_cndmask_b32_e32 v11, v4, v13, vcc
	v_cndmask_b32_e64 v10, v4, v12, s[0:1]
	v_add_f32_e32 v10, 1.0, v10
	v_add_f32_e32 v11, 1.0, v11
	v_rcp_f32_e32 v10, v10
	v_rcp_f32_e32 v11, v11
	v_med3_f32 v8, v8, s34, v5
	v_pk_add_f32 v[8:9], v[8:9], 1.0 op_sel_hi:[1,0]
	v_pk_mul_f32 v[6:7], v[6:7], v[10:11]
	s_nop 0
	v_pk_mul_f32 v[6:7], v[8:9], v[6:7]
	s_nop 0
	v_perm_b32 v6, v7, v6, s35
	buffer_store_dword v6, v1, s[4:7], 0 offen
	v_add_u32_e32 v1, s28, v1
	s_andn2_b64 exec, exec, s[26:27]
	s_cbranch_execnz .LBB247_8
.LBB247_9:
	s_endpgm
	.section	.rodata,"a",@progbits
	.p2align	6, 0x0
	.amdhsa_kernel _ZN5aiter30swiglu_act_and_mul_bias_kernelIftafLi2EEEvPT0_PKT_PKT1_PKT2_il
		.amdhsa_group_segment_fixed_size 0
		.amdhsa_private_segment_fixed_size 0
		.amdhsa_kernarg_size 304
		.amdhsa_user_sgpr_count 2
		.amdhsa_user_sgpr_dispatch_ptr 0
		.amdhsa_user_sgpr_queue_ptr 0
		.amdhsa_user_sgpr_kernarg_segment_ptr 1
		.amdhsa_user_sgpr_dispatch_id 0
		.amdhsa_user_sgpr_kernarg_preload_length 0
		.amdhsa_user_sgpr_kernarg_preload_offset 0
		.amdhsa_user_sgpr_private_segment_size 0
		.amdhsa_uses_dynamic_stack 0
		.amdhsa_enable_private_segment 0
		.amdhsa_system_sgpr_workgroup_id_x 1
		.amdhsa_system_sgpr_workgroup_id_y 0
		.amdhsa_system_sgpr_workgroup_id_z 0
		.amdhsa_system_sgpr_workgroup_info 0
		.amdhsa_system_vgpr_workitem_id 0
		.amdhsa_next_free_vgpr 18
		.amdhsa_next_free_sgpr 36
		.amdhsa_accum_offset 20
		.amdhsa_reserve_vcc 1
		.amdhsa_float_round_mode_32 0
		.amdhsa_float_round_mode_16_64 0
		.amdhsa_float_denorm_mode_32 3
		.amdhsa_float_denorm_mode_16_64 3
		.amdhsa_dx10_clamp 1
		.amdhsa_ieee_mode 1
		.amdhsa_fp16_overflow 0
		.amdhsa_tg_split 0
		.amdhsa_exception_fp_ieee_invalid_op 0
		.amdhsa_exception_fp_denorm_src 0
		.amdhsa_exception_fp_ieee_div_zero 0
		.amdhsa_exception_fp_ieee_overflow 0
		.amdhsa_exception_fp_ieee_underflow 0
		.amdhsa_exception_fp_ieee_inexact 0
		.amdhsa_exception_int_div_zero 0
	.end_amdhsa_kernel
	.section	.text._ZN5aiter30swiglu_act_and_mul_bias_kernelIftafLi2EEEvPT0_PKT_PKT1_PKT2_il,"axG",@progbits,_ZN5aiter30swiglu_act_and_mul_bias_kernelIftafLi2EEEvPT0_PKT_PKT1_PKT2_il,comdat
.Lfunc_end247:
	.size	_ZN5aiter30swiglu_act_and_mul_bias_kernelIftafLi2EEEvPT0_PKT_PKT1_PKT2_il, .Lfunc_end247-_ZN5aiter30swiglu_act_and_mul_bias_kernelIftafLi2EEEvPT0_PKT_PKT1_PKT2_il
                                        ; -- End function
	.section	.AMDGPU.csdata,"",@progbits
; Kernel info:
; codeLenInByte = 944
; NumSgprs: 42
; NumVgprs: 18
; NumAgprs: 0
; TotalNumVgprs: 18
; ScratchSize: 0
; MemoryBound: 0
; FloatMode: 240
; IeeeMode: 1
; LDSByteSize: 0 bytes/workgroup (compile time only)
; SGPRBlocks: 5
; VGPRBlocks: 2
; NumSGPRsForWavesPerEU: 42
; NumVGPRsForWavesPerEU: 18
; AccumOffset: 20
; Occupancy: 8
; WaveLimiterHint : 0
; COMPUTE_PGM_RSRC2:SCRATCH_EN: 0
; COMPUTE_PGM_RSRC2:USER_SGPR: 2
; COMPUTE_PGM_RSRC2:TRAP_HANDLER: 0
; COMPUTE_PGM_RSRC2:TGID_X_EN: 1
; COMPUTE_PGM_RSRC2:TGID_Y_EN: 0
; COMPUTE_PGM_RSRC2:TGID_Z_EN: 0
; COMPUTE_PGM_RSRC2:TIDIG_COMP_CNT: 0
; COMPUTE_PGM_RSRC3_GFX90A:ACCUM_OFFSET: 4
; COMPUTE_PGM_RSRC3_GFX90A:TG_SPLIT: 0
	.section	.text._ZN5aiter30swiglu_act_and_mul_bias_kernelIftafLi1EEEvPT0_PKT_PKT1_PKT2_il,"axG",@progbits,_ZN5aiter30swiglu_act_and_mul_bias_kernelIftafLi1EEEvPT0_PKT_PKT1_PKT2_il,comdat
	.protected	_ZN5aiter30swiglu_act_and_mul_bias_kernelIftafLi1EEEvPT0_PKT_PKT1_PKT2_il ; -- Begin function _ZN5aiter30swiglu_act_and_mul_bias_kernelIftafLi1EEEvPT0_PKT_PKT1_PKT2_il
	.globl	_ZN5aiter30swiglu_act_and_mul_bias_kernelIftafLi1EEEvPT0_PKT_PKT1_PKT2_il
	.p2align	8
	.type	_ZN5aiter30swiglu_act_and_mul_bias_kernelIftafLi1EEEvPT0_PKT_PKT1_PKT2_il,@function
_ZN5aiter30swiglu_act_and_mul_bias_kernelIftafLi1EEEvPT0_PKT_PKT1_PKT2_il: ; @_ZN5aiter30swiglu_act_and_mul_bias_kernelIftafLi1EEEvPT0_PKT_PKT1_PKT2_il
; %bb.0:
	s_load_dwordx2 s[4:5], s[0:1], 0x10
	s_load_dword s20, s[0:1], 0x20
	s_load_dwordx2 s[8:9], s[0:1], 0x28
	v_mov_b32_e32 v1, s2
	s_mov_b32 s11, 0
	s_waitcnt lgkmcnt(0)
	global_load_ubyte v1, v1, s[4:5]
	s_ashr_i32 s21, s20, 31
	s_load_dwordx2 s[4:5], s[0:1], 0x0
	s_mul_hi_u32 s3, s20, s2
	v_mov_b64_e32 v[2:3], s[8:9]
	s_mul_i32 s8, s21, s2
	s_add_i32 s13, s3, s8
	s_mul_i32 s12, s20, s2
	s_lshl_b64 s[8:9], s[12:13], 1
	s_mov_b64 s[6:7], -1
	s_waitcnt vmcnt(0)
	v_readfirstlane_b32 s3, v1
	s_nop 1
	v_mov_b32_e32 v4, s3
	s_sext_i32_i8 s3, s3
	v_readfirstlane_b32 s10, v4
	s_bfe_i64 s[12:13], s[10:11], 0x80000
	s_waitcnt lgkmcnt(0)
	s_add_u32 s8, s4, s8
	s_addc_u32 s4, s5, s9
	s_add_i32 s5, s20, 1
	s_lshr_b32 s10, s5, 31
	s_add_i32 s5, s5, s10
	s_and_b32 s9, s4, 0xffff
	s_lshl_b32 s4, s5, 1
	s_and_b32 s10, s4, -4
	s_cmp_gt_i32 s3, -1
	v_cmp_lt_i64_e32 vcc, s[12:13], v[2:3]
	s_cselect_b64 s[4:5], -1, 0
	s_and_b64 s[4:5], s[4:5], vcc
	s_and_b64 vcc, exec, s[4:5]
	v_cmp_gt_i32_e64 s[4:5], s20, v0
	s_cbranch_vccnz .LBB248_5
; %bb.1:
	s_and_saveexec_b64 s[6:7], s[4:5]
	s_cbranch_execz .LBB248_4
; %bb.2:
	s_load_dword s3, s[0:1], 0x3c
	v_mov_b32_e32 v1, 0
	s_mov_b32 s5, 0
	v_lshlrev_b32_e32 v4, 1, v0
	s_mov_b64 s[14:15], 0
	s_waitcnt lgkmcnt(0)
	s_and_b32 s4, s3, 0xffff
	s_lshl_b32 s3, s4, 1
	s_mov_b32 s11, 0x20000
	v_mov_b64_e32 v[2:3], v[0:1]
.LBB248_3:                              ; =>This Inner Loop Header: Depth=1
	v_lshl_add_u64 v[2:3], v[2:3], 0, s[4:5]
	v_cmp_le_i64_e32 vcc, s[20:21], v[2:3]
	buffer_store_short v1, v4, s[8:11], 0 offen
	s_or_b64 s[14:15], vcc, s[14:15]
	v_add_u32_e32 v4, s3, v4
	s_andn2_b64 exec, exec, s[14:15]
	s_cbranch_execnz .LBB248_3
.LBB248_4:
	s_or_b64 exec, exec, s[6:7]
	s_mov_b64 s[6:7], 0
.LBB248_5:
	s_andn2_b64 vcc, exec, s[6:7]
	s_cbranch_vccnz .LBB248_9
; %bb.6:
	v_cmp_gt_i32_e32 vcc, s20, v0
	s_and_saveexec_b64 s[4:5], vcc
	s_cbranch_execz .LBB248_9
; %bb.7:
	s_load_dwordx2 s[14:15], s[0:1], 0x8
	s_load_dwordx2 s[4:5], s[0:1], 0x18
	s_mul_hi_i32 s13, s20, s12
	s_mul_i32 s12, s20, s12
	s_lshl_b32 s6, s20, 2
	s_lshl_b64 s[12:13], s[12:13], 3
	s_load_dword s18, s[0:1], 0x3c
	s_waitcnt lgkmcnt(0)
	s_add_u32 s0, s4, s12
	s_addc_u32 s1, s5, s13
	s_lshl_b64 s[16:17], s[20:21], 2
	s_add_u32 s4, s0, s16
	s_addc_u32 s3, s1, s17
	s_and_b32 s5, s3, 0xffff
	s_mul_i32 s3, s2, s21
	s_mul_hi_u32 s12, s2, s20
	s_add_i32 s3, s12, s3
	s_mul_i32 s2, s2, s20
	s_and_b32 s1, s1, 0xffff
	s_lshl_b64 s[2:3], s[2:3], 3
	s_add_u32 s12, s14, s2
	s_addc_u32 s2, s15, s3
	s_add_u32 s16, s12, s16
	s_mov_b32 s11, 0x20000
	s_addc_u32 s3, s2, s17
	s_and_b32 s22, s18, 0xffff
	s_mov_b32 s23, 0
	s_mov_b32 s7, s11
	s_and_b32 s13, s2, 0xffff
	s_and_b32 s17, s3, 0xffff
	v_mov_b32_e32 v1, 0
	v_lshlrev_b32_e32 v2, 1, v0
	s_lshl_b32 s26, s22, 1
	v_lshlrev_b32_e32 v3, 2, v0
	s_lshl_b32 s27, s22, 2
	s_mov_b64 s[24:25], 0
	s_mov_b32 s14, s6
	s_mov_b32 s15, s11
	;; [unrolled: 1-line block ×5, first 2 shown]
	v_mov_b32_e32 v4, 0x7f800000
	s_mov_b32 s18, s6
	s_mov_b32 s19, s11
	;; [unrolled: 1-line block ×4, first 2 shown]
.LBB248_8:                              ; =>This Inner Loop Header: Depth=1
	buffer_load_dword v5, v3, s[12:15], 0 offen
	buffer_load_dword v6, v3, s[16:19], 0 offen
	buffer_load_dword v7, v3, s[0:3], 0 offen
	buffer_load_dword v8, v3, s[4:7], 0 offen
	v_lshl_add_u64 v[0:1], v[0:1], 0, s[22:23]
	v_cmp_le_i64_e32 vcc, s[20:21], v[0:1]
	s_or_b64 s[24:25], vcc, s[24:25]
	v_add_u32_e32 v3, s27, v3
	s_waitcnt vmcnt(1)
	v_add_f32_e32 v5, v5, v7
	v_min_f32_e32 v5, 0x40e00000, v5
	v_mul_f32_e32 v7, 0xbfd9db23, v5
	s_waitcnt vmcnt(0)
	v_add_f32_e32 v6, v6, v8
	v_mul_f32_e32 v8, 0x3fb8aa3b, v7
	v_fma_f32 v9, v7, s28, -v8
	v_rndne_f32_e32 v10, v8
	v_fmac_f32_e32 v9, 0x32a5705f, v7
	v_sub_f32_e32 v8, v8, v10
	v_add_f32_e32 v8, v8, v9
	v_cvt_i32_f32_e32 v10, v10
	v_exp_f32_e32 v8, v8
	v_cmp_ngt_f32_e32 vcc, s29, v7
	v_max_f32_e32 v6, 0xc0e00000, v6
	v_min_f32_e32 v6, 0x40e00000, v6
	v_ldexp_f32 v8, v8, v10
	v_cndmask_b32_e32 v8, 0, v8, vcc
	v_cmp_nlt_f32_e32 vcc, s30, v7
	v_add_f32_e32 v6, 1.0, v6
	s_nop 0
	v_cndmask_b32_e32 v7, v4, v8, vcc
	v_add_f32_e32 v7, 1.0, v7
	v_rcp_f32_e32 v7, v7
	s_nop 0
	v_mul_f32_e32 v5, v5, v7
	v_mul_f32_e32 v5, v6, v5
	v_lshrrev_b32_e32 v5, 16, v5
	buffer_store_short v5, v2, s[8:11], 0 offen
	v_add_u32_e32 v2, s26, v2
	s_andn2_b64 exec, exec, s[24:25]
	s_cbranch_execnz .LBB248_8
.LBB248_9:
	s_endpgm
	.section	.rodata,"a",@progbits
	.p2align	6, 0x0
	.amdhsa_kernel _ZN5aiter30swiglu_act_and_mul_bias_kernelIftafLi1EEEvPT0_PKT_PKT1_PKT2_il
		.amdhsa_group_segment_fixed_size 0
		.amdhsa_private_segment_fixed_size 0
		.amdhsa_kernarg_size 304
		.amdhsa_user_sgpr_count 2
		.amdhsa_user_sgpr_dispatch_ptr 0
		.amdhsa_user_sgpr_queue_ptr 0
		.amdhsa_user_sgpr_kernarg_segment_ptr 1
		.amdhsa_user_sgpr_dispatch_id 0
		.amdhsa_user_sgpr_kernarg_preload_length 0
		.amdhsa_user_sgpr_kernarg_preload_offset 0
		.amdhsa_user_sgpr_private_segment_size 0
		.amdhsa_uses_dynamic_stack 0
		.amdhsa_enable_private_segment 0
		.amdhsa_system_sgpr_workgroup_id_x 1
		.amdhsa_system_sgpr_workgroup_id_y 0
		.amdhsa_system_sgpr_workgroup_id_z 0
		.amdhsa_system_sgpr_workgroup_info 0
		.amdhsa_system_vgpr_workitem_id 0
		.amdhsa_next_free_vgpr 11
		.amdhsa_next_free_sgpr 31
		.amdhsa_accum_offset 12
		.amdhsa_reserve_vcc 1
		.amdhsa_float_round_mode_32 0
		.amdhsa_float_round_mode_16_64 0
		.amdhsa_float_denorm_mode_32 3
		.amdhsa_float_denorm_mode_16_64 3
		.amdhsa_dx10_clamp 1
		.amdhsa_ieee_mode 1
		.amdhsa_fp16_overflow 0
		.amdhsa_tg_split 0
		.amdhsa_exception_fp_ieee_invalid_op 0
		.amdhsa_exception_fp_denorm_src 0
		.amdhsa_exception_fp_ieee_div_zero 0
		.amdhsa_exception_fp_ieee_overflow 0
		.amdhsa_exception_fp_ieee_underflow 0
		.amdhsa_exception_fp_ieee_inexact 0
		.amdhsa_exception_int_div_zero 0
	.end_amdhsa_kernel
	.section	.text._ZN5aiter30swiglu_act_and_mul_bias_kernelIftafLi1EEEvPT0_PKT_PKT1_PKT2_il,"axG",@progbits,_ZN5aiter30swiglu_act_and_mul_bias_kernelIftafLi1EEEvPT0_PKT_PKT1_PKT2_il,comdat
.Lfunc_end248:
	.size	_ZN5aiter30swiglu_act_and_mul_bias_kernelIftafLi1EEEvPT0_PKT_PKT1_PKT2_il, .Lfunc_end248-_ZN5aiter30swiglu_act_and_mul_bias_kernelIftafLi1EEEvPT0_PKT_PKT1_PKT2_il
                                        ; -- End function
	.section	.AMDGPU.csdata,"",@progbits
; Kernel info:
; codeLenInByte = 772
; NumSgprs: 37
; NumVgprs: 11
; NumAgprs: 0
; TotalNumVgprs: 11
; ScratchSize: 0
; MemoryBound: 0
; FloatMode: 240
; IeeeMode: 1
; LDSByteSize: 0 bytes/workgroup (compile time only)
; SGPRBlocks: 4
; VGPRBlocks: 1
; NumSGPRsForWavesPerEU: 37
; NumVGPRsForWavesPerEU: 11
; AccumOffset: 12
; Occupancy: 8
; WaveLimiterHint : 0
; COMPUTE_PGM_RSRC2:SCRATCH_EN: 0
; COMPUTE_PGM_RSRC2:USER_SGPR: 2
; COMPUTE_PGM_RSRC2:TRAP_HANDLER: 0
; COMPUTE_PGM_RSRC2:TGID_X_EN: 1
; COMPUTE_PGM_RSRC2:TGID_Y_EN: 0
; COMPUTE_PGM_RSRC2:TGID_Z_EN: 0
; COMPUTE_PGM_RSRC2:TIDIG_COMP_CNT: 0
; COMPUTE_PGM_RSRC3_GFX90A:ACCUM_OFFSET: 2
; COMPUTE_PGM_RSRC3_GFX90A:TG_SPLIT: 0
	.section	.text._ZN5aiter30swiglu_act_and_mul_bias_kernelIfDF16_afLi16EEEvPT0_PKT_PKT1_PKT2_il,"axG",@progbits,_ZN5aiter30swiglu_act_and_mul_bias_kernelIfDF16_afLi16EEEvPT0_PKT_PKT1_PKT2_il,comdat
	.protected	_ZN5aiter30swiglu_act_and_mul_bias_kernelIfDF16_afLi16EEEvPT0_PKT_PKT1_PKT2_il ; -- Begin function _ZN5aiter30swiglu_act_and_mul_bias_kernelIfDF16_afLi16EEEvPT0_PKT_PKT1_PKT2_il
	.globl	_ZN5aiter30swiglu_act_and_mul_bias_kernelIfDF16_afLi16EEEvPT0_PKT_PKT1_PKT2_il
	.p2align	8
	.type	_ZN5aiter30swiglu_act_and_mul_bias_kernelIfDF16_afLi16EEEvPT0_PKT_PKT1_PKT2_il,@function
_ZN5aiter30swiglu_act_and_mul_bias_kernelIfDF16_afLi16EEEvPT0_PKT_PKT1_PKT2_il: ; @_ZN5aiter30swiglu_act_and_mul_bias_kernelIfDF16_afLi16EEEvPT0_PKT_PKT1_PKT2_il
; %bb.0:
	s_load_dwordx2 s[4:5], s[0:1], 0x10
	s_load_dword s64, s[0:1], 0x20
	s_load_dwordx2 s[8:9], s[0:1], 0x28
	v_mov_b32_e32 v1, s2
	s_load_dwordx2 s[10:11], s[0:1], 0x0
	s_waitcnt lgkmcnt(0)
	global_load_ubyte v1, v1, s[4:5]
	s_ashr_i32 s65, s64, 31
	s_mul_hi_u32 s3, s64, s2
	s_mul_i32 s4, s65, s2
	s_add_i32 s13, s3, s4
	s_mov_b32 s5, 0
	s_mul_i32 s12, s64, s2
	v_mov_b64_e32 v[2:3], s[8:9]
	s_lshl_b64 s[8:9], s[12:13], 1
	s_mov_b64 s[6:7], -1
	v_lshlrev_b32_e32 v36, 4, v0
	s_waitcnt vmcnt(0)
	v_readfirstlane_b32 s3, v1
	s_nop 1
	v_mov_b32_e32 v4, s3
	s_sext_i32_i8 s3, s3
	v_readfirstlane_b32 s4, v4
	s_bfe_i64 s[4:5], s[4:5], 0x80000
	s_add_u32 s44, s10, s8
	v_cmp_lt_i64_e32 vcc, s[4:5], v[2:3]
	s_addc_u32 s5, s11, s9
	s_add_i32 s8, s64, 1
	s_lshr_b32 s9, s8, 31
	s_add_i32 s8, s8, s9
	s_and_b32 s45, s5, 0xffff
	s_lshl_b32 s5, s8, 1
	s_and_b32 s46, s5, -4
	s_cmp_gt_i32 s3, -1
	s_cselect_b64 s[8:9], -1, 0
	s_and_b64 s[8:9], s[8:9], vcc
	s_and_b64 vcc, exec, s[8:9]
	s_cbranch_vccnz .LBB249_5
; %bb.1:
	v_cmp_gt_i32_e32 vcc, s64, v36
	s_and_saveexec_b64 s[6:7], vcc
	s_cbranch_execz .LBB249_4
; %bb.2:
	s_load_dword s3, s[0:1], 0x3c
	s_mov_b32 s9, 0
	s_mov_b32 s12, s9
	;; [unrolled: 1-line block ×3, first 2 shown]
	v_mov_b32_e32 v37, 0
	s_waitcnt lgkmcnt(0)
	s_and_b32 s3, s3, 0xffff
	s_mov_b32 s14, s9
	s_mov_b32 s15, s9
	v_mov_b64_e32 v[2:3], s[12:13]
	v_lshlrev_b32_e32 v1, 5, v0
	s_lshl_b32 s8, s3, 4
	s_lshl_b32 s3, s3, 5
	s_mov_b64 s[10:11], 0
	s_mov_b32 s47, 0x20000
	v_mov_b64_e32 v[4:5], s[14:15]
	v_mov_b64_e32 v[6:7], v[36:37]
.LBB249_3:                              ; =>This Inner Loop Header: Depth=1
	v_lshl_add_u64 v[6:7], s[8:9], 0, v[6:7]
	v_cmp_le_i64_e32 vcc, s[64:65], v[6:7]
	buffer_store_dwordx4 v[2:5], v1, s[44:47], 0 offen
	buffer_store_dwordx4 v[2:5], v1, s[44:47], 16 offen
	s_or_b64 s[10:11], vcc, s[10:11]
	v_add_u32_e32 v1, s3, v1
	s_andn2_b64 exec, exec, s[10:11]
	s_cbranch_execnz .LBB249_3
.LBB249_4:
	s_or_b64 exec, exec, s[6:7]
	s_mov_b64 s[6:7], 0
.LBB249_5:
	s_andn2_b64 vcc, exec, s[6:7]
	s_cbranch_vccnz .LBB249_9
; %bb.6:
	v_cmp_gt_i32_e32 vcc, s64, v36
	s_and_saveexec_b64 s[6:7], vcc
	s_cbranch_execz .LBB249_9
; %bb.7:
	s_load_dwordx2 s[6:7], s[0:1], 0x8
	s_load_dwordx2 s[8:9], s[0:1], 0x18
	s_mul_hi_i32 s5, s64, s4
	s_mul_i32 s4, s64, s4
	s_lshl_b32 s50, s64, 2
	s_lshl_b64 s[4:5], s[4:5], 3
	s_waitcnt lgkmcnt(0)
	s_add_u32 s52, s8, s4
	s_load_dword s10, s[0:1], 0x3c
	s_addc_u32 s3, s9, s5
	s_lshl_b64 s[0:1], s[64:65], 2
	s_add_u32 s48, s52, s0
	s_addc_u32 s4, s3, s1
	s_and_b32 s53, s3, 0xffff
	s_and_b32 s49, s4, 0xffff
	s_mul_i32 s3, s2, s65
	s_mul_hi_u32 s4, s2, s64
	s_add_i32 s3, s4, s3
	s_mul_i32 s2, s2, s64
	s_lshl_b64 s[2:3], s[2:3], 3
	s_add_u32 s56, s6, s2
	s_addc_u32 s2, s7, s3
	s_add_u32 s60, s56, s0
	s_addc_u32 s0, s2, s1
	s_mov_b32 s47, 0x20000
	s_and_b32 s61, s0, 0xffff
	s_waitcnt lgkmcnt(0)
	s_and_b32 s0, s10, 0xffff
	s_mov_b32 s67, 0
	s_mov_b32 s51, s47
	s_and_b32 s57, s2, 0xffff
	v_mov_b32_e32 v37, 0
	s_lshl_b32 s66, s0, 4
	v_lshlrev_b32_e32 v52, 5, v0
	s_lshl_b32 s33, s0, 5
	v_lshlrev_b32_e32 v53, 6, v0
	s_lshl_b32 s70, s0, 6
	s_mov_b64 s[68:69], 0
	s_mov_b32 s58, s50
	s_mov_b32 s59, s47
	;; [unrolled: 1-line block ×5, first 2 shown]
	v_mov_b32_e32 v54, 0x7f800000
	s_mov_b32 s74, 0xc0e00000
	v_mov_b32_e32 v55, 0x40e00000
	s_mov_b32 s62, s50
	s_mov_b32 s63, s47
	;; [unrolled: 1-line block ×4, first 2 shown]
.LBB249_8:                              ; =>This Inner Loop Header: Depth=1
	buffer_load_dwordx4 v[4:7], v53, s[56:59], 0 offen
	buffer_load_dwordx4 v[8:11], v53, s[52:55], 0 offen
	;; [unrolled: 1-line block ×11, first 2 shown]
	v_lshl_add_u64 v[36:37], s[66:67], 0, v[36:37]
	v_cmp_le_i64_e64 s[40:41], s[64:65], v[36:37]
	s_or_b64 s[68:69], s[40:41], s[68:69]
	s_waitcnt vmcnt(9)
	v_pk_add_f32 v[38:39], v[6:7], v[10:11]
	v_pk_add_f32 v[40:41], v[4:5], v[8:9]
	buffer_load_dwordx4 v[8:11], v53, s[60:63], 32 offen
	buffer_load_dwordx4 v[4:7], v53, s[60:63], 48 offen
	s_waitcnt vmcnt(7)
	v_pk_add_f32 v[34:35], v[30:31], v[34:35]
	v_pk_add_f32 v[32:33], v[28:29], v[32:33]
	buffer_load_dwordx4 v[28:31], v53, s[48:51], 32 offen
	s_waitcnt vmcnt(6)
	v_pk_add_f32 v[26:27], v[22:23], v[26:27]
	v_pk_add_f32 v[24:25], v[20:21], v[24:25]
	buffer_load_dwordx4 v[20:23], v53, s[52:55], 48 offen
	v_pk_add_f32 v[42:43], v[46:47], v[50:51]
	v_pk_add_f32 v[44:45], v[44:45], v[48:49]
	s_waitcnt vmcnt(5)
	v_pk_add_f32 v[46:47], v[14:15], v[18:19]
	v_pk_add_f32 v[48:49], v[12:13], v[16:17]
	buffer_load_dwordx4 v[12:15], v53, s[48:51], 48 offen
	v_med3_f32 v16, v24, s74, v55
	v_med3_f32 v18, v26, s74, v55
	;; [unrolled: 1-line block ×4, first 2 shown]
	v_pk_add_f32 v[16:17], v[16:17], 1.0 op_sel_hi:[1,0]
	v_pk_add_f32 v[18:19], v[18:19], 1.0 op_sel_hi:[1,0]
	v_add_u32_e32 v53, s70, v53
	s_waitcnt vmcnt(2)
	v_pk_add_f32 v[10:11], v[10:11], v[30:31]
	v_min_f32_e32 v30, 0x40e00000, v40
	v_pk_add_f32 v[8:9], v[8:9], v[28:29]
	s_waitcnt vmcnt(1)
	v_pk_add_f32 v[28:29], v[2:3], v[22:23]
	v_min_f32_e32 v31, 0x40e00000, v41
	v_min_f32_e32 v2, 0x40e00000, v32
	v_mul_f32_e32 v32, 0xbfd9db23, v30
	v_min_f32_e32 v3, 0x40e00000, v33
	s_waitcnt vmcnt(0)
	v_pk_add_f32 v[58:59], v[4:5], v[12:13]
	v_min_f32_e32 v5, 0x40e00000, v35
	v_mul_f32_e32 v33, 0xbfd9db23, v31
	v_mul_f32_e32 v35, 0x3fb8aa3b, v32
	v_pk_add_f32 v[56:57], v[0:1], v[20:21]
	v_pk_add_f32 v[50:51], v[6:7], v[14:15]
	v_min_f32_e32 v0, 0x40e00000, v38
	v_med3_f32 v14, v42, s74, v55
	v_mul_f32_e32 v38, 0x3fb8aa3b, v33
	v_fma_f32 v42, v32, s71, -v35
	v_cmp_ngt_f32_e64 s[8:9], s72, v32
	v_cmp_nlt_f32_e64 s[10:11], s73, v32
	v_fmac_f32_e32 v42, 0x32a5705f, v32
	v_fma_f32 v32, v33, s71, -v38
	v_cmp_ngt_f32_e64 s[12:13], s72, v33
	v_cmp_nlt_f32_e64 s[14:15], s73, v33
	v_fmac_f32_e32 v32, 0x32a5705f, v33
	v_rndne_f32_e32 v33, v35
	v_med3_f32 v15, v43, s74, v55
	v_sub_f32_e32 v35, v35, v33
	v_rndne_f32_e32 v43, v38
	v_add_f32_e32 v42, v35, v42
	v_sub_f32_e32 v35, v38, v43
	v_add_f32_e32 v32, v35, v32
	v_cvt_i32_f32_e32 v33, v33
	v_exp_f32_e32 v38, v42
	v_cvt_i32_f32_e32 v42, v43
	v_exp_f32_e32 v32, v32
	v_min_f32_e32 v1, 0x40e00000, v39
	v_ldexp_f32 v38, v38, v33
	v_cndmask_b32_e64 v38, 0, v38, s[8:9]
	v_ldexp_f32 v32, v32, v42
	v_cndmask_b32_e64 v32, 0, v32, s[12:13]
	v_cndmask_b32_e64 v38, v54, v38, s[10:11]
	;; [unrolled: 1-line block ×3, first 2 shown]
	v_add_f32_e32 v38, 1.0, v38
	v_add_f32_e32 v32, 1.0, v32
	v_med3_f32 v12, v44, s74, v55
	v_mul_f32_e32 v44, 0xbfd9db23, v1
	v_rcp_f32_e32 v42, v38
	v_rcp_f32_e32 v43, v32
	v_mul_f32_e32 v39, 0x3fb8aa3b, v44
	v_min_f32_e32 v7, 0x40e00000, v49
	v_med3_f32 v20, v8, s74, v55
	v_min_f32_e32 v8, 0x40e00000, v46
	v_med3_f32 v22, v10, s74, v55
	v_min_f32_e32 v10, 0x40e00000, v56
	v_mul_f32_e32 v46, 0xbfd9db23, v3
	v_fma_f32 v56, v44, s71, -v39
	v_cmp_ngt_f32_e64 s[36:37], s72, v44
	v_cmp_nlt_f32_e64 s[0:1], s73, v44
	v_mul_f32_e32 v35, 0x3fb8aa3b, v46
	v_fmac_f32_e32 v56, 0x32a5705f, v44
	v_mul_f32_e32 v44, 0xbfd9db23, v7
	v_med3_f32 v13, v45, s74, v55
	v_med3_f32 v26, v58, s74, v55
	v_min_f32_e32 v24, 0x40e00000, v28
	v_med3_f32 v28, v50, s74, v55
	v_mul_f32_e32 v45, 0xbfd9db23, v2
	v_mul_f32_e32 v58, 0xbfd9db23, v5
	v_pk_mul_f32 v[30:31], v[30:31], v[42:43]
	v_fma_f32 v50, v46, s71, -v35
	v_mul_f32_e32 v42, 0x3fb8aa3b, v44
	v_min_f32_e32 v4, 0x40e00000, v34
	v_mul_f32_e32 v34, 0x3fb8aa3b, v45
	v_cmp_ngt_f32_e64 s[30:31], s72, v46
	v_cmp_nlt_f32_e64 s[4:5], s73, v46
	v_mul_f32_e32 v38, 0x3fb8aa3b, v58
	v_fmac_f32_e32 v50, 0x32a5705f, v46
	v_fma_f32 v43, v44, s71, -v42
	v_mul_f32_e32 v46, 0xbfd9db23, v8
	v_min_f32_e32 v6, 0x40e00000, v48
	v_med3_f32 v21, v9, s74, v55
	v_min_f32_e32 v9, 0x40e00000, v47
	v_min_f32_e32 v25, 0x40e00000, v29
	v_med3_f32 v29, v51, s74, v55
	v_mul_f32_e32 v47, 0xbfd9db23, v4
	v_fma_f32 v51, v45, s71, -v34
	v_fma_f32 v48, v58, s71, -v38
	v_cmp_ngt_f32_e64 s[24:25], s72, v44
	v_cmp_nlt_f32_e64 s[12:13], s73, v44
	v_fmac_f32_e32 v43, 0x32a5705f, v44
	v_mul_f32_e32 v44, 0x3fb8aa3b, v46
	v_mul_f32_e32 v40, 0xbfd9db23, v0
	v_cmp_ngt_f32_e64 s[28:29], s72, v45
	v_cmp_nlt_f32_e64 s[2:3], s73, v45
	v_mul_f32_e32 v33, 0x3fb8aa3b, v47
	v_cmp_ngt_f32_e64 s[34:35], s72, v58
	v_cmp_nlt_f32_e64 s[8:9], s73, v58
	v_fmac_f32_e32 v51, 0x32a5705f, v45
	v_fmac_f32_e32 v48, 0x32a5705f, v58
	v_fma_f32 v45, v46, s71, -v44
	v_mul_f32_e32 v58, 0xbfd9db23, v9
	v_med3_f32 v27, v59, s74, v55
	v_mul_f32_e32 v59, 0xbfd9db23, v6
	v_mul_f32_e32 v41, 0x3fb8aa3b, v40
	v_fma_f32 v49, v47, s71, -v33
	v_cmp_ngt_f32_e64 s[22:23], s72, v46
	v_cmp_nlt_f32_e64 s[14:15], s73, v46
	v_fmac_f32_e32 v45, 0x32a5705f, v46
	v_mul_f32_e32 v46, 0x3fb8aa3b, v58
	v_med3_f32 v23, v11, s74, v55
	v_min_f32_e32 v11, 0x40e00000, v57
	v_cmp_ngt_f32_e64 s[26:27], s72, v47
	v_cmp_nlt_f32_e64 s[6:7], s73, v47
	v_mul_f32_e32 v32, 0x3fb8aa3b, v59
	v_fma_f32 v57, v40, s71, -v41
	v_fmac_f32_e32 v49, 0x32a5705f, v47
	v_fma_f32 v47, v58, s71, -v46
	v_cmp_ngt_f32_e64 s[38:39], s72, v40
	v_cmp_nlt_f32_e32 vcc, s73, v40
	v_fmac_f32_e32 v57, 0x32a5705f, v40
	v_fma_f32 v40, v59, s71, -v32
	v_cmp_ngt_f32_e64 s[20:21], s72, v58
	v_cmp_nlt_f32_e64 s[16:17], s73, v58
	v_fmac_f32_e32 v47, 0x32a5705f, v58
	v_mul_f32_e32 v58, 0xbfd9db23, v10
	v_cmp_ngt_f32_e64 s[18:19], s72, v59
	v_cmp_nlt_f32_e64 s[10:11], s73, v59
	v_fmac_f32_e32 v40, 0x32a5705f, v59
	v_mul_f32_e32 v59, 0x3fb8aa3b, v58
	v_fma_f32 v60, v58, s71, -v59
	v_cmp_ngt_f32_e64 s[42:43], s72, v58
	v_cmp_nlt_f32_e64 s[40:41], s73, v58
	v_fmac_f32_e32 v60, 0x32a5705f, v58
	v_rndne_f32_e32 v58, v41
	v_sub_f32_e32 v41, v41, v58
	v_add_f32_e32 v41, v41, v57
	v_cvt_i32_f32_e32 v57, v58
	v_rndne_f32_e32 v58, v39
	v_sub_f32_e32 v39, v39, v58
	v_add_f32_e32 v39, v39, v56
	v_cvt_i32_f32_e32 v56, v58
	v_exp_f32_e32 v39, v39
	v_exp_f32_e32 v41, v41
	v_pk_add_f32 v[12:13], v[12:13], 1.0 op_sel_hi:[1,0]
	v_pk_add_f32 v[14:15], v[14:15], 1.0 op_sel_hi:[1,0]
	v_ldexp_f32 v39, v39, v56
	v_mul_f32_e32 v56, 0xbfd9db23, v11
	v_ldexp_f32 v41, v41, v57
	v_mul_f32_e32 v57, 0x3fb8aa3b, v56
	v_fma_f32 v58, v56, s71, -v57
	v_cndmask_b32_e64 v41, 0, v41, s[38:39]
	v_cndmask_b32_e64 v39, 0, v39, s[36:37]
	v_cmp_ngt_f32_e64 s[38:39], s72, v56
	v_cmp_nlt_f32_e64 s[36:37], s73, v56
	v_fmac_f32_e32 v58, 0x32a5705f, v56
	v_rndne_f32_e32 v56, v34
	v_sub_f32_e32 v34, v34, v56
	v_add_f32_e32 v34, v34, v51
	v_cvt_i32_f32_e32 v51, v56
	v_rndne_f32_e32 v56, v35
	v_sub_f32_e32 v35, v35, v56
	v_add_f32_e32 v35, v35, v50
	v_cvt_i32_f32_e32 v50, v56
	v_exp_f32_e32 v35, v35
	v_exp_f32_e32 v34, v34
	v_cndmask_b32_e32 v41, v54, v41, vcc
	v_cndmask_b32_e64 v39, v54, v39, s[0:1]
	v_ldexp_f32 v35, v35, v50
	v_mul_f32_e32 v50, 0xbfd9db23, v24
	v_ldexp_f32 v34, v34, v51
	v_mul_f32_e32 v51, 0x3fb8aa3b, v50
	v_fma_f32 v56, v50, s71, -v51
	v_cndmask_b32_e64 v34, 0, v34, s[28:29]
	v_cndmask_b32_e64 v35, 0, v35, s[30:31]
	v_cmp_ngt_f32_e64 s[28:29], s72, v50
	v_cmp_nlt_f32_e64 s[30:31], s73, v50
	v_fmac_f32_e32 v56, 0x32a5705f, v50
	v_rndne_f32_e32 v50, v33
	v_sub_f32_e32 v33, v33, v50
	v_add_f32_e32 v33, v33, v49
	v_cvt_i32_f32_e32 v49, v50
	v_rndne_f32_e32 v50, v38
	v_sub_f32_e32 v38, v38, v50
	v_add_f32_e32 v38, v38, v48
	v_cvt_i32_f32_e32 v48, v50
	v_exp_f32_e32 v38, v38
	v_exp_f32_e32 v33, v33
	v_cndmask_b32_e64 v34, v54, v34, s[2:3]
	v_cndmask_b32_e64 v35, v54, v35, s[4:5]
	v_ldexp_f32 v38, v38, v48
	v_mul_f32_e32 v48, 0xbfd9db23, v25
	v_ldexp_f32 v33, v33, v49
	v_mul_f32_e32 v49, 0x3fb8aa3b, v48
	v_fma_f32 v50, v48, s71, -v49
	v_cndmask_b32_e64 v33, 0, v33, s[26:27]
	v_cndmask_b32_e64 v38, 0, v38, s[34:35]
	v_cmp_ngt_f32_e64 s[26:27], s72, v48
	v_cmp_nlt_f32_e64 s[34:35], s73, v48
	v_fmac_f32_e32 v50, 0x32a5705f, v48
	v_rndne_f32_e32 v48, v32
	v_sub_f32_e32 v32, v32, v48
	v_add_f32_e32 v32, v32, v40
	v_rndne_f32_e32 v40, v42
	v_sub_f32_e32 v42, v42, v40
	v_add_f32_e32 v42, v42, v43
	v_cvt_i32_f32_e32 v40, v40
	v_exp_f32_e32 v42, v42
	v_rndne_f32_e32 v43, v44
	v_sub_f32_e32 v44, v44, v43
	v_add_f32_e32 v44, v44, v45
	v_ldexp_f32 v40, v42, v40
	v_cvt_i32_f32_e32 v42, v43
	v_exp_f32_e32 v43, v44
	v_rndne_f32_e32 v45, v46
	v_sub_f32_e32 v46, v46, v45
	v_add_f32_e32 v46, v46, v47
	v_ldexp_f32 v42, v43, v42
	;; [unrolled: 6-line block ×4, first 2 shown]
	v_cvt_i32_f32_e32 v45, v60
	v_exp_f32_e32 v46, v57
	v_rndne_f32_e32 v58, v51
	v_sub_f32_e32 v51, v51, v58
	v_cvt_i32_f32_e32 v48, v48
	v_exp_f32_e32 v32, v32
	v_add_f32_e32 v51, v51, v56
	v_ldexp_f32 v45, v46, v45
	v_cvt_i32_f32_e32 v46, v58
	v_exp_f32_e32 v47, v51
	v_rndne_f32_e32 v56, v49
	v_ldexp_f32 v32, v32, v48
	v_sub_f32_e32 v48, v49, v56
	v_add_f32_e32 v48, v48, v50
	v_ldexp_f32 v46, v47, v46
	v_cvt_i32_f32_e32 v47, v56
	v_exp_f32_e32 v48, v48
	v_cndmask_b32_e64 v32, 0, v32, s[18:19]
	v_cndmask_b32_e64 v40, 0, v40, s[24:25]
	;; [unrolled: 1-line block ×3, first 2 shown]
	v_ldexp_f32 v47, v48, v47
	v_cndmask_b32_e64 v43, 0, v43, s[20:21]
	v_cndmask_b32_e64 v44, 0, v44, s[42:43]
	;; [unrolled: 1-line block ×15, first 2 shown]
	v_add_f32_e32 v41, 1.0, v41
	v_add_f32_e32 v39, 1.0, v39
	;; [unrolled: 1-line block ×14, first 2 shown]
	v_rcp_f32_e32 v32, v41
	v_rcp_f32_e32 v33, v39
	;; [unrolled: 1-line block ×14, first 2 shown]
	v_pk_mul_f32 v[0:1], v[0:1], v[32:33]
	v_pk_mul_f32 v[2:3], v[2:3], v[34:35]
	;; [unrolled: 1-line block ×3, first 2 shown]
	v_pk_add_f32 v[20:21], v[20:21], 1.0 op_sel_hi:[1,0]
	v_pk_add_f32 v[22:23], v[22:23], 1.0 op_sel_hi:[1,0]
	;; [unrolled: 1-line block ×4, first 2 shown]
	v_pk_mul_f32 v[6:7], v[6:7], v[40:41]
	v_pk_mul_f32 v[8:9], v[8:9], v[42:43]
	;; [unrolled: 1-line block ×12, first 2 shown]
	v_cvt_f16_f32_e32 v13, v13
	v_cvt_f16_f32_e32 v12, v12
	;; [unrolled: 1-line block ×16, first 2 shown]
	v_pack_b32_f16 v3, v4, v3
	v_pack_b32_f16 v1, v0, v1
	v_pack_b32_f16 v2, v2, v16
	v_pack_b32_f16 v0, v12, v13
	v_pack_b32_f16 v7, v10, v7
	v_pack_b32_f16 v5, v6, v5
	v_pack_b32_f16 v6, v9, v8
	v_pack_b32_f16 v4, v18, v17
	buffer_store_dwordx4 v[0:3], v52, s[44:47], 0 offen
	buffer_store_dwordx4 v[4:7], v52, s[44:47], 16 offen
	v_add_u32_e32 v52, s33, v52
	s_andn2_b64 exec, exec, s[68:69]
	s_cbranch_execnz .LBB249_8
.LBB249_9:
	s_endpgm
	.section	.rodata,"a",@progbits
	.p2align	6, 0x0
	.amdhsa_kernel _ZN5aiter30swiglu_act_and_mul_bias_kernelIfDF16_afLi16EEEvPT0_PKT_PKT1_PKT2_il
		.amdhsa_group_segment_fixed_size 0
		.amdhsa_private_segment_fixed_size 0
		.amdhsa_kernarg_size 304
		.amdhsa_user_sgpr_count 2
		.amdhsa_user_sgpr_dispatch_ptr 0
		.amdhsa_user_sgpr_queue_ptr 0
		.amdhsa_user_sgpr_kernarg_segment_ptr 1
		.amdhsa_user_sgpr_dispatch_id 0
		.amdhsa_user_sgpr_kernarg_preload_length 0
		.amdhsa_user_sgpr_kernarg_preload_offset 0
		.amdhsa_user_sgpr_private_segment_size 0
		.amdhsa_uses_dynamic_stack 0
		.amdhsa_enable_private_segment 0
		.amdhsa_system_sgpr_workgroup_id_x 1
		.amdhsa_system_sgpr_workgroup_id_y 0
		.amdhsa_system_sgpr_workgroup_id_z 0
		.amdhsa_system_sgpr_workgroup_info 0
		.amdhsa_system_vgpr_workitem_id 0
		.amdhsa_next_free_vgpr 61
		.amdhsa_next_free_sgpr 75
		.amdhsa_accum_offset 64
		.amdhsa_reserve_vcc 1
		.amdhsa_float_round_mode_32 0
		.amdhsa_float_round_mode_16_64 0
		.amdhsa_float_denorm_mode_32 3
		.amdhsa_float_denorm_mode_16_64 3
		.amdhsa_dx10_clamp 1
		.amdhsa_ieee_mode 1
		.amdhsa_fp16_overflow 0
		.amdhsa_tg_split 0
		.amdhsa_exception_fp_ieee_invalid_op 0
		.amdhsa_exception_fp_denorm_src 0
		.amdhsa_exception_fp_ieee_div_zero 0
		.amdhsa_exception_fp_ieee_overflow 0
		.amdhsa_exception_fp_ieee_underflow 0
		.amdhsa_exception_fp_ieee_inexact 0
		.amdhsa_exception_int_div_zero 0
	.end_amdhsa_kernel
	.section	.text._ZN5aiter30swiglu_act_and_mul_bias_kernelIfDF16_afLi16EEEvPT0_PKT_PKT1_PKT2_il,"axG",@progbits,_ZN5aiter30swiglu_act_and_mul_bias_kernelIfDF16_afLi16EEEvPT0_PKT_PKT1_PKT2_il,comdat
.Lfunc_end249:
	.size	_ZN5aiter30swiglu_act_and_mul_bias_kernelIfDF16_afLi16EEEvPT0_PKT_PKT1_PKT2_il, .Lfunc_end249-_ZN5aiter30swiglu_act_and_mul_bias_kernelIfDF16_afLi16EEEvPT0_PKT_PKT1_PKT2_il
                                        ; -- End function
	.section	.AMDGPU.csdata,"",@progbits
; Kernel info:
; codeLenInByte = 3112
; NumSgprs: 81
; NumVgprs: 61
; NumAgprs: 0
; TotalNumVgprs: 61
; ScratchSize: 0
; MemoryBound: 0
; FloatMode: 240
; IeeeMode: 1
; LDSByteSize: 0 bytes/workgroup (compile time only)
; SGPRBlocks: 10
; VGPRBlocks: 7
; NumSGPRsForWavesPerEU: 81
; NumVGPRsForWavesPerEU: 61
; AccumOffset: 64
; Occupancy: 8
; WaveLimiterHint : 0
; COMPUTE_PGM_RSRC2:SCRATCH_EN: 0
; COMPUTE_PGM_RSRC2:USER_SGPR: 2
; COMPUTE_PGM_RSRC2:TRAP_HANDLER: 0
; COMPUTE_PGM_RSRC2:TGID_X_EN: 1
; COMPUTE_PGM_RSRC2:TGID_Y_EN: 0
; COMPUTE_PGM_RSRC2:TGID_Z_EN: 0
; COMPUTE_PGM_RSRC2:TIDIG_COMP_CNT: 0
; COMPUTE_PGM_RSRC3_GFX90A:ACCUM_OFFSET: 15
; COMPUTE_PGM_RSRC3_GFX90A:TG_SPLIT: 0
	.section	.text._ZN5aiter30swiglu_act_and_mul_bias_kernelIfDF16_afLi8EEEvPT0_PKT_PKT1_PKT2_il,"axG",@progbits,_ZN5aiter30swiglu_act_and_mul_bias_kernelIfDF16_afLi8EEEvPT0_PKT_PKT1_PKT2_il,comdat
	.protected	_ZN5aiter30swiglu_act_and_mul_bias_kernelIfDF16_afLi8EEEvPT0_PKT_PKT1_PKT2_il ; -- Begin function _ZN5aiter30swiglu_act_and_mul_bias_kernelIfDF16_afLi8EEEvPT0_PKT_PKT1_PKT2_il
	.globl	_ZN5aiter30swiglu_act_and_mul_bias_kernelIfDF16_afLi8EEEvPT0_PKT_PKT1_PKT2_il
	.p2align	8
	.type	_ZN5aiter30swiglu_act_and_mul_bias_kernelIfDF16_afLi8EEEvPT0_PKT_PKT1_PKT2_il,@function
_ZN5aiter30swiglu_act_and_mul_bias_kernelIfDF16_afLi8EEEvPT0_PKT_PKT1_PKT2_il: ; @_ZN5aiter30swiglu_act_and_mul_bias_kernelIfDF16_afLi8EEEvPT0_PKT_PKT1_PKT2_il
; %bb.0:
	s_load_dwordx2 s[4:5], s[0:1], 0x10
	s_load_dword s14, s[0:1], 0x20
	s_load_dwordx2 s[8:9], s[0:1], 0x28
	v_mov_b32_e32 v1, s2
	s_load_dwordx2 s[10:11], s[0:1], 0x0
	s_waitcnt lgkmcnt(0)
	global_load_ubyte v1, v1, s[4:5]
	s_ashr_i32 s15, s14, 31
	s_mul_hi_u32 s3, s14, s2
	s_mul_i32 s4, s15, s2
	s_add_i32 s13, s3, s4
	s_mov_b32 s5, 0
	s_mul_i32 s12, s14, s2
	v_mov_b64_e32 v[2:3], s[8:9]
	s_lshl_b64 s[8:9], s[12:13], 1
	s_mov_b64 s[6:7], -1
	v_lshlrev_b32_e32 v32, 3, v0
	s_waitcnt vmcnt(0)
	v_readfirstlane_b32 s3, v1
	s_nop 1
	v_mov_b32_e32 v4, s3
	s_sext_i32_i8 s3, s3
	v_readfirstlane_b32 s4, v4
	s_bfe_i64 s[4:5], s[4:5], 0x80000
	s_add_u32 s16, s10, s8
	v_cmp_lt_i64_e32 vcc, s[4:5], v[2:3]
	s_addc_u32 s5, s11, s9
	s_add_i32 s8, s14, 1
	s_lshr_b32 s9, s8, 31
	s_add_i32 s8, s8, s9
	s_and_b32 s17, s5, 0xffff
	s_lshl_b32 s5, s8, 1
	s_and_b32 s18, s5, -4
	s_cmp_gt_i32 s3, -1
	s_cselect_b64 s[8:9], -1, 0
	s_and_b64 s[8:9], s[8:9], vcc
	s_and_b64 vcc, exec, s[8:9]
	s_cbranch_vccnz .LBB250_5
; %bb.1:
	v_cmp_gt_i32_e32 vcc, s14, v32
	s_and_saveexec_b64 s[6:7], vcc
	s_cbranch_execz .LBB250_4
; %bb.2:
	s_load_dword s3, s[0:1], 0x3c
	v_mov_b32_e32 v33, 0
	s_mov_b32 s9, 0
	v_lshlrev_b32_e32 v1, 4, v0
	s_mov_b64 s[10:11], 0
	s_waitcnt lgkmcnt(0)
	s_and_b32 s3, s3, 0xffff
	s_lshl_b32 s8, s3, 3
	s_lshl_b32 s3, s3, 4
	s_mov_b32 s19, 0x20000
	v_mov_b32_e32 v2, v33
	v_mov_b32_e32 v3, v33
	;; [unrolled: 1-line block ×4, first 2 shown]
	v_mov_b64_e32 v[6:7], v[32:33]
.LBB250_3:                              ; =>This Inner Loop Header: Depth=1
	v_lshl_add_u64 v[6:7], s[8:9], 0, v[6:7]
	v_cmp_le_i64_e32 vcc, s[14:15], v[6:7]
	buffer_store_dwordx4 v[2:5], v1, s[16:19], 0 offen
	s_or_b64 s[10:11], vcc, s[10:11]
	v_add_u32_e32 v1, s3, v1
	s_andn2_b64 exec, exec, s[10:11]
	s_cbranch_execnz .LBB250_3
.LBB250_4:
	s_or_b64 exec, exec, s[6:7]
	s_mov_b64 s[6:7], 0
.LBB250_5:
	s_andn2_b64 vcc, exec, s[6:7]
	s_cbranch_vccnz .LBB250_9
; %bb.6:
	v_cmp_gt_i32_e32 vcc, s14, v32
	s_and_saveexec_b64 s[6:7], vcc
	s_cbranch_execz .LBB250_9
; %bb.7:
	s_load_dwordx2 s[6:7], s[0:1], 0x8
	s_load_dwordx2 s[8:9], s[0:1], 0x18
	s_mul_hi_i32 s5, s14, s4
	s_mul_i32 s4, s14, s4
	s_lshl_b32 s22, s14, 2
	s_lshl_b64 s[4:5], s[4:5], 3
	s_waitcnt lgkmcnt(0)
	s_add_u32 s24, s8, s4
	s_load_dword s10, s[0:1], 0x3c
	s_addc_u32 s3, s9, s5
	s_lshl_b64 s[0:1], s[14:15], 2
	s_add_u32 s20, s24, s0
	s_addc_u32 s4, s3, s1
	s_and_b32 s25, s3, 0xffff
	s_and_b32 s21, s4, 0xffff
	s_mul_i32 s3, s2, s15
	s_mul_hi_u32 s4, s2, s14
	s_add_i32 s3, s4, s3
	s_mul_i32 s2, s2, s14
	s_lshl_b64 s[2:3], s[2:3], 3
	s_add_u32 s28, s6, s2
	s_addc_u32 s2, s7, s3
	s_add_u32 s36, s28, s0
	s_addc_u32 s0, s2, s1
	s_mov_b32 s19, 0x20000
	s_and_b32 s37, s0, 0xffff
	s_waitcnt lgkmcnt(0)
	s_and_b32 s0, s10, 0xffff
	s_mov_b32 s35, 0
	s_mov_b32 s23, s19
	s_and_b32 s29, s2, 0xffff
	v_mov_b32_e32 v33, 0
	s_lshl_b32 s34, s0, 3
	v_lshlrev_b32_e32 v34, 4, v0
	s_lshl_b32 s33, s0, 4
	v_lshlrev_b32_e32 v35, 5, v0
	s_lshl_b32 s42, s0, 5
	s_mov_b64 s[40:41], 0
	s_mov_b32 s30, s22
	s_mov_b32 s31, s19
	s_mov_b32 s43, 0x3fb8aa3b
	s_mov_b32 s44, 0xc2ce8ed0
	s_mov_b32 s45, 0x42b17218
	v_mov_b32_e32 v36, 0x7f800000
	s_mov_b32 s46, 0xc0e00000
	v_mov_b32_e32 v37, 0x40e00000
	s_mov_b32 s38, s22
	s_mov_b32 s39, s19
	;; [unrolled: 1-line block ×4, first 2 shown]
.LBB250_8:                              ; =>This Inner Loop Header: Depth=1
	buffer_load_dwordx4 v[4:7], v35, s[24:27], 0 offen
	buffer_load_dwordx4 v[8:11], v35, s[28:31], 0 offen
	;; [unrolled: 1-line block ×8, first 2 shown]
	v_lshl_add_u64 v[32:33], s[34:35], 0, v[32:33]
	v_cmp_le_i64_e32 vcc, s[14:15], v[32:33]
	s_or_b64 s[40:41], vcc, s[40:41]
	v_add_u32_e32 v35, s42, v35
	s_waitcnt vmcnt(6)
	v_pk_add_f32 v[6:7], v[10:11], v[6:7]
	v_pk_add_f32 v[4:5], v[8:9], v[4:5]
	s_waitcnt vmcnt(4)
	v_pk_add_f32 v[8:9], v[2:3], v[26:27]
	v_pk_add_f32 v[2:3], v[0:1], v[24:25]
	s_waitcnt vmcnt(2)
	v_pk_add_f32 v[10:11], v[14:15], v[22:23]
	v_pk_add_f32 v[12:13], v[12:13], v[20:21]
	s_waitcnt vmcnt(0)
	v_pk_add_f32 v[14:15], v[18:19], v[30:31]
	v_pk_add_f32 v[16:17], v[16:17], v[28:29]
	v_min_f32_e32 v1, 0x40e00000, v5
	v_min_f32_e32 v0, 0x40e00000, v4
	v_med3_f32 v19, v3, s46, v37
	v_med3_f32 v18, v2, s46, v37
	v_min_f32_e32 v3, 0x40e00000, v7
	v_min_f32_e32 v2, 0x40e00000, v6
	v_med3_f32 v21, v9, s46, v37
	v_med3_f32 v20, v8, s46, v37
	v_min_f32_e32 v5, 0x40e00000, v13
	v_min_f32_e32 v4, 0x40e00000, v12
	;; [unrolled: 1-line block ×4, first 2 shown]
	v_med3_f32 v13, v17, s46, v37
	v_med3_f32 v12, v16, s46, v37
	v_mul_f32_e32 v16, 0xbfd9db23, v0
	v_mul_f32_e32 v17, 0xbfd9db23, v1
	v_pk_add_f32 v[8:9], v[18:19], 1.0 op_sel_hi:[1,0]
	v_mul_f32_e32 v18, 0xbfd9db23, v2
	v_mul_f32_e32 v19, 0xbfd9db23, v3
	v_pk_add_f32 v[10:11], v[20:21], 1.0 op_sel_hi:[1,0]
	v_mul_f32_e32 v20, 0xbfd9db23, v4
	v_mul_f32_e32 v21, 0xbfd9db23, v5
	;; [unrolled: 1-line block ×12, first 2 shown]
	v_fma_f32 v38, v16, s43, -v24
	v_rndne_f32_e32 v39, v24
	v_fma_f32 v40, v17, s43, -v25
	v_rndne_f32_e32 v41, v25
	;; [unrolled: 2-line block ×8, first 2 shown]
	v_fmac_f32_e32 v38, 0x32a5705f, v16
	v_sub_f32_e32 v24, v24, v39
	v_fmac_f32_e32 v40, 0x32a5705f, v17
	v_sub_f32_e32 v25, v25, v41
	;; [unrolled: 2-line block ×8, first 2 shown]
	v_add_f32_e32 v24, v24, v38
	v_add_f32_e32 v25, v25, v40
	;; [unrolled: 1-line block ×8, first 2 shown]
	v_cvt_i32_f32_e32 v39, v39
	v_cvt_i32_f32_e32 v41, v41
	;; [unrolled: 1-line block ×8, first 2 shown]
	v_exp_f32_e32 v24, v24
	v_exp_f32_e32 v25, v25
	;; [unrolled: 1-line block ×8, first 2 shown]
	v_ldexp_f32 v24, v24, v39
	v_ldexp_f32 v25, v25, v41
	v_cmp_ngt_f32_e32 vcc, s44, v17
	v_ldexp_f32 v26, v26, v43
	v_cmp_ngt_f32_e64 s[0:1], s44, v18
	v_ldexp_f32 v27, v27, v45
	v_cmp_ngt_f32_e64 s[2:3], s44, v19
	;; [unrolled: 2-line block ×6, first 2 shown]
	v_cmp_ngt_f32_e64 s[12:13], s44, v16
	v_cndmask_b32_e32 v25, 0, v25, vcc
	v_cmp_nlt_f32_e32 vcc, s45, v17
	v_cndmask_b32_e64 v24, 0, v24, s[12:13]
	v_cndmask_b32_e64 v17, 0, v26, s[0:1]
	v_cmp_nlt_f32_e64 s[0:1], s45, v18
	v_cndmask_b32_e64 v18, 0, v27, s[2:3]
	v_cmp_nlt_f32_e64 s[2:3], s45, v19
	;; [unrolled: 2-line block ×6, first 2 shown]
	v_cmp_nlt_f32_e64 s[12:13], s45, v16
	v_cndmask_b32_e32 v23, v36, v25, vcc
	v_cndmask_b32_e64 v17, v36, v17, s[0:1]
	v_cndmask_b32_e64 v16, v36, v24, s[12:13]
	;; [unrolled: 1-line block ×7, first 2 shown]
	v_add_f32_e32 v16, 1.0, v16
	v_add_f32_e32 v23, 1.0, v23
	;; [unrolled: 1-line block ×8, first 2 shown]
	v_rcp_f32_e32 v16, v16
	v_rcp_f32_e32 v17, v23
	;; [unrolled: 1-line block ×8, first 2 shown]
	v_med3_f32 v15, v15, s46, v37
	v_med3_f32 v14, v14, s46, v37
	v_pk_add_f32 v[12:13], v[12:13], 1.0 op_sel_hi:[1,0]
	v_pk_add_f32 v[14:15], v[14:15], 1.0 op_sel_hi:[1,0]
	v_pk_mul_f32 v[0:1], v[0:1], v[16:17]
	v_pk_mul_f32 v[2:3], v[2:3], v[18:19]
	;; [unrolled: 1-line block ×8, first 2 shown]
	v_cvt_f16_f32_e32 v8, v1
	v_cvt_f16_f32_e32 v1, v3
	;; [unrolled: 1-line block ×8, first 2 shown]
	v_pack_b32_f16 v3, v6, v3
	v_pack_b32_f16 v1, v2, v1
	;; [unrolled: 1-line block ×4, first 2 shown]
	buffer_store_dwordx4 v[0:3], v34, s[16:19], 0 offen
	v_add_u32_e32 v34, s33, v34
	s_andn2_b64 exec, exec, s[40:41]
	s_cbranch_execnz .LBB250_8
.LBB250_9:
	s_endpgm
	.section	.rodata,"a",@progbits
	.p2align	6, 0x0
	.amdhsa_kernel _ZN5aiter30swiglu_act_and_mul_bias_kernelIfDF16_afLi8EEEvPT0_PKT_PKT1_PKT2_il
		.amdhsa_group_segment_fixed_size 0
		.amdhsa_private_segment_fixed_size 0
		.amdhsa_kernarg_size 304
		.amdhsa_user_sgpr_count 2
		.amdhsa_user_sgpr_dispatch_ptr 0
		.amdhsa_user_sgpr_queue_ptr 0
		.amdhsa_user_sgpr_kernarg_segment_ptr 1
		.amdhsa_user_sgpr_dispatch_id 0
		.amdhsa_user_sgpr_kernarg_preload_length 0
		.amdhsa_user_sgpr_kernarg_preload_offset 0
		.amdhsa_user_sgpr_private_segment_size 0
		.amdhsa_uses_dynamic_stack 0
		.amdhsa_enable_private_segment 0
		.amdhsa_system_sgpr_workgroup_id_x 1
		.amdhsa_system_sgpr_workgroup_id_y 0
		.amdhsa_system_sgpr_workgroup_id_z 0
		.amdhsa_system_sgpr_workgroup_info 0
		.amdhsa_system_vgpr_workitem_id 0
		.amdhsa_next_free_vgpr 54
		.amdhsa_next_free_sgpr 47
		.amdhsa_accum_offset 56
		.amdhsa_reserve_vcc 1
		.amdhsa_float_round_mode_32 0
		.amdhsa_float_round_mode_16_64 0
		.amdhsa_float_denorm_mode_32 3
		.amdhsa_float_denorm_mode_16_64 3
		.amdhsa_dx10_clamp 1
		.amdhsa_ieee_mode 1
		.amdhsa_fp16_overflow 0
		.amdhsa_tg_split 0
		.amdhsa_exception_fp_ieee_invalid_op 0
		.amdhsa_exception_fp_denorm_src 0
		.amdhsa_exception_fp_ieee_div_zero 0
		.amdhsa_exception_fp_ieee_overflow 0
		.amdhsa_exception_fp_ieee_underflow 0
		.amdhsa_exception_fp_ieee_inexact 0
		.amdhsa_exception_int_div_zero 0
	.end_amdhsa_kernel
	.section	.text._ZN5aiter30swiglu_act_and_mul_bias_kernelIfDF16_afLi8EEEvPT0_PKT_PKT1_PKT2_il,"axG",@progbits,_ZN5aiter30swiglu_act_and_mul_bias_kernelIfDF16_afLi8EEEvPT0_PKT_PKT1_PKT2_il,comdat
.Lfunc_end250:
	.size	_ZN5aiter30swiglu_act_and_mul_bias_kernelIfDF16_afLi8EEEvPT0_PKT_PKT1_PKT2_il, .Lfunc_end250-_ZN5aiter30swiglu_act_and_mul_bias_kernelIfDF16_afLi8EEEvPT0_PKT_PKT1_PKT2_il
                                        ; -- End function
	.section	.AMDGPU.csdata,"",@progbits
; Kernel info:
; codeLenInByte = 1848
; NumSgprs: 53
; NumVgprs: 54
; NumAgprs: 0
; TotalNumVgprs: 54
; ScratchSize: 0
; MemoryBound: 0
; FloatMode: 240
; IeeeMode: 1
; LDSByteSize: 0 bytes/workgroup (compile time only)
; SGPRBlocks: 6
; VGPRBlocks: 6
; NumSGPRsForWavesPerEU: 53
; NumVGPRsForWavesPerEU: 54
; AccumOffset: 56
; Occupancy: 8
; WaveLimiterHint : 0
; COMPUTE_PGM_RSRC2:SCRATCH_EN: 0
; COMPUTE_PGM_RSRC2:USER_SGPR: 2
; COMPUTE_PGM_RSRC2:TRAP_HANDLER: 0
; COMPUTE_PGM_RSRC2:TGID_X_EN: 1
; COMPUTE_PGM_RSRC2:TGID_Y_EN: 0
; COMPUTE_PGM_RSRC2:TGID_Z_EN: 0
; COMPUTE_PGM_RSRC2:TIDIG_COMP_CNT: 0
; COMPUTE_PGM_RSRC3_GFX90A:ACCUM_OFFSET: 13
; COMPUTE_PGM_RSRC3_GFX90A:TG_SPLIT: 0
	.section	.text._ZN5aiter30swiglu_act_and_mul_bias_kernelIfDF16_afLi4EEEvPT0_PKT_PKT1_PKT2_il,"axG",@progbits,_ZN5aiter30swiglu_act_and_mul_bias_kernelIfDF16_afLi4EEEvPT0_PKT_PKT1_PKT2_il,comdat
	.protected	_ZN5aiter30swiglu_act_and_mul_bias_kernelIfDF16_afLi4EEEvPT0_PKT_PKT1_PKT2_il ; -- Begin function _ZN5aiter30swiglu_act_and_mul_bias_kernelIfDF16_afLi4EEEvPT0_PKT_PKT1_PKT2_il
	.globl	_ZN5aiter30swiglu_act_and_mul_bias_kernelIfDF16_afLi4EEEvPT0_PKT_PKT1_PKT2_il
	.p2align	8
	.type	_ZN5aiter30swiglu_act_and_mul_bias_kernelIfDF16_afLi4EEEvPT0_PKT_PKT1_PKT2_il,@function
_ZN5aiter30swiglu_act_and_mul_bias_kernelIfDF16_afLi4EEEvPT0_PKT_PKT1_PKT2_il: ; @_ZN5aiter30swiglu_act_and_mul_bias_kernelIfDF16_afLi4EEEvPT0_PKT_PKT1_PKT2_il
; %bb.0:
	s_load_dwordx2 s[4:5], s[0:1], 0x10
	s_load_dword s28, s[0:1], 0x20
	s_load_dwordx2 s[8:9], s[0:1], 0x28
	v_mov_b32_e32 v1, s2
	s_load_dwordx2 s[10:11], s[0:1], 0x0
	s_waitcnt lgkmcnt(0)
	global_load_ubyte v1, v1, s[4:5]
	s_ashr_i32 s29, s28, 31
	s_mul_hi_u32 s3, s28, s2
	s_mul_i32 s4, s29, s2
	s_add_i32 s13, s3, s4
	s_mov_b32 s5, 0
	s_mul_i32 s12, s28, s2
	v_mov_b64_e32 v[2:3], s[8:9]
	s_lshl_b64 s[8:9], s[12:13], 1
	s_mov_b64 s[6:7], -1
	v_lshlrev_b32_e32 v16, 2, v0
	s_waitcnt vmcnt(0)
	v_readfirstlane_b32 s3, v1
	s_nop 1
	v_mov_b32_e32 v4, s3
	s_sext_i32_i8 s3, s3
	v_readfirstlane_b32 s4, v4
	s_bfe_i64 s[4:5], s[4:5], 0x80000
	s_add_u32 s8, s10, s8
	v_cmp_lt_i64_e32 vcc, s[4:5], v[2:3]
	s_addc_u32 s5, s11, s9
	s_add_i32 s10, s28, 1
	s_lshr_b32 s11, s10, 31
	s_add_i32 s10, s10, s11
	s_and_b32 s9, s5, 0xffff
	s_lshl_b32 s5, s10, 1
	s_and_b32 s10, s5, -4
	s_cmp_gt_i32 s3, -1
	s_cselect_b64 s[12:13], -1, 0
	s_and_b64 s[12:13], s[12:13], vcc
	s_and_b64 vcc, exec, s[12:13]
	s_cbranch_vccnz .LBB251_5
; %bb.1:
	v_cmp_gt_i32_e32 vcc, s28, v16
	s_and_saveexec_b64 s[6:7], vcc
	s_cbranch_execz .LBB251_4
; %bb.2:
	s_load_dword s3, s[0:1], 0x3c
	v_mov_b32_e32 v17, 0
	s_mov_b32 s13, 0
	v_lshlrev_b32_e32 v1, 3, v0
	s_mov_b64 s[14:15], 0
	s_waitcnt lgkmcnt(0)
	s_and_b32 s3, s3, 0xffff
	s_lshl_b32 s12, s3, 2
	s_lshl_b32 s3, s3, 3
	s_mov_b32 s11, 0x20000
	v_mov_b32_e32 v2, v17
	v_mov_b32_e32 v3, v17
	v_mov_b64_e32 v[4:5], v[16:17]
.LBB251_3:                              ; =>This Inner Loop Header: Depth=1
	v_lshl_add_u64 v[4:5], s[12:13], 0, v[4:5]
	v_cmp_le_i64_e32 vcc, s[28:29], v[4:5]
	buffer_store_dwordx2 v[2:3], v1, s[8:11], 0 offen
	s_or_b64 s[14:15], vcc, s[14:15]
	v_add_u32_e32 v1, s3, v1
	s_andn2_b64 exec, exec, s[14:15]
	s_cbranch_execnz .LBB251_3
.LBB251_4:
	s_or_b64 exec, exec, s[6:7]
	s_mov_b64 s[6:7], 0
.LBB251_5:
	s_andn2_b64 vcc, exec, s[6:7]
	s_cbranch_vccnz .LBB251_9
; %bb.6:
	v_cmp_gt_i32_e32 vcc, s28, v16
	s_and_saveexec_b64 s[6:7], vcc
	s_cbranch_execz .LBB251_9
; %bb.7:
	s_load_dwordx2 s[6:7], s[0:1], 0x8
	s_load_dwordx2 s[12:13], s[0:1], 0x18
	s_mul_hi_i32 s5, s28, s4
	s_mul_i32 s4, s28, s4
	s_lshl_b32 s14, s28, 2
	s_lshl_b64 s[4:5], s[4:5], 3
	s_waitcnt lgkmcnt(0)
	s_add_u32 s16, s12, s4
	s_load_dword s18, s[0:1], 0x3c
	s_addc_u32 s3, s13, s5
	s_lshl_b64 s[0:1], s[28:29], 2
	s_add_u32 s12, s16, s0
	s_addc_u32 s4, s3, s1
	s_and_b32 s17, s3, 0xffff
	s_and_b32 s13, s4, 0xffff
	s_mul_i32 s3, s2, s29
	s_mul_hi_u32 s4, s2, s28
	s_add_i32 s3, s4, s3
	s_mul_i32 s2, s2, s28
	s_lshl_b64 s[2:3], s[2:3], 3
	s_add_u32 s20, s6, s2
	s_addc_u32 s2, s7, s3
	s_add_u32 s24, s20, s0
	s_addc_u32 s0, s2, s1
	s_mov_b32 s11, 0x20000
	s_and_b32 s25, s0, 0xffff
	s_waitcnt lgkmcnt(0)
	s_and_b32 s0, s18, 0xffff
	s_mov_b32 s31, 0
	s_mov_b32 s15, s11
	s_and_b32 s21, s2, 0xffff
	v_mov_b32_e32 v17, 0
	s_lshl_b32 s30, s0, 2
	v_lshlrev_b32_e32 v18, 3, v0
	s_lshl_b32 s33, s0, 3
	v_lshlrev_b32_e32 v19, 4, v0
	s_lshl_b32 s36, s0, 4
	s_mov_b64 s[34:35], 0
	s_mov_b32 s22, s14
	s_mov_b32 s23, s11
	;; [unrolled: 1-line block ×5, first 2 shown]
	v_mov_b32_e32 v20, 0x7f800000
	s_mov_b32 s40, 0xc0e00000
	v_mov_b32_e32 v21, 0x40e00000
	s_mov_b32 s26, s14
	s_mov_b32 s27, s11
	s_mov_b32 s18, s14
	s_mov_b32 s19, s11
.LBB251_8:                              ; =>This Inner Loop Header: Depth=1
	buffer_load_dwordx4 v[4:7], v19, s[16:19], 0 offen
	buffer_load_dwordx4 v[8:11], v19, s[20:23], 0 offen
	;; [unrolled: 1-line block ×4, first 2 shown]
	v_lshl_add_u64 v[16:17], s[30:31], 0, v[16:17]
	v_cmp_le_i64_e32 vcc, s[28:29], v[16:17]
	v_add_u32_e32 v19, s36, v19
	s_or_b64 s[34:35], vcc, s[34:35]
	s_waitcnt vmcnt(2)
	v_pk_add_f32 v[6:7], v[10:11], v[6:7]
	v_pk_add_f32 v[4:5], v[8:9], v[4:5]
	v_min_f32_e32 v7, 0x40e00000, v7
	v_min_f32_e32 v5, 0x40e00000, v5
	;; [unrolled: 1-line block ×4, first 2 shown]
	v_mul_f32_e32 v8, 0xbfd9db23, v4
	v_mul_f32_e32 v9, 0xbfd9db23, v5
	;; [unrolled: 1-line block ×4, first 2 shown]
	s_waitcnt vmcnt(0)
	v_pk_add_f32 v[2:3], v[2:3], v[14:15]
	v_pk_add_f32 v[0:1], v[0:1], v[12:13]
	v_mul_f32_e32 v12, 0x3fb8aa3b, v8
	v_mul_f32_e32 v13, 0x3fb8aa3b, v9
	;; [unrolled: 1-line block ×4, first 2 shown]
	v_fma_f32 v22, v8, s37, -v12
	v_rndne_f32_e32 v23, v12
	v_fma_f32 v24, v9, s37, -v13
	v_rndne_f32_e32 v25, v13
	;; [unrolled: 2-line block ×4, first 2 shown]
	v_fmac_f32_e32 v22, 0x32a5705f, v8
	v_sub_f32_e32 v12, v12, v23
	v_fmac_f32_e32 v24, 0x32a5705f, v9
	v_sub_f32_e32 v13, v13, v25
	;; [unrolled: 2-line block ×4, first 2 shown]
	v_add_f32_e32 v12, v12, v22
	v_add_f32_e32 v13, v13, v24
	;; [unrolled: 1-line block ×4, first 2 shown]
	v_cvt_i32_f32_e32 v23, v23
	v_cvt_i32_f32_e32 v25, v25
	;; [unrolled: 1-line block ×4, first 2 shown]
	v_exp_f32_e32 v12, v12
	v_exp_f32_e32 v13, v13
	;; [unrolled: 1-line block ×4, first 2 shown]
	v_ldexp_f32 v12, v12, v23
	v_ldexp_f32 v13, v13, v25
	v_cmp_ngt_f32_e64 s[0:1], s38, v9
	v_ldexp_f32 v14, v14, v27
	v_cmp_ngt_f32_e64 s[2:3], s38, v10
	;; [unrolled: 2-line block ×3, first 2 shown]
	v_cmp_ngt_f32_e64 s[6:7], s38, v8
	v_cndmask_b32_e64 v13, 0, v13, s[0:1]
	v_cmp_nlt_f32_e64 s[0:1], s39, v9
	v_cndmask_b32_e64 v12, 0, v12, s[6:7]
	v_cndmask_b32_e64 v9, 0, v14, s[2:3]
	v_cmp_nlt_f32_e64 s[2:3], s39, v10
	v_cndmask_b32_e64 v10, 0, v15, s[4:5]
	v_cmp_nlt_f32_e64 s[4:5], s39, v11
	v_cmp_nlt_f32_e64 s[6:7], s39, v8
	v_cndmask_b32_e64 v11, v20, v13, s[0:1]
	v_cndmask_b32_e64 v9, v20, v9, s[2:3]
	;; [unrolled: 1-line block ×4, first 2 shown]
	v_add_f32_e32 v8, 1.0, v8
	v_add_f32_e32 v11, 1.0, v11
	;; [unrolled: 1-line block ×4, first 2 shown]
	v_rcp_f32_e32 v8, v8
	v_rcp_f32_e32 v9, v11
	;; [unrolled: 1-line block ×4, first 2 shown]
	v_med3_f32 v1, v1, s40, v21
	v_med3_f32 v0, v0, s40, v21
	v_med3_f32 v3, v3, s40, v21
	v_med3_f32 v2, v2, s40, v21
	v_pk_add_f32 v[0:1], v[0:1], 1.0 op_sel_hi:[1,0]
	v_pk_add_f32 v[2:3], v[2:3], 1.0 op_sel_hi:[1,0]
	v_pk_mul_f32 v[4:5], v[4:5], v[8:9]
	v_pk_mul_f32 v[6:7], v[6:7], v[10:11]
	;; [unrolled: 1-line block ×4, first 2 shown]
	v_cvt_f16_f32_e32 v4, v1
	v_cvt_f16_f32_e32 v1, v3
	;; [unrolled: 1-line block ×4, first 2 shown]
	v_pack_b32_f16 v1, v2, v1
	v_pack_b32_f16 v0, v0, v4
	buffer_store_dwordx2 v[0:1], v18, s[8:11], 0 offen
	v_add_u32_e32 v18, s33, v18
	s_andn2_b64 exec, exec, s[34:35]
	s_cbranch_execnz .LBB251_8
.LBB251_9:
	s_endpgm
	.section	.rodata,"a",@progbits
	.p2align	6, 0x0
	.amdhsa_kernel _ZN5aiter30swiglu_act_and_mul_bias_kernelIfDF16_afLi4EEEvPT0_PKT_PKT1_PKT2_il
		.amdhsa_group_segment_fixed_size 0
		.amdhsa_private_segment_fixed_size 0
		.amdhsa_kernarg_size 304
		.amdhsa_user_sgpr_count 2
		.amdhsa_user_sgpr_dispatch_ptr 0
		.amdhsa_user_sgpr_queue_ptr 0
		.amdhsa_user_sgpr_kernarg_segment_ptr 1
		.amdhsa_user_sgpr_dispatch_id 0
		.amdhsa_user_sgpr_kernarg_preload_length 0
		.amdhsa_user_sgpr_kernarg_preload_offset 0
		.amdhsa_user_sgpr_private_segment_size 0
		.amdhsa_uses_dynamic_stack 0
		.amdhsa_enable_private_segment 0
		.amdhsa_system_sgpr_workgroup_id_x 1
		.amdhsa_system_sgpr_workgroup_id_y 0
		.amdhsa_system_sgpr_workgroup_id_z 0
		.amdhsa_system_sgpr_workgroup_info 0
		.amdhsa_system_vgpr_workitem_id 0
		.amdhsa_next_free_vgpr 30
		.amdhsa_next_free_sgpr 41
		.amdhsa_accum_offset 32
		.amdhsa_reserve_vcc 1
		.amdhsa_float_round_mode_32 0
		.amdhsa_float_round_mode_16_64 0
		.amdhsa_float_denorm_mode_32 3
		.amdhsa_float_denorm_mode_16_64 3
		.amdhsa_dx10_clamp 1
		.amdhsa_ieee_mode 1
		.amdhsa_fp16_overflow 0
		.amdhsa_tg_split 0
		.amdhsa_exception_fp_ieee_invalid_op 0
		.amdhsa_exception_fp_denorm_src 0
		.amdhsa_exception_fp_ieee_div_zero 0
		.amdhsa_exception_fp_ieee_overflow 0
		.amdhsa_exception_fp_ieee_underflow 0
		.amdhsa_exception_fp_ieee_inexact 0
		.amdhsa_exception_int_div_zero 0
	.end_amdhsa_kernel
	.section	.text._ZN5aiter30swiglu_act_and_mul_bias_kernelIfDF16_afLi4EEEvPT0_PKT_PKT1_PKT2_il,"axG",@progbits,_ZN5aiter30swiglu_act_and_mul_bias_kernelIfDF16_afLi4EEEvPT0_PKT_PKT1_PKT2_il,comdat
.Lfunc_end251:
	.size	_ZN5aiter30swiglu_act_and_mul_bias_kernelIfDF16_afLi4EEEvPT0_PKT_PKT1_PKT2_il, .Lfunc_end251-_ZN5aiter30swiglu_act_and_mul_bias_kernelIfDF16_afLi4EEEvPT0_PKT_PKT1_PKT2_il
                                        ; -- End function
	.section	.AMDGPU.csdata,"",@progbits
; Kernel info:
; codeLenInByte = 1240
; NumSgprs: 47
; NumVgprs: 30
; NumAgprs: 0
; TotalNumVgprs: 30
; ScratchSize: 0
; MemoryBound: 0
; FloatMode: 240
; IeeeMode: 1
; LDSByteSize: 0 bytes/workgroup (compile time only)
; SGPRBlocks: 5
; VGPRBlocks: 3
; NumSGPRsForWavesPerEU: 47
; NumVGPRsForWavesPerEU: 30
; AccumOffset: 32
; Occupancy: 8
; WaveLimiterHint : 0
; COMPUTE_PGM_RSRC2:SCRATCH_EN: 0
; COMPUTE_PGM_RSRC2:USER_SGPR: 2
; COMPUTE_PGM_RSRC2:TRAP_HANDLER: 0
; COMPUTE_PGM_RSRC2:TGID_X_EN: 1
; COMPUTE_PGM_RSRC2:TGID_Y_EN: 0
; COMPUTE_PGM_RSRC2:TGID_Z_EN: 0
; COMPUTE_PGM_RSRC2:TIDIG_COMP_CNT: 0
; COMPUTE_PGM_RSRC3_GFX90A:ACCUM_OFFSET: 7
; COMPUTE_PGM_RSRC3_GFX90A:TG_SPLIT: 0
	.section	.text._ZN5aiter30swiglu_act_and_mul_bias_kernelIfDF16_afLi2EEEvPT0_PKT_PKT1_PKT2_il,"axG",@progbits,_ZN5aiter30swiglu_act_and_mul_bias_kernelIfDF16_afLi2EEEvPT0_PKT_PKT1_PKT2_il,comdat
	.protected	_ZN5aiter30swiglu_act_and_mul_bias_kernelIfDF16_afLi2EEEvPT0_PKT_PKT1_PKT2_il ; -- Begin function _ZN5aiter30swiglu_act_and_mul_bias_kernelIfDF16_afLi2EEEvPT0_PKT_PKT1_PKT2_il
	.globl	_ZN5aiter30swiglu_act_and_mul_bias_kernelIfDF16_afLi2EEEvPT0_PKT_PKT1_PKT2_il
	.p2align	8
	.type	_ZN5aiter30swiglu_act_and_mul_bias_kernelIfDF16_afLi2EEEvPT0_PKT_PKT1_PKT2_il,@function
_ZN5aiter30swiglu_act_and_mul_bias_kernelIfDF16_afLi2EEEvPT0_PKT_PKT1_PKT2_il: ; @_ZN5aiter30swiglu_act_and_mul_bias_kernelIfDF16_afLi2EEEvPT0_PKT_PKT1_PKT2_il
; %bb.0:
	s_load_dwordx2 s[4:5], s[0:1], 0x10
	s_load_dword s24, s[0:1], 0x20
	s_load_dwordx2 s[6:7], s[0:1], 0x28
	v_mov_b32_e32 v1, s2
	s_mov_b32 s9, 0
	s_waitcnt lgkmcnt(0)
	global_load_ubyte v1, v1, s[4:5]
	s_ashr_i32 s25, s24, 31
	s_load_dwordx2 s[4:5], s[0:1], 0x0
	s_mul_hi_u32 s3, s24, s2
	v_mov_b64_e32 v[2:3], s[6:7]
	s_mul_i32 s6, s25, s2
	s_add_i32 s13, s3, s6
	s_mul_i32 s12, s24, s2
	s_lshl_b64 s[6:7], s[12:13], 1
	s_mov_b64 s[10:11], -1
	s_waitcnt vmcnt(0)
	v_readfirstlane_b32 s3, v1
	s_nop 1
	v_mov_b32_e32 v4, s3
	s_sext_i32_i8 s3, s3
	v_readfirstlane_b32 s8, v4
	s_bfe_i64 s[8:9], s[8:9], 0x80000
	s_waitcnt lgkmcnt(0)
	s_add_u32 s4, s4, s6
	s_addc_u32 s5, s5, s7
	s_add_i32 s6, s24, 1
	s_lshr_b32 s7, s6, 31
	s_add_i32 s6, s6, s7
	s_lshl_b32 s6, s6, 1
	s_and_b32 s5, s5, 0xffff
	s_and_b32 s6, s6, -4
	s_cmp_gt_i32 s3, -1
	v_cmp_lt_i64_e32 vcc, s[8:9], v[2:3]
	s_cselect_b64 s[12:13], -1, 0
	s_and_b64 s[12:13], s[12:13], vcc
	s_and_b64 vcc, exec, s[12:13]
	v_lshlrev_b32_e32 v2, 1, v0
	s_cbranch_vccnz .LBB252_5
; %bb.1:
	v_cmp_gt_i32_e32 vcc, s24, v2
	s_and_saveexec_b64 s[10:11], vcc
	s_cbranch_execz .LBB252_4
; %bb.2:
	s_load_dword s3, s[0:1], 0x3c
	v_mov_b32_e32 v3, 0
	s_mov_b32 s13, 0
	v_lshlrev_b32_e32 v1, 2, v0
	s_mov_b64 s[14:15], 0
	s_waitcnt lgkmcnt(0)
	s_and_b32 s3, s3, 0xffff
	s_lshl_b32 s12, s3, 1
	s_lshl_b32 s3, s3, 2
	s_mov_b32 s7, 0x20000
	v_mov_b64_e32 v[4:5], v[2:3]
.LBB252_3:                              ; =>This Inner Loop Header: Depth=1
	v_lshl_add_u64 v[4:5], s[12:13], 0, v[4:5]
	v_cmp_le_i64_e32 vcc, s[24:25], v[4:5]
	buffer_store_dword v3, v1, s[4:7], 0 offen
	s_or_b64 s[14:15], vcc, s[14:15]
	v_add_u32_e32 v1, s3, v1
	s_andn2_b64 exec, exec, s[14:15]
	s_cbranch_execnz .LBB252_3
.LBB252_4:
	s_or_b64 exec, exec, s[10:11]
	s_mov_b64 s[10:11], 0
.LBB252_5:
	s_andn2_b64 vcc, exec, s[10:11]
	s_cbranch_vccnz .LBB252_9
; %bb.6:
	v_cmp_gt_i32_e32 vcc, s24, v2
	s_and_saveexec_b64 s[10:11], vcc
	s_cbranch_execz .LBB252_9
; %bb.7:
	s_load_dwordx2 s[14:15], s[0:1], 0x8
	s_load_dwordx2 s[12:13], s[0:1], 0x18
	s_mul_hi_i32 s9, s24, s8
	s_mul_i32 s8, s24, s8
	s_lshl_b32 s10, s24, 2
	s_lshl_b64 s[8:9], s[8:9], 3
	s_waitcnt lgkmcnt(0)
	s_add_u32 s12, s12, s8
	s_load_dword s18, s[0:1], 0x3c
	s_addc_u32 s7, s13, s9
	s_lshl_b64 s[0:1], s[24:25], 2
	s_add_u32 s8, s12, s0
	s_mul_i32 s16, s2, s25
	s_mul_hi_u32 s17, s2, s24
	s_addc_u32 s9, s7, s1
	s_add_i32 s17, s17, s16
	s_mul_i32 s16, s2, s24
	s_and_b32 s13, s7, 0xffff
	s_and_b32 s9, s9, 0xffff
	s_lshl_b64 s[16:17], s[16:17], 3
	s_add_u32 s16, s14, s16
	s_addc_u32 s2, s15, s17
	s_add_u32 s20, s16, s0
	s_addc_u32 s0, s2, s1
	s_mov_b32 s7, 0x20000
	s_and_b32 s21, s0, 0xffff
	s_waitcnt lgkmcnt(0)
	s_and_b32 s0, s18, 0xffff
	s_mov_b32 s3, 0
	s_mov_b32 s11, s7
	s_and_b32 s17, s2, 0xffff
	v_mov_b32_e32 v3, 0
	s_lshl_b32 s2, s0, 1
	v_lshlrev_b32_e32 v1, 2, v0
	s_lshl_b32 s28, s0, 2
	v_lshlrev_b32_e32 v0, 3, v0
	s_lshl_b32 s29, s0, 3
	s_mov_b64 s[26:27], 0
	s_mov_b32 s18, s10
	s_mov_b32 s19, s7
	;; [unrolled: 1-line block ×5, first 2 shown]
	v_mov_b32_e32 v4, 0x7f800000
	s_mov_b32 s34, 0xc0e00000
	v_mov_b32_e32 v5, 0x40e00000
	s_mov_b32 s22, s10
	s_mov_b32 s23, s7
	;; [unrolled: 1-line block ×4, first 2 shown]
.LBB252_8:                              ; =>This Inner Loop Header: Depth=1
	buffer_load_dwordx2 v[6:7], v0, s[16:19], 0 offen
	buffer_load_dwordx2 v[8:9], v0, s[20:23], 0 offen
	;; [unrolled: 1-line block ×4, first 2 shown]
	v_lshl_add_u64 v[2:3], s[2:3], 0, v[2:3]
	v_add_u32_e32 v0, s29, v0
	s_waitcnt vmcnt(1)
	v_pk_add_f32 v[6:7], v[6:7], v[10:11]
	s_nop 0
	v_min_f32_e32 v7, 0x40e00000, v7
	v_min_f32_e32 v6, 0x40e00000, v6
	v_mul_f32_e32 v10, 0xbfd9db23, v6
	v_mul_f32_e32 v11, 0xbfd9db23, v7
	s_waitcnt vmcnt(0)
	v_pk_add_f32 v[8:9], v[8:9], v[12:13]
	v_mul_f32_e32 v12, 0x3fb8aa3b, v10
	v_mul_f32_e32 v13, 0x3fb8aa3b, v11
	v_fma_f32 v14, v10, s30, -v12
	v_rndne_f32_e32 v15, v12
	v_fma_f32 v16, v11, s30, -v13
	v_rndne_f32_e32 v17, v13
	v_fmac_f32_e32 v14, 0x32a5705f, v10
	v_sub_f32_e32 v12, v12, v15
	v_fmac_f32_e32 v16, 0x32a5705f, v11
	v_sub_f32_e32 v13, v13, v17
	v_add_f32_e32 v12, v12, v14
	v_add_f32_e32 v13, v13, v16
	v_cvt_i32_f32_e32 v15, v15
	v_cvt_i32_f32_e32 v17, v17
	v_exp_f32_e32 v12, v12
	v_exp_f32_e32 v13, v13
	v_cmp_ngt_f32_e32 vcc, s31, v11
	v_cmp_ngt_f32_e64 s[0:1], s31, v10
	v_ldexp_f32 v12, v12, v15
	v_ldexp_f32 v13, v13, v17
	v_cndmask_b32_e64 v12, 0, v12, s[0:1]
	v_cndmask_b32_e32 v13, 0, v13, vcc
	v_cmp_nlt_f32_e32 vcc, s33, v11
	v_cmp_nlt_f32_e64 s[0:1], s33, v10
	v_med3_f32 v9, v9, s34, v5
	v_cndmask_b32_e32 v11, v4, v13, vcc
	v_cndmask_b32_e64 v10, v4, v12, s[0:1]
	v_add_f32_e32 v10, 1.0, v10
	v_add_f32_e32 v11, 1.0, v11
	v_rcp_f32_e32 v10, v10
	v_rcp_f32_e32 v11, v11
	v_med3_f32 v8, v8, s34, v5
	v_pk_add_f32 v[8:9], v[8:9], 1.0 op_sel_hi:[1,0]
	v_cmp_le_i64_e32 vcc, s[24:25], v[2:3]
	v_pk_mul_f32 v[6:7], v[6:7], v[10:11]
	s_or_b64 s[26:27], vcc, s[26:27]
	v_pk_mul_f32 v[6:7], v[8:9], v[6:7]
	s_nop 0
	v_cvt_f16_f32_e32 v7, v7
	v_cvt_f16_f32_e32 v6, v6
	v_pack_b32_f16 v6, v6, v7
	buffer_store_dword v6, v1, s[4:7], 0 offen
	v_add_u32_e32 v1, s28, v1
	s_andn2_b64 exec, exec, s[26:27]
	s_cbranch_execnz .LBB252_8
.LBB252_9:
	s_endpgm
	.section	.rodata,"a",@progbits
	.p2align	6, 0x0
	.amdhsa_kernel _ZN5aiter30swiglu_act_and_mul_bias_kernelIfDF16_afLi2EEEvPT0_PKT_PKT1_PKT2_il
		.amdhsa_group_segment_fixed_size 0
		.amdhsa_private_segment_fixed_size 0
		.amdhsa_kernarg_size 304
		.amdhsa_user_sgpr_count 2
		.amdhsa_user_sgpr_dispatch_ptr 0
		.amdhsa_user_sgpr_queue_ptr 0
		.amdhsa_user_sgpr_kernarg_segment_ptr 1
		.amdhsa_user_sgpr_dispatch_id 0
		.amdhsa_user_sgpr_kernarg_preload_length 0
		.amdhsa_user_sgpr_kernarg_preload_offset 0
		.amdhsa_user_sgpr_private_segment_size 0
		.amdhsa_uses_dynamic_stack 0
		.amdhsa_enable_private_segment 0
		.amdhsa_system_sgpr_workgroup_id_x 1
		.amdhsa_system_sgpr_workgroup_id_y 0
		.amdhsa_system_sgpr_workgroup_id_z 0
		.amdhsa_system_sgpr_workgroup_info 0
		.amdhsa_system_vgpr_workitem_id 0
		.amdhsa_next_free_vgpr 18
		.amdhsa_next_free_sgpr 35
		.amdhsa_accum_offset 20
		.amdhsa_reserve_vcc 1
		.amdhsa_float_round_mode_32 0
		.amdhsa_float_round_mode_16_64 0
		.amdhsa_float_denorm_mode_32 3
		.amdhsa_float_denorm_mode_16_64 3
		.amdhsa_dx10_clamp 1
		.amdhsa_ieee_mode 1
		.amdhsa_fp16_overflow 0
		.amdhsa_tg_split 0
		.amdhsa_exception_fp_ieee_invalid_op 0
		.amdhsa_exception_fp_denorm_src 0
		.amdhsa_exception_fp_ieee_div_zero 0
		.amdhsa_exception_fp_ieee_overflow 0
		.amdhsa_exception_fp_ieee_underflow 0
		.amdhsa_exception_fp_ieee_inexact 0
		.amdhsa_exception_int_div_zero 0
	.end_amdhsa_kernel
	.section	.text._ZN5aiter30swiglu_act_and_mul_bias_kernelIfDF16_afLi2EEEvPT0_PKT_PKT1_PKT2_il,"axG",@progbits,_ZN5aiter30swiglu_act_and_mul_bias_kernelIfDF16_afLi2EEEvPT0_PKT_PKT1_PKT2_il,comdat
.Lfunc_end252:
	.size	_ZN5aiter30swiglu_act_and_mul_bias_kernelIfDF16_afLi2EEEvPT0_PKT_PKT1_PKT2_il, .Lfunc_end252-_ZN5aiter30swiglu_act_and_mul_bias_kernelIfDF16_afLi2EEEvPT0_PKT_PKT1_PKT2_il
                                        ; -- End function
	.section	.AMDGPU.csdata,"",@progbits
; Kernel info:
; codeLenInByte = 940
; NumSgprs: 41
; NumVgprs: 18
; NumAgprs: 0
; TotalNumVgprs: 18
; ScratchSize: 0
; MemoryBound: 0
; FloatMode: 240
; IeeeMode: 1
; LDSByteSize: 0 bytes/workgroup (compile time only)
; SGPRBlocks: 5
; VGPRBlocks: 2
; NumSGPRsForWavesPerEU: 41
; NumVGPRsForWavesPerEU: 18
; AccumOffset: 20
; Occupancy: 8
; WaveLimiterHint : 0
; COMPUTE_PGM_RSRC2:SCRATCH_EN: 0
; COMPUTE_PGM_RSRC2:USER_SGPR: 2
; COMPUTE_PGM_RSRC2:TRAP_HANDLER: 0
; COMPUTE_PGM_RSRC2:TGID_X_EN: 1
; COMPUTE_PGM_RSRC2:TGID_Y_EN: 0
; COMPUTE_PGM_RSRC2:TGID_Z_EN: 0
; COMPUTE_PGM_RSRC2:TIDIG_COMP_CNT: 0
; COMPUTE_PGM_RSRC3_GFX90A:ACCUM_OFFSET: 4
; COMPUTE_PGM_RSRC3_GFX90A:TG_SPLIT: 0
	.section	.text._ZN5aiter30swiglu_act_and_mul_bias_kernelIfDF16_afLi1EEEvPT0_PKT_PKT1_PKT2_il,"axG",@progbits,_ZN5aiter30swiglu_act_and_mul_bias_kernelIfDF16_afLi1EEEvPT0_PKT_PKT1_PKT2_il,comdat
	.protected	_ZN5aiter30swiglu_act_and_mul_bias_kernelIfDF16_afLi1EEEvPT0_PKT_PKT1_PKT2_il ; -- Begin function _ZN5aiter30swiglu_act_and_mul_bias_kernelIfDF16_afLi1EEEvPT0_PKT_PKT1_PKT2_il
	.globl	_ZN5aiter30swiglu_act_and_mul_bias_kernelIfDF16_afLi1EEEvPT0_PKT_PKT1_PKT2_il
	.p2align	8
	.type	_ZN5aiter30swiglu_act_and_mul_bias_kernelIfDF16_afLi1EEEvPT0_PKT_PKT1_PKT2_il,@function
_ZN5aiter30swiglu_act_and_mul_bias_kernelIfDF16_afLi1EEEvPT0_PKT_PKT1_PKT2_il: ; @_ZN5aiter30swiglu_act_and_mul_bias_kernelIfDF16_afLi1EEEvPT0_PKT_PKT1_PKT2_il
; %bb.0:
	s_load_dwordx2 s[4:5], s[0:1], 0x10
	s_load_dword s20, s[0:1], 0x20
	s_load_dwordx2 s[8:9], s[0:1], 0x28
	v_mov_b32_e32 v1, s2
	s_mov_b32 s11, 0
	s_waitcnt lgkmcnt(0)
	global_load_ubyte v1, v1, s[4:5]
	s_ashr_i32 s21, s20, 31
	s_load_dwordx2 s[4:5], s[0:1], 0x0
	s_mul_hi_u32 s3, s20, s2
	v_mov_b64_e32 v[2:3], s[8:9]
	s_mul_i32 s8, s21, s2
	s_add_i32 s13, s3, s8
	s_mul_i32 s12, s20, s2
	s_lshl_b64 s[8:9], s[12:13], 1
	s_mov_b64 s[6:7], -1
	s_waitcnt vmcnt(0)
	v_readfirstlane_b32 s3, v1
	s_nop 1
	v_mov_b32_e32 v4, s3
	s_sext_i32_i8 s3, s3
	v_readfirstlane_b32 s10, v4
	s_bfe_i64 s[12:13], s[10:11], 0x80000
	s_waitcnt lgkmcnt(0)
	s_add_u32 s8, s4, s8
	s_addc_u32 s4, s5, s9
	s_add_i32 s5, s20, 1
	s_lshr_b32 s10, s5, 31
	s_add_i32 s5, s5, s10
	s_and_b32 s9, s4, 0xffff
	s_lshl_b32 s4, s5, 1
	s_and_b32 s10, s4, -4
	s_cmp_gt_i32 s3, -1
	v_cmp_lt_i64_e32 vcc, s[12:13], v[2:3]
	s_cselect_b64 s[4:5], -1, 0
	s_and_b64 s[4:5], s[4:5], vcc
	s_and_b64 vcc, exec, s[4:5]
	v_cmp_gt_i32_e64 s[4:5], s20, v0
	s_cbranch_vccnz .LBB253_5
; %bb.1:
	s_and_saveexec_b64 s[6:7], s[4:5]
	s_cbranch_execz .LBB253_4
; %bb.2:
	s_load_dword s3, s[0:1], 0x3c
	v_mov_b32_e32 v1, 0
	s_mov_b32 s5, 0
	v_lshlrev_b32_e32 v4, 1, v0
	s_mov_b64 s[14:15], 0
	s_waitcnt lgkmcnt(0)
	s_and_b32 s4, s3, 0xffff
	s_lshl_b32 s3, s4, 1
	s_mov_b32 s11, 0x20000
	v_mov_b64_e32 v[2:3], v[0:1]
.LBB253_3:                              ; =>This Inner Loop Header: Depth=1
	v_lshl_add_u64 v[2:3], v[2:3], 0, s[4:5]
	v_cmp_le_i64_e32 vcc, s[20:21], v[2:3]
	buffer_store_short v1, v4, s[8:11], 0 offen
	s_or_b64 s[14:15], vcc, s[14:15]
	v_add_u32_e32 v4, s3, v4
	s_andn2_b64 exec, exec, s[14:15]
	s_cbranch_execnz .LBB253_3
.LBB253_4:
	s_or_b64 exec, exec, s[6:7]
	s_mov_b64 s[6:7], 0
.LBB253_5:
	s_andn2_b64 vcc, exec, s[6:7]
	s_cbranch_vccnz .LBB253_9
; %bb.6:
	v_cmp_gt_i32_e32 vcc, s20, v0
	s_and_saveexec_b64 s[4:5], vcc
	s_cbranch_execz .LBB253_9
; %bb.7:
	s_load_dwordx2 s[14:15], s[0:1], 0x8
	s_load_dwordx2 s[4:5], s[0:1], 0x18
	s_mul_hi_i32 s13, s20, s12
	s_mul_i32 s12, s20, s12
	s_lshl_b32 s6, s20, 2
	s_lshl_b64 s[12:13], s[12:13], 3
	s_load_dword s18, s[0:1], 0x3c
	s_waitcnt lgkmcnt(0)
	s_add_u32 s0, s4, s12
	s_addc_u32 s1, s5, s13
	s_lshl_b64 s[16:17], s[20:21], 2
	s_add_u32 s4, s0, s16
	s_addc_u32 s3, s1, s17
	s_and_b32 s5, s3, 0xffff
	s_mul_i32 s3, s2, s21
	s_mul_hi_u32 s12, s2, s20
	s_add_i32 s3, s12, s3
	s_mul_i32 s2, s2, s20
	s_and_b32 s1, s1, 0xffff
	s_lshl_b64 s[2:3], s[2:3], 3
	s_add_u32 s12, s14, s2
	s_addc_u32 s2, s15, s3
	s_add_u32 s16, s12, s16
	s_mov_b32 s11, 0x20000
	s_addc_u32 s3, s2, s17
	s_and_b32 s22, s18, 0xffff
	s_mov_b32 s23, 0
	s_mov_b32 s7, s11
	s_and_b32 s13, s2, 0xffff
	s_and_b32 s17, s3, 0xffff
	v_mov_b32_e32 v1, 0
	v_lshlrev_b32_e32 v2, 1, v0
	s_lshl_b32 s26, s22, 1
	v_lshlrev_b32_e32 v3, 2, v0
	s_lshl_b32 s27, s22, 2
	s_mov_b64 s[24:25], 0
	s_mov_b32 s14, s6
	s_mov_b32 s15, s11
	;; [unrolled: 1-line block ×5, first 2 shown]
	v_mov_b32_e32 v4, 0x7f800000
	s_mov_b32 s18, s6
	s_mov_b32 s19, s11
	;; [unrolled: 1-line block ×4, first 2 shown]
.LBB253_8:                              ; =>This Inner Loop Header: Depth=1
	buffer_load_dword v5, v3, s[12:15], 0 offen
	buffer_load_dword v6, v3, s[16:19], 0 offen
	;; [unrolled: 1-line block ×4, first 2 shown]
	v_lshl_add_u64 v[0:1], v[0:1], 0, s[22:23]
	v_cmp_le_i64_e32 vcc, s[20:21], v[0:1]
	s_or_b64 s[24:25], vcc, s[24:25]
	v_add_u32_e32 v3, s27, v3
	s_waitcnt vmcnt(1)
	v_add_f32_e32 v5, v5, v7
	v_min_f32_e32 v5, 0x40e00000, v5
	v_mul_f32_e32 v7, 0xbfd9db23, v5
	s_waitcnt vmcnt(0)
	v_add_f32_e32 v6, v6, v8
	v_mul_f32_e32 v8, 0x3fb8aa3b, v7
	v_fma_f32 v9, v7, s28, -v8
	v_rndne_f32_e32 v10, v8
	v_fmac_f32_e32 v9, 0x32a5705f, v7
	v_sub_f32_e32 v8, v8, v10
	v_add_f32_e32 v8, v8, v9
	v_cvt_i32_f32_e32 v10, v10
	v_exp_f32_e32 v8, v8
	v_cmp_ngt_f32_e32 vcc, s29, v7
	v_max_f32_e32 v6, 0xc0e00000, v6
	v_min_f32_e32 v6, 0x40e00000, v6
	v_ldexp_f32 v8, v8, v10
	v_cndmask_b32_e32 v8, 0, v8, vcc
	v_cmp_nlt_f32_e32 vcc, s30, v7
	v_add_f32_e32 v6, 1.0, v6
	s_nop 0
	v_cndmask_b32_e32 v7, v4, v8, vcc
	v_add_f32_e32 v7, 1.0, v7
	v_rcp_f32_e32 v7, v7
	s_nop 0
	v_mul_f32_e32 v5, v5, v7
	v_fma_mixlo_f16 v5, v6, v5, 0
	buffer_store_short v5, v2, s[8:11], 0 offen
	v_add_u32_e32 v2, s26, v2
	s_andn2_b64 exec, exec, s[24:25]
	s_cbranch_execnz .LBB253_8
.LBB253_9:
	s_endpgm
	.section	.rodata,"a",@progbits
	.p2align	6, 0x0
	.amdhsa_kernel _ZN5aiter30swiglu_act_and_mul_bias_kernelIfDF16_afLi1EEEvPT0_PKT_PKT1_PKT2_il
		.amdhsa_group_segment_fixed_size 0
		.amdhsa_private_segment_fixed_size 0
		.amdhsa_kernarg_size 304
		.amdhsa_user_sgpr_count 2
		.amdhsa_user_sgpr_dispatch_ptr 0
		.amdhsa_user_sgpr_queue_ptr 0
		.amdhsa_user_sgpr_kernarg_segment_ptr 1
		.amdhsa_user_sgpr_dispatch_id 0
		.amdhsa_user_sgpr_kernarg_preload_length 0
		.amdhsa_user_sgpr_kernarg_preload_offset 0
		.amdhsa_user_sgpr_private_segment_size 0
		.amdhsa_uses_dynamic_stack 0
		.amdhsa_enable_private_segment 0
		.amdhsa_system_sgpr_workgroup_id_x 1
		.amdhsa_system_sgpr_workgroup_id_y 0
		.amdhsa_system_sgpr_workgroup_id_z 0
		.amdhsa_system_sgpr_workgroup_info 0
		.amdhsa_system_vgpr_workitem_id 0
		.amdhsa_next_free_vgpr 11
		.amdhsa_next_free_sgpr 31
		.amdhsa_accum_offset 12
		.amdhsa_reserve_vcc 1
		.amdhsa_float_round_mode_32 0
		.amdhsa_float_round_mode_16_64 0
		.amdhsa_float_denorm_mode_32 3
		.amdhsa_float_denorm_mode_16_64 3
		.amdhsa_dx10_clamp 1
		.amdhsa_ieee_mode 1
		.amdhsa_fp16_overflow 0
		.amdhsa_tg_split 0
		.amdhsa_exception_fp_ieee_invalid_op 0
		.amdhsa_exception_fp_denorm_src 0
		.amdhsa_exception_fp_ieee_div_zero 0
		.amdhsa_exception_fp_ieee_overflow 0
		.amdhsa_exception_fp_ieee_underflow 0
		.amdhsa_exception_fp_ieee_inexact 0
		.amdhsa_exception_int_div_zero 0
	.end_amdhsa_kernel
	.section	.text._ZN5aiter30swiglu_act_and_mul_bias_kernelIfDF16_afLi1EEEvPT0_PKT_PKT1_PKT2_il,"axG",@progbits,_ZN5aiter30swiglu_act_and_mul_bias_kernelIfDF16_afLi1EEEvPT0_PKT_PKT1_PKT2_il,comdat
.Lfunc_end253:
	.size	_ZN5aiter30swiglu_act_and_mul_bias_kernelIfDF16_afLi1EEEvPT0_PKT_PKT1_PKT2_il, .Lfunc_end253-_ZN5aiter30swiglu_act_and_mul_bias_kernelIfDF16_afLi1EEEvPT0_PKT_PKT1_PKT2_il
                                        ; -- End function
	.section	.AMDGPU.csdata,"",@progbits
; Kernel info:
; codeLenInByte = 772
; NumSgprs: 37
; NumVgprs: 11
; NumAgprs: 0
; TotalNumVgprs: 11
; ScratchSize: 0
; MemoryBound: 0
; FloatMode: 240
; IeeeMode: 1
; LDSByteSize: 0 bytes/workgroup (compile time only)
; SGPRBlocks: 4
; VGPRBlocks: 1
; NumSGPRsForWavesPerEU: 37
; NumVGPRsForWavesPerEU: 11
; AccumOffset: 12
; Occupancy: 8
; WaveLimiterHint : 0
; COMPUTE_PGM_RSRC2:SCRATCH_EN: 0
; COMPUTE_PGM_RSRC2:USER_SGPR: 2
; COMPUTE_PGM_RSRC2:TRAP_HANDLER: 0
; COMPUTE_PGM_RSRC2:TGID_X_EN: 1
; COMPUTE_PGM_RSRC2:TGID_Y_EN: 0
; COMPUTE_PGM_RSRC2:TGID_Z_EN: 0
; COMPUTE_PGM_RSRC2:TIDIG_COMP_CNT: 0
; COMPUTE_PGM_RSRC3_GFX90A:ACCUM_OFFSET: 2
; COMPUTE_PGM_RSRC3_GFX90A:TG_SPLIT: 0
	.section	.text._ZN5aiter30swiglu_act_and_mul_bias_kernelIffafLi16EEEvPT0_PKT_PKT1_PKT2_il,"axG",@progbits,_ZN5aiter30swiglu_act_and_mul_bias_kernelIffafLi16EEEvPT0_PKT_PKT1_PKT2_il,comdat
	.protected	_ZN5aiter30swiglu_act_and_mul_bias_kernelIffafLi16EEEvPT0_PKT_PKT1_PKT2_il ; -- Begin function _ZN5aiter30swiglu_act_and_mul_bias_kernelIffafLi16EEEvPT0_PKT_PKT1_PKT2_il
	.globl	_ZN5aiter30swiglu_act_and_mul_bias_kernelIffafLi16EEEvPT0_PKT_PKT1_PKT2_il
	.p2align	8
	.type	_ZN5aiter30swiglu_act_and_mul_bias_kernelIffafLi16EEEvPT0_PKT_PKT1_PKT2_il,@function
_ZN5aiter30swiglu_act_and_mul_bias_kernelIffafLi16EEEvPT0_PKT_PKT1_PKT2_il: ; @_ZN5aiter30swiglu_act_and_mul_bias_kernelIffafLi16EEEvPT0_PKT_PKT1_PKT2_il
; %bb.0:
	s_load_dwordx2 s[4:5], s[0:1], 0x10
	s_load_dword s24, s[0:1], 0x20
	s_load_dwordx2 s[8:9], s[0:1], 0x28
	v_mov_b32_e32 v1, s2
	s_mov_b32 s13, 0
	s_waitcnt lgkmcnt(0)
	global_load_ubyte v1, v1, s[4:5]
	s_ashr_i32 s25, s24, 31
	s_load_dwordx2 s[4:5], s[0:1], 0x0
	s_mul_hi_u32 s3, s24, s2
	s_mul_i32 s7, s25, s2
	s_add_i32 s15, s3, s7
	s_mul_i32 s14, s24, s2
	s_lshl_b32 s6, s24, 2
	v_mov_b64_e32 v[2:3], s[8:9]
	s_lshl_b64 s[14:15], s[14:15], 2
	s_mov_b64 s[10:11], -1
	v_lshlrev_b32_e32 v44, 4, v0
	s_waitcnt vmcnt(0)
	v_readfirstlane_b32 s3, v1
	s_nop 1
	v_mov_b32_e32 v4, s3
	s_sext_i32_i8 s3, s3
	v_readfirstlane_b32 s12, v4
	s_bfe_i64 s[8:9], s[12:13], 0x80000
	s_waitcnt lgkmcnt(0)
	s_add_u32 s4, s4, s14
	s_addc_u32 s5, s5, s15
	s_and_b32 s5, s5, 0xffff
	s_cmp_gt_i32 s3, -1
	v_cmp_lt_i64_e32 vcc, s[8:9], v[2:3]
	s_cselect_b64 s[12:13], -1, 0
	s_and_b64 s[12:13], s[12:13], vcc
	s_and_b64 vcc, exec, s[12:13]
	s_cbranch_vccnz .LBB254_5
; %bb.1:
	v_cmp_gt_i32_e32 vcc, s24, v44
	s_and_saveexec_b64 s[10:11], vcc
	s_cbranch_execz .LBB254_4
; %bb.2:
	s_load_dword s3, s[0:1], 0x3c
	s_mov_b32 s13, 0
	s_mov_b32 s16, s13
	;; [unrolled: 1-line block ×3, first 2 shown]
	v_mov_b32_e32 v45, 0
	s_waitcnt lgkmcnt(0)
	s_and_b32 s3, s3, 0xffff
	s_mov_b32 s18, s13
	s_mov_b32 s19, s13
	v_mov_b64_e32 v[2:3], s[16:17]
	v_lshlrev_b32_e32 v1, 6, v0
	s_lshl_b32 s12, s3, 4
	s_lshl_b32 s3, s3, 6
	s_mov_b64 s[14:15], 0
	s_mov_b32 s7, 0x20000
	v_mov_b64_e32 v[4:5], s[18:19]
	v_mov_b64_e32 v[6:7], v[44:45]
.LBB254_3:                              ; =>This Inner Loop Header: Depth=1
	v_lshl_add_u64 v[6:7], s[12:13], 0, v[6:7]
	v_cmp_le_i64_e32 vcc, s[24:25], v[6:7]
	buffer_store_dwordx4 v[2:5], v1, s[4:7], 0 offen
	buffer_store_dwordx4 v[2:5], v1, s[4:7], 16 offen
	;; [unrolled: 1-line block ×4, first 2 shown]
	s_or_b64 s[14:15], vcc, s[14:15]
	v_add_u32_e32 v1, s3, v1
	s_andn2_b64 exec, exec, s[14:15]
	s_cbranch_execnz .LBB254_3
.LBB254_4:
	s_or_b64 exec, exec, s[10:11]
	s_mov_b64 s[10:11], 0
.LBB254_5:
	s_andn2_b64 vcc, exec, s[10:11]
	s_cbranch_vccnz .LBB254_9
; %bb.6:
	v_cmp_gt_i32_e32 vcc, s24, v44
	s_and_saveexec_b64 s[10:11], vcc
	s_cbranch_execz .LBB254_9
; %bb.7:
	s_load_dwordx2 s[10:11], s[0:1], 0x8
	s_load_dwordx2 s[12:13], s[0:1], 0x18
	s_mul_hi_i32 s9, s24, s8
	s_mul_i32 s8, s24, s8
	s_lshl_b64 s[8:9], s[8:9], 3
	s_load_dword s18, s[0:1], 0x3c
	s_waitcnt lgkmcnt(0)
	s_add_u32 s8, s12, s8
	s_addc_u32 s7, s13, s9
	s_lshl_b64 s[0:1], s[24:25], 2
	s_add_u32 s12, s8, s0
	s_mul_i32 s14, s2, s25
	s_mul_hi_u32 s15, s2, s24
	s_addc_u32 s13, s7, s1
	s_add_i32 s15, s15, s14
	s_mul_i32 s14, s2, s24
	s_and_b32 s9, s7, 0xffff
	s_and_b32 s13, s13, 0xffff
	s_lshl_b64 s[14:15], s[14:15], 3
	s_add_u32 s16, s10, s14
	s_addc_u32 s2, s11, s15
	s_add_u32 s20, s16, s0
	s_addc_u32 s0, s2, s1
	s_mov_b32 s7, 0x20000
	s_and_b32 s21, s0, 0xffff
	s_and_b32 s0, s18, 0xffff
	s_mov_b32 s3, 0
	s_and_b32 s17, s2, 0xffff
	v_mov_b32_e32 v45, 0
	s_lshl_b32 s2, s0, 4
	v_lshlrev_b32_e32 v48, 6, v0
	s_lshl_b32 s28, s0, 6
	s_mov_b64 s[26:27], 0
	s_mov_b32 s15, s7
	s_mov_b32 s14, s6
	;; [unrolled: 1-line block ×7, first 2 shown]
	v_mov_b32_e32 v49, 0x7f800000
	s_mov_b32 s33, 0xc0e00000
	v_mov_b32_e32 v50, 0x40e00000
	s_mov_b32 s22, s6
	s_mov_b32 s23, s7
	;; [unrolled: 1-line block ×4, first 2 shown]
.LBB254_8:                              ; =>This Inner Loop Header: Depth=1
	buffer_load_dwordx4 v[12:15], v48, s[8:11], 0 offen
	buffer_load_dwordx4 v[38:41], v48, s[16:19], 0 offen
	;; [unrolled: 1-line block ×12, first 2 shown]
	v_lshl_add_u64 v[44:45], s[2:3], 0, v[44:45]
	s_waitcnt vmcnt(10)
	v_pk_add_f32 v[12:13], v[38:39], v[12:13]
	s_nop 0
	v_min_f32_e32 v12, 0x40e00000, v12
	s_waitcnt vmcnt(8)
	v_pk_add_f32 v[32:33], v[54:55], v[58:59]
	v_pk_add_f32 v[38:39], v[52:53], v[56:57]
	v_med3_f32 v52, v32, s33, v50
	v_mul_f32_e32 v32, 0xbfd9db23, v12
	v_pk_add_f32 v[14:15], v[40:41], v[14:15]
	v_min_f32_e32 v13, 0x40e00000, v13
	v_mul_f32_e32 v40, 0x3fb8aa3b, v32
	v_med3_f32 v53, v33, s33, v50
	v_mul_f32_e32 v33, 0xbfd9db23, v13
	v_fma_f32 v46, v32, s29, -v40
	v_rndne_f32_e32 v47, v40
	v_min_f32_e32 v15, 0x40e00000, v15
	v_min_f32_e32 v14, 0x40e00000, v14
	v_mul_f32_e32 v41, 0x3fb8aa3b, v33
	v_fmac_f32_e32 v46, 0x32a5705f, v32
	v_sub_f32_e32 v40, v40, v47
	s_waitcnt vmcnt(6)
	v_pk_add_f32 v[28:29], v[28:29], v[34:35]
	v_mul_f32_e32 v34, 0xbfd9db23, v14
	v_mul_f32_e32 v35, 0xbfd9db23, v15
	v_fma_f32 v51, v33, s29, -v41
	v_rndne_f32_e32 v54, v41
	v_add_f32_e32 v40, v40, v46
	v_mul_f32_e32 v42, 0x3fb8aa3b, v34
	v_mul_f32_e32 v43, 0x3fb8aa3b, v35
	v_fmac_f32_e32 v51, 0x32a5705f, v33
	v_sub_f32_e32 v41, v41, v54
	v_cvt_i32_f32_e32 v47, v47
	v_exp_f32_e32 v40, v40
	v_fma_f32 v55, v34, s29, -v42
	v_rndne_f32_e32 v56, v42
	v_add_f32_e32 v41, v41, v51
	v_fma_f32 v46, v35, s29, -v43
	v_rndne_f32_e32 v51, v43
	v_fmac_f32_e32 v55, 0x32a5705f, v34
	v_sub_f32_e32 v42, v42, v56
	v_fmac_f32_e32 v46, 0x32a5705f, v35
	v_sub_f32_e32 v43, v43, v51
	v_add_f32_e32 v42, v42, v55
	v_add_f32_e32 v43, v43, v46
	v_min_f32_e32 v46, 0x40e00000, v28
	v_cvt_i32_f32_e32 v28, v54
	v_exp_f32_e32 v41, v41
	v_ldexp_f32 v40, v40, v47
	v_cvt_i32_f32_e32 v47, v56
	v_exp_f32_e32 v42, v42
	v_cvt_i32_f32_e32 v51, v51
	v_exp_f32_e32 v43, v43
	v_cmp_ngt_f32_e32 vcc, s30, v32
	v_ldexp_f32 v28, v41, v28
	v_cmp_ngt_f32_e64 s[0:1], s30, v33
	v_cndmask_b32_e32 v40, 0, v40, vcc
	v_cmp_nlt_f32_e32 vcc, s31, v32
	v_ldexp_f32 v41, v42, v47
	v_cndmask_b32_e64 v28, 0, v28, s[0:1]
	v_cmp_ngt_f32_e64 s[0:1], s30, v34
	v_cndmask_b32_e32 v40, v49, v40, vcc
	v_cmp_nlt_f32_e32 vcc, s31, v33
	v_ldexp_f32 v43, v43, v51
	v_cndmask_b32_e64 v32, 0, v41, s[0:1]
	v_cmp_ngt_f32_e64 s[0:1], s30, v35
	v_cndmask_b32_e32 v28, v49, v28, vcc
	v_cmp_nlt_f32_e32 vcc, s31, v34
	v_cndmask_b32_e64 v41, 0, v43, s[0:1]
	v_add_f32_e32 v34, 1.0, v40
	v_cndmask_b32_e32 v32, v49, v32, vcc
	v_cmp_nlt_f32_e32 vcc, s31, v35
	v_add_f32_e32 v28, 1.0, v28
	v_add_f32_e32 v35, 1.0, v32
	v_cndmask_b32_e32 v33, v49, v41, vcc
	v_add_f32_e32 v40, 1.0, v33
	v_rcp_f32_e32 v32, v34
	v_rcp_f32_e32 v33, v28
	;; [unrolled: 1-line block ×4, first 2 shown]
	v_mul_f32_e32 v54, 0xbfd9db23, v46
	v_mul_f32_e32 v42, 0x3fb8aa3b, v54
	v_rndne_f32_e32 v51, v42
	v_fma_f32 v47, v54, s29, -v42
	v_sub_f32_e32 v28, v42, v51
	v_pk_mul_f32 v[12:13], v[12:13], v[32:33]
	v_pk_mul_f32 v[14:15], v[14:15], v[34:35]
	buffer_load_dwordx4 v[40:43], v48, s[8:11], 32 offen
	buffer_load_dwordx4 v[32:35], v48, s[8:11], 48 offen
	v_fmac_f32_e32 v47, 0x32a5705f, v54
	v_add_f32_e32 v28, v28, v47
	v_min_f32_e32 v47, 0x40e00000, v29
	v_med3_f32 v39, v39, s33, v50
	v_med3_f32 v38, v38, s33, v50
	v_mul_f32_e32 v29, 0xbfd9db23, v47
	v_pk_add_f32 v[38:39], v[38:39], 1.0 op_sel_hi:[1,0]
	v_exp_f32_e32 v28, v28
	v_cvt_i32_f32_e32 v51, v51
	v_pk_add_f32 v[30:31], v[30:31], v[36:37]
	v_mul_f32_e32 v36, 0x3fb8aa3b, v29
	v_pk_mul_f32 v[12:13], v[38:39], v[12:13]
	v_fma_f32 v37, v29, s29, -v36
	v_rndne_f32_e32 v38, v36
	v_fmac_f32_e32 v37, 0x32a5705f, v29
	v_sub_f32_e32 v36, v36, v38
	v_add_f32_e32 v36, v36, v37
	v_ldexp_f32 v28, v28, v51
	v_cmp_ngt_f32_e32 vcc, s30, v54
	v_exp_f32_e32 v36, v36
	v_cvt_i32_f32_e32 v37, v38
	v_cndmask_b32_e32 v28, 0, v28, vcc
	v_cmp_nlt_f32_e32 vcc, s31, v54
	v_pk_add_f32 v[52:53], v[52:53], 1.0 op_sel_hi:[1,0]
	v_min_f32_e32 v54, 0x40e00000, v30
	v_cndmask_b32_e32 v28, v49, v28, vcc
	v_add_f32_e32 v28, 1.0, v28
	v_pk_mul_f32 v[14:15], v[52:53], v[14:15]
	v_rcp_f32_e32 v52, v28
	v_ldexp_f32 v28, v36, v37
	v_cmp_ngt_f32_e32 vcc, s30, v29
	v_mul_f32_e32 v51, 0xbfd9db23, v54
	v_min_f32_e32 v55, 0x40e00000, v31
	v_cndmask_b32_e32 v28, 0, v28, vcc
	v_cmp_nlt_f32_e32 vcc, s31, v29
	v_mul_f32_e32 v29, 0x3fb8aa3b, v51
	v_fma_f32 v30, v51, s29, -v29
	v_rndne_f32_e32 v36, v29
	v_fmac_f32_e32 v30, 0x32a5705f, v51
	v_sub_f32_e32 v29, v29, v36
	v_add_f32_e32 v29, v29, v30
	v_exp_f32_e32 v29, v29
	v_cvt_i32_f32_e32 v30, v36
	v_cndmask_b32_e32 v28, v49, v28, vcc
	v_add_f32_e32 v28, 1.0, v28
	v_mul_f32_e32 v57, 0xbfd9db23, v55
	v_rcp_f32_e32 v53, v28
	v_mul_f32_e32 v28, 0x3fb8aa3b, v57
	v_ldexp_f32 v56, v29, v30
	v_fma_f32 v29, v57, s29, -v28
	v_rndne_f32_e32 v58, v28
	v_fmac_f32_e32 v29, 0x32a5705f, v57
	v_sub_f32_e32 v28, v28, v58
	v_add_f32_e32 v59, v28, v29
	buffer_load_dwordx4 v[36:39], v48, s[12:15], 32 offen
	buffer_load_dwordx4 v[28:31], v48, s[12:15], 48 offen
	v_cmp_ngt_f32_e32 vcc, s30, v51
	v_exp_f32_e32 v59, v59
	v_cvt_i32_f32_e32 v58, v58
	v_cndmask_b32_e32 v56, 0, v56, vcc
	v_cmp_nlt_f32_e32 vcc, s31, v51
	s_waitcnt vmcnt(4)
	v_pk_add_f32 v[22:23], v[22:23], v[26:27]
	v_pk_add_f32 v[20:21], v[20:21], v[24:25]
	v_cndmask_b32_e32 v51, v49, v56, vcc
	v_add_f32_e32 v51, 1.0, v51
	v_rcp_f32_e32 v56, v51
	v_ldexp_f32 v51, v59, v58
	v_cmp_ngt_f32_e32 vcc, s30, v57
	v_med3_f32 v23, v23, s33, v50
	v_med3_f32 v22, v22, s33, v50
	v_cndmask_b32_e32 v51, 0, v51, vcc
	v_cmp_nlt_f32_e32 vcc, s31, v57
	v_pk_add_f32 v[22:23], v[22:23], 1.0 op_sel_hi:[1,0]
	v_med3_f32 v21, v21, s33, v50
	v_cndmask_b32_e32 v51, v49, v51, vcc
	v_add_f32_e32 v51, 1.0, v51
	v_rcp_f32_e32 v57, v51
	v_med3_f32 v20, v20, s33, v50
	v_pk_add_f32 v[20:21], v[20:21], 1.0 op_sel_hi:[1,0]
	s_waitcnt vmcnt(3)
	v_pk_add_f32 v[16:17], v[16:17], v[40:41]
	v_pk_mul_f32 v[26:27], v[54:55], v[56:57]
	v_min_f32_e32 v16, 0x40e00000, v16
	v_pk_mul_f32 v[22:23], v[22:23], v[26:27]
	v_mul_f32_e32 v26, 0xbfd9db23, v16
	v_mul_f32_e32 v27, 0x3fb8aa3b, v26
	v_fma_f32 v40, v26, s29, -v27
	v_rndne_f32_e32 v41, v27
	v_fmac_f32_e32 v40, 0x32a5705f, v26
	v_sub_f32_e32 v27, v27, v41
	v_add_f32_e32 v27, v27, v40
	v_exp_f32_e32 v27, v27
	v_cvt_i32_f32_e32 v40, v41
	v_pk_mul_f32 v[24:25], v[46:47], v[52:53]
	v_min_f32_e32 v17, 0x40e00000, v17
	v_pk_mul_f32 v[20:21], v[20:21], v[24:25]
	v_mul_f32_e32 v25, 0xbfd9db23, v17
	v_ldexp_f32 v24, v27, v40
	v_mul_f32_e32 v27, 0x3fb8aa3b, v25
	v_fma_f32 v40, v25, s29, -v27
	v_rndne_f32_e32 v41, v27
	v_fmac_f32_e32 v40, 0x32a5705f, v25
	v_sub_f32_e32 v27, v27, v41
	v_add_f32_e32 v27, v27, v40
	v_exp_f32_e32 v27, v27
	v_cvt_i32_f32_e32 v40, v41
	v_cmp_ngt_f32_e32 vcc, s30, v26
	v_pk_add_f32 v[18:19], v[18:19], v[42:43]
	s_waitcnt vmcnt(2)
	v_pk_add_f32 v[4:5], v[4:5], v[32:33]
	v_cndmask_b32_e32 v24, 0, v24, vcc
	v_cmp_nlt_f32_e32 vcc, s31, v26
	v_ldexp_f32 v26, v27, v40
	v_min_f32_e32 v18, 0x40e00000, v18
	v_cndmask_b32_e32 v24, v49, v24, vcc
	v_cmp_ngt_f32_e32 vcc, s30, v25
	v_min_f32_e32 v19, 0x40e00000, v19
	v_add_f32_e32 v24, 1.0, v24
	v_cndmask_b32_e32 v26, 0, v26, vcc
	v_cmp_nlt_f32_e32 vcc, s31, v25
	v_rcp_f32_e32 v24, v24
	v_min_f32_e32 v4, 0x40e00000, v4
	v_cndmask_b32_e32 v25, v49, v26, vcc
	v_mul_f32_e32 v26, 0xbfd9db23, v18
	v_mul_f32_e32 v27, 0x3fb8aa3b, v26
	v_fma_f32 v40, v26, s29, -v27
	v_rndne_f32_e32 v41, v27
	v_fmac_f32_e32 v40, 0x32a5705f, v26
	v_sub_f32_e32 v27, v27, v41
	v_add_f32_e32 v27, v27, v40
	v_exp_f32_e32 v27, v27
	v_cvt_i32_f32_e32 v40, v41
	v_cmp_ngt_f32_e32 vcc, s30, v26
	v_add_f32_e32 v25, 1.0, v25
	v_rcp_f32_e32 v25, v25
	v_ldexp_f32 v27, v27, v40
	v_mul_f32_e32 v40, 0xbfd9db23, v19
	v_mul_f32_e32 v41, 0x3fb8aa3b, v40
	v_fma_f32 v42, v40, s29, -v41
	v_rndne_f32_e32 v43, v41
	v_fmac_f32_e32 v42, 0x32a5705f, v40
	v_sub_f32_e32 v41, v41, v43
	v_add_f32_e32 v41, v41, v42
	v_exp_f32_e32 v41, v41
	v_cvt_i32_f32_e32 v42, v43
	v_cndmask_b32_e32 v27, 0, v27, vcc
	v_cmp_nlt_f32_e32 vcc, s31, v26
	s_waitcnt vmcnt(1)
	v_pk_add_f32 v[10:11], v[10:11], v[38:39]
	v_pk_mul_f32 v[16:17], v[16:17], v[24:25]
	v_cndmask_b32_e32 v26, v49, v27, vcc
	v_ldexp_f32 v27, v41, v42
	v_cmp_ngt_f32_e32 vcc, s30, v40
	v_add_f32_e32 v26, 1.0, v26
	v_rcp_f32_e32 v26, v26
	v_cndmask_b32_e32 v27, 0, v27, vcc
	v_cmp_nlt_f32_e32 vcc, s31, v40
	v_med3_f32 v11, v11, s33, v50
	v_med3_f32 v10, v10, s33, v50
	v_cndmask_b32_e32 v27, v49, v27, vcc
	v_add_f32_e32 v27, 1.0, v27
	v_rcp_f32_e32 v27, v27
	v_pk_add_f32 v[10:11], v[10:11], 1.0 op_sel_hi:[1,0]
	v_pk_add_f32 v[8:9], v[8:9], v[36:37]
	v_min_f32_e32 v5, 0x40e00000, v5
	v_pk_mul_f32 v[18:19], v[18:19], v[26:27]
	v_med3_f32 v9, v9, s33, v50
	v_pk_mul_f32 v[10:11], v[10:11], v[18:19]
	v_mul_f32_e32 v18, 0xbfd9db23, v4
	v_mul_f32_e32 v19, 0x3fb8aa3b, v18
	v_fma_f32 v24, v18, s29, -v19
	v_rndne_f32_e32 v25, v19
	v_fmac_f32_e32 v24, 0x32a5705f, v18
	v_sub_f32_e32 v19, v19, v25
	v_add_f32_e32 v19, v19, v24
	v_exp_f32_e32 v19, v19
	v_cvt_i32_f32_e32 v24, v25
	v_med3_f32 v8, v8, s33, v50
	v_pk_add_f32 v[8:9], v[8:9], 1.0 op_sel_hi:[1,0]
	v_cmp_ngt_f32_e32 vcc, s30, v18
	v_pk_mul_f32 v[8:9], v[8:9], v[16:17]
	v_mul_f32_e32 v17, 0xbfd9db23, v5
	v_ldexp_f32 v16, v19, v24
	v_mul_f32_e32 v19, 0x3fb8aa3b, v17
	v_fma_f32 v24, v17, s29, -v19
	v_rndne_f32_e32 v25, v19
	v_fmac_f32_e32 v24, 0x32a5705f, v17
	v_sub_f32_e32 v19, v19, v25
	v_add_f32_e32 v19, v19, v24
	v_exp_f32_e32 v19, v19
	v_cvt_i32_f32_e32 v24, v25
	v_cndmask_b32_e32 v16, 0, v16, vcc
	v_cmp_nlt_f32_e32 vcc, s31, v18
	v_pk_add_f32 v[6:7], v[6:7], v[34:35]
	v_ldexp_f32 v18, v19, v24
	v_cndmask_b32_e32 v16, v49, v16, vcc
	v_cmp_ngt_f32_e32 vcc, s30, v17
	v_min_f32_e32 v6, 0x40e00000, v6
	v_min_f32_e32 v7, 0x40e00000, v7
	v_cndmask_b32_e32 v18, 0, v18, vcc
	v_cmp_nlt_f32_e32 vcc, s31, v17
	v_add_f32_e32 v16, 1.0, v16
	v_rcp_f32_e32 v16, v16
	v_cndmask_b32_e32 v17, v49, v18, vcc
	v_mul_f32_e32 v18, 0xbfd9db23, v6
	v_mul_f32_e32 v19, 0x3fb8aa3b, v18
	v_fma_f32 v24, v18, s29, -v19
	v_rndne_f32_e32 v25, v19
	v_fmac_f32_e32 v24, 0x32a5705f, v18
	v_sub_f32_e32 v19, v19, v25
	v_add_f32_e32 v19, v19, v24
	v_exp_f32_e32 v19, v19
	v_cvt_i32_f32_e32 v24, v25
	v_cmp_ngt_f32_e32 vcc, s30, v18
	v_add_f32_e32 v17, 1.0, v17
	v_rcp_f32_e32 v17, v17
	v_ldexp_f32 v19, v19, v24
	v_mul_f32_e32 v24, 0xbfd9db23, v7
	v_mul_f32_e32 v25, 0x3fb8aa3b, v24
	v_fma_f32 v26, v24, s29, -v25
	v_rndne_f32_e32 v27, v25
	v_fmac_f32_e32 v26, 0x32a5705f, v24
	v_sub_f32_e32 v25, v25, v27
	v_add_f32_e32 v25, v25, v26
	v_exp_f32_e32 v25, v25
	v_cvt_i32_f32_e32 v26, v27
	v_cndmask_b32_e32 v19, 0, v19, vcc
	v_cmp_nlt_f32_e32 vcc, s31, v18
	s_waitcnt vmcnt(0)
	v_pk_add_f32 v[2:3], v[2:3], v[30:31]
	v_pk_add_f32 v[0:1], v[0:1], v[28:29]
	v_cndmask_b32_e32 v18, v49, v19, vcc
	v_ldexp_f32 v19, v25, v26
	v_cmp_ngt_f32_e32 vcc, s30, v24
	v_add_f32_e32 v18, 1.0, v18
	v_rcp_f32_e32 v18, v18
	v_cndmask_b32_e32 v19, 0, v19, vcc
	v_cmp_nlt_f32_e32 vcc, s31, v24
	v_med3_f32 v3, v3, s33, v50
	v_med3_f32 v2, v2, s33, v50
	v_cndmask_b32_e32 v19, v49, v19, vcc
	v_add_f32_e32 v19, 1.0, v19
	v_rcp_f32_e32 v19, v19
	v_med3_f32 v1, v1, s33, v50
	v_med3_f32 v0, v0, s33, v50
	v_pk_add_f32 v[2:3], v[2:3], 1.0 op_sel_hi:[1,0]
	v_pk_add_f32 v[0:1], v[0:1], 1.0 op_sel_hi:[1,0]
	v_pk_mul_f32 v[4:5], v[4:5], v[16:17]
	v_pk_mul_f32 v[6:7], v[6:7], v[18:19]
	v_cmp_le_i64_e32 vcc, s[24:25], v[44:45]
	v_pk_mul_f32 v[2:3], v[2:3], v[6:7]
	v_pk_mul_f32 v[0:1], v[0:1], v[4:5]
	buffer_store_dwordx4 v[12:15], v48, s[4:7], 0 offen
	buffer_store_dwordx4 v[20:23], v48, s[4:7], 16 offen
	;; [unrolled: 1-line block ×4, first 2 shown]
	s_or_b64 s[26:27], vcc, s[26:27]
	v_add_u32_e32 v48, s28, v48
	s_andn2_b64 exec, exec, s[26:27]
	s_cbranch_execnz .LBB254_8
.LBB254_9:
	s_endpgm
	.section	.rodata,"a",@progbits
	.p2align	6, 0x0
	.amdhsa_kernel _ZN5aiter30swiglu_act_and_mul_bias_kernelIffafLi16EEEvPT0_PKT_PKT1_PKT2_il
		.amdhsa_group_segment_fixed_size 0
		.amdhsa_private_segment_fixed_size 0
		.amdhsa_kernarg_size 304
		.amdhsa_user_sgpr_count 2
		.amdhsa_user_sgpr_dispatch_ptr 0
		.amdhsa_user_sgpr_queue_ptr 0
		.amdhsa_user_sgpr_kernarg_segment_ptr 1
		.amdhsa_user_sgpr_dispatch_id 0
		.amdhsa_user_sgpr_kernarg_preload_length 0
		.amdhsa_user_sgpr_kernarg_preload_offset 0
		.amdhsa_user_sgpr_private_segment_size 0
		.amdhsa_uses_dynamic_stack 0
		.amdhsa_enable_private_segment 0
		.amdhsa_system_sgpr_workgroup_id_x 1
		.amdhsa_system_sgpr_workgroup_id_y 0
		.amdhsa_system_sgpr_workgroup_id_z 0
		.amdhsa_system_sgpr_workgroup_info 0
		.amdhsa_system_vgpr_workitem_id 0
		.amdhsa_next_free_vgpr 60
		.amdhsa_next_free_sgpr 34
		.amdhsa_accum_offset 60
		.amdhsa_reserve_vcc 1
		.amdhsa_float_round_mode_32 0
		.amdhsa_float_round_mode_16_64 0
		.amdhsa_float_denorm_mode_32 3
		.amdhsa_float_denorm_mode_16_64 3
		.amdhsa_dx10_clamp 1
		.amdhsa_ieee_mode 1
		.amdhsa_fp16_overflow 0
		.amdhsa_tg_split 0
		.amdhsa_exception_fp_ieee_invalid_op 0
		.amdhsa_exception_fp_denorm_src 0
		.amdhsa_exception_fp_ieee_div_zero 0
		.amdhsa_exception_fp_ieee_overflow 0
		.amdhsa_exception_fp_ieee_underflow 0
		.amdhsa_exception_fp_ieee_inexact 0
		.amdhsa_exception_int_div_zero 0
	.end_amdhsa_kernel
	.section	.text._ZN5aiter30swiglu_act_and_mul_bias_kernelIffafLi16EEEvPT0_PKT_PKT1_PKT2_il,"axG",@progbits,_ZN5aiter30swiglu_act_and_mul_bias_kernelIffafLi16EEEvPT0_PKT_PKT1_PKT2_il,comdat
.Lfunc_end254:
	.size	_ZN5aiter30swiglu_act_and_mul_bias_kernelIffafLi16EEEvPT0_PKT_PKT1_PKT2_il, .Lfunc_end254-_ZN5aiter30swiglu_act_and_mul_bias_kernelIffafLi16EEEvPT0_PKT_PKT1_PKT2_il
                                        ; -- End function
	.section	.AMDGPU.csdata,"",@progbits
; Kernel info:
; codeLenInByte = 2768
; NumSgprs: 40
; NumVgprs: 60
; NumAgprs: 0
; TotalNumVgprs: 60
; ScratchSize: 0
; MemoryBound: 0
; FloatMode: 240
; IeeeMode: 1
; LDSByteSize: 0 bytes/workgroup (compile time only)
; SGPRBlocks: 4
; VGPRBlocks: 7
; NumSGPRsForWavesPerEU: 40
; NumVGPRsForWavesPerEU: 60
; AccumOffset: 60
; Occupancy: 8
; WaveLimiterHint : 0
; COMPUTE_PGM_RSRC2:SCRATCH_EN: 0
; COMPUTE_PGM_RSRC2:USER_SGPR: 2
; COMPUTE_PGM_RSRC2:TRAP_HANDLER: 0
; COMPUTE_PGM_RSRC2:TGID_X_EN: 1
; COMPUTE_PGM_RSRC2:TGID_Y_EN: 0
; COMPUTE_PGM_RSRC2:TGID_Z_EN: 0
; COMPUTE_PGM_RSRC2:TIDIG_COMP_CNT: 0
; COMPUTE_PGM_RSRC3_GFX90A:ACCUM_OFFSET: 14
; COMPUTE_PGM_RSRC3_GFX90A:TG_SPLIT: 0
	.section	.text._ZN5aiter30swiglu_act_and_mul_bias_kernelIffafLi8EEEvPT0_PKT_PKT1_PKT2_il,"axG",@progbits,_ZN5aiter30swiglu_act_and_mul_bias_kernelIffafLi8EEEvPT0_PKT_PKT1_PKT2_il,comdat
	.protected	_ZN5aiter30swiglu_act_and_mul_bias_kernelIffafLi8EEEvPT0_PKT_PKT1_PKT2_il ; -- Begin function _ZN5aiter30swiglu_act_and_mul_bias_kernelIffafLi8EEEvPT0_PKT_PKT1_PKT2_il
	.globl	_ZN5aiter30swiglu_act_and_mul_bias_kernelIffafLi8EEEvPT0_PKT_PKT1_PKT2_il
	.p2align	8
	.type	_ZN5aiter30swiglu_act_and_mul_bias_kernelIffafLi8EEEvPT0_PKT_PKT1_PKT2_il,@function
_ZN5aiter30swiglu_act_and_mul_bias_kernelIffafLi8EEEvPT0_PKT_PKT1_PKT2_il: ; @_ZN5aiter30swiglu_act_and_mul_bias_kernelIffafLi8EEEvPT0_PKT_PKT1_PKT2_il
; %bb.0:
	s_load_dwordx2 s[4:5], s[0:1], 0x10
	s_load_dword s20, s[0:1], 0x20
	s_load_dwordx2 s[8:9], s[0:1], 0x28
	v_mov_b32_e32 v1, s2
	s_mov_b32 s13, 0
	s_waitcnt lgkmcnt(0)
	global_load_ubyte v1, v1, s[4:5]
	s_ashr_i32 s21, s20, 31
	s_load_dwordx2 s[4:5], s[0:1], 0x0
	s_mul_hi_u32 s3, s20, s2
	s_mul_i32 s7, s21, s2
	s_add_i32 s15, s3, s7
	s_mul_i32 s14, s20, s2
	s_lshl_b32 s6, s20, 2
	v_mov_b64_e32 v[2:3], s[8:9]
	s_lshl_b64 s[14:15], s[14:15], 2
	s_mov_b64 s[10:11], -1
	v_lshlrev_b32_e32 v16, 3, v0
	s_waitcnt vmcnt(0)
	v_readfirstlane_b32 s3, v1
	s_nop 1
	v_mov_b32_e32 v4, s3
	s_sext_i32_i8 s3, s3
	v_readfirstlane_b32 s12, v4
	s_bfe_i64 s[8:9], s[12:13], 0x80000
	s_waitcnt lgkmcnt(0)
	s_add_u32 s4, s4, s14
	s_addc_u32 s5, s5, s15
	s_and_b32 s5, s5, 0xffff
	s_cmp_gt_i32 s3, -1
	v_cmp_lt_i64_e32 vcc, s[8:9], v[2:3]
	s_cselect_b64 s[12:13], -1, 0
	s_and_b64 s[12:13], s[12:13], vcc
	s_and_b64 vcc, exec, s[12:13]
	s_cbranch_vccnz .LBB255_5
; %bb.1:
	v_cmp_gt_i32_e32 vcc, s20, v16
	s_and_saveexec_b64 s[10:11], vcc
	s_cbranch_execz .LBB255_4
; %bb.2:
	s_load_dword s3, s[0:1], 0x3c
	s_mov_b32 s13, 0
	s_mov_b32 s16, s13
	;; [unrolled: 1-line block ×3, first 2 shown]
	v_mov_b32_e32 v17, 0
	s_waitcnt lgkmcnt(0)
	s_and_b32 s3, s3, 0xffff
	s_mov_b32 s18, s13
	s_mov_b32 s19, s13
	v_mov_b64_e32 v[2:3], s[16:17]
	v_lshlrev_b32_e32 v1, 5, v0
	s_lshl_b32 s12, s3, 3
	s_lshl_b32 s3, s3, 5
	s_mov_b64 s[14:15], 0
	s_mov_b32 s7, 0x20000
	v_mov_b64_e32 v[4:5], s[18:19]
	v_mov_b64_e32 v[6:7], v[16:17]
.LBB255_3:                              ; =>This Inner Loop Header: Depth=1
	v_lshl_add_u64 v[6:7], s[12:13], 0, v[6:7]
	v_cmp_le_i64_e32 vcc, s[20:21], v[6:7]
	buffer_store_dwordx4 v[2:5], v1, s[4:7], 0 offen
	buffer_store_dwordx4 v[2:5], v1, s[4:7], 16 offen
	s_or_b64 s[14:15], vcc, s[14:15]
	v_add_u32_e32 v1, s3, v1
	s_andn2_b64 exec, exec, s[14:15]
	s_cbranch_execnz .LBB255_3
.LBB255_4:
	s_or_b64 exec, exec, s[10:11]
	s_mov_b64 s[10:11], 0
.LBB255_5:
	s_andn2_b64 vcc, exec, s[10:11]
	s_cbranch_vccnz .LBB255_9
; %bb.6:
	v_cmp_gt_i32_e32 vcc, s20, v16
	s_and_saveexec_b64 s[10:11], vcc
	s_cbranch_execz .LBB255_9
; %bb.7:
	s_load_dwordx2 s[10:11], s[0:1], 0x8
	s_load_dwordx2 s[12:13], s[0:1], 0x18
	s_mul_hi_i32 s9, s20, s8
	s_mul_i32 s8, s20, s8
	s_lshl_b64 s[8:9], s[8:9], 3
	s_load_dword s18, s[0:1], 0x3c
	s_waitcnt lgkmcnt(0)
	s_add_u32 s0, s12, s8
	s_addc_u32 s1, s13, s9
	s_lshl_b64 s[14:15], s[20:21], 2
	s_add_u32 s8, s0, s14
	s_addc_u32 s3, s1, s15
	s_and_b32 s9, s3, 0xffff
	s_mul_i32 s3, s2, s21
	s_mul_hi_u32 s12, s2, s20
	s_add_i32 s3, s12, s3
	s_mul_i32 s2, s2, s20
	s_and_b32 s1, s1, 0xffff
	s_lshl_b64 s[2:3], s[2:3], 3
	s_add_u32 s12, s10, s2
	s_addc_u32 s2, s11, s3
	s_add_u32 s16, s12, s14
	s_mov_b32 s7, 0x20000
	s_addc_u32 s3, s2, s15
	s_and_b32 s13, s2, 0xffff
	s_and_b32 s2, s18, 0xffff
	s_mov_b32 s23, 0
	s_and_b32 s17, s3, 0xffff
	v_mov_b32_e32 v17, 0
	s_lshl_b32 s22, s2, 3
	v_lshlrev_b32_e32 v18, 5, v0
	s_lshl_b32 s26, s2, 5
	s_mov_b64 s[24:25], 0
	s_mov_b32 s11, s7
	s_mov_b32 s10, s6
	;; [unrolled: 1-line block ×7, first 2 shown]
	v_mov_b32_e32 v19, 0x7f800000
	s_mov_b32 s30, 0xc0e00000
	v_mov_b32_e32 v20, 0x40e00000
	s_mov_b32 s18, s6
	s_mov_b32 s19, s7
	;; [unrolled: 1-line block ×4, first 2 shown]
.LBB255_8:                              ; =>This Inner Loop Header: Depth=1
	buffer_load_dwordx4 v[22:25], v18, s[0:3], 0 offen
	buffer_load_dwordx4 v[26:29], v18, s[12:15], 0 offen
	;; [unrolled: 1-line block ×8, first 2 shown]
	v_lshl_add_u64 v[16:17], s[22:23], 0, v[16:17]
	s_waitcnt vmcnt(6)
	v_pk_add_f32 v[22:23], v[26:27], v[22:23]
	v_pk_add_f32 v[24:25], v[28:29], v[24:25]
	s_waitcnt vmcnt(4)
	v_pk_add_f32 v[26:27], v[32:33], v[36:37]
	v_pk_add_f32 v[28:29], v[30:31], v[34:35]
	s_waitcnt vmcnt(2)
	v_pk_add_f32 v[8:9], v[8:9], v[12:13]
	v_min_f32_e32 v12, 0x40e00000, v22
	v_min_f32_e32 v13, 0x40e00000, v23
	v_mul_f32_e32 v21, 0xbfd9db23, v12
	v_min_f32_e32 v22, 0x40e00000, v24
	v_med3_f32 v24, v26, s30, v20
	v_med3_f32 v26, v28, s30, v20
	v_mul_f32_e32 v28, 0xbfd9db23, v13
	v_mul_f32_e32 v31, 0x3fb8aa3b, v21
	v_min_f32_e32 v23, 0x40e00000, v25
	v_med3_f32 v25, v27, s30, v20
	v_med3_f32 v27, v29, s30, v20
	v_mul_f32_e32 v29, 0xbfd9db23, v22
	v_mul_f32_e32 v33, 0x3fb8aa3b, v28
	v_fma_f32 v37, v21, s27, -v31
	v_rndne_f32_e32 v38, v31
	v_mul_f32_e32 v30, 0xbfd9db23, v23
	v_mul_f32_e32 v34, 0x3fb8aa3b, v29
	v_fma_f32 v39, v28, s27, -v33
	v_rndne_f32_e32 v40, v33
	v_fmac_f32_e32 v37, 0x32a5705f, v21
	v_sub_f32_e32 v31, v31, v38
	v_mul_f32_e32 v35, 0x3fb8aa3b, v30
	v_fma_f32 v41, v29, s27, -v34
	v_rndne_f32_e32 v42, v34
	v_fmac_f32_e32 v39, 0x32a5705f, v28
	v_sub_f32_e32 v33, v33, v40
	v_add_f32_e32 v31, v31, v37
	v_fma_f32 v43, v30, s27, -v35
	v_rndne_f32_e32 v44, v35
	v_cvt_i32_f32_e32 v38, v38
	v_fmac_f32_e32 v41, 0x32a5705f, v29
	v_sub_f32_e32 v34, v34, v42
	v_add_f32_e32 v33, v33, v39
	v_exp_f32_e32 v31, v31
	v_cvt_i32_f32_e32 v40, v40
	v_fmac_f32_e32 v43, 0x32a5705f, v30
	v_sub_f32_e32 v35, v35, v44
	v_add_f32_e32 v34, v34, v41
	v_exp_f32_e32 v33, v33
	v_cvt_i32_f32_e32 v42, v42
	v_add_f32_e32 v35, v35, v43
	v_exp_f32_e32 v34, v34
	v_cvt_i32_f32_e32 v44, v44
	v_exp_f32_e32 v35, v35
	v_ldexp_f32 v31, v31, v38
	v_cmp_ngt_f32_e32 vcc, s28, v21
	v_ldexp_f32 v33, v33, v40
	v_ldexp_f32 v34, v34, v42
	v_cndmask_b32_e32 v31, 0, v31, vcc
	v_cmp_ngt_f32_e32 vcc, s28, v28
	v_ldexp_f32 v35, v35, v44
	v_min_f32_e32 v8, 0x40e00000, v8
	v_cndmask_b32_e32 v33, 0, v33, vcc
	v_cmp_ngt_f32_e32 vcc, s28, v29
	v_mul_f32_e32 v32, 0xbfd9db23, v8
	v_mul_f32_e32 v36, 0x3fb8aa3b, v32
	v_cndmask_b32_e32 v34, 0, v34, vcc
	v_cmp_ngt_f32_e32 vcc, s28, v30
	v_fma_f32 v45, v32, s27, -v36
	v_rndne_f32_e32 v46, v36
	v_cndmask_b32_e32 v35, 0, v35, vcc
	v_cmp_nlt_f32_e32 vcc, s29, v21
	v_fmac_f32_e32 v45, 0x32a5705f, v32
	v_sub_f32_e32 v36, v36, v46
	v_cndmask_b32_e32 v21, v19, v31, vcc
	v_cmp_nlt_f32_e32 vcc, s29, v28
	v_add_f32_e32 v21, 1.0, v21
	v_cvt_i32_f32_e32 v46, v46
	v_cndmask_b32_e32 v28, v19, v33, vcc
	v_cmp_nlt_f32_e32 vcc, s29, v29
	v_add_f32_e32 v31, 1.0, v28
	v_rcp_f32_e32 v28, v21
	v_cndmask_b32_e32 v29, v19, v34, vcc
	v_cmp_nlt_f32_e32 vcc, s29, v30
	v_add_f32_e32 v33, 1.0, v29
	v_rcp_f32_e32 v29, v31
	v_cndmask_b32_e32 v30, v19, v35, vcc
	v_add_f32_e32 v34, 1.0, v30
	v_rcp_f32_e32 v30, v33
	v_rcp_f32_e32 v31, v34
	v_add_f32_e32 v21, v36, v45
	v_exp_f32_e32 v21, v21
	v_pk_add_f32 v[24:25], v[24:25], 1.0 op_sel_hi:[1,0]
	v_pk_add_f32 v[26:27], v[26:27], 1.0 op_sel_hi:[1,0]
	v_pk_mul_f32 v[12:13], v[12:13], v[28:29]
	v_pk_mul_f32 v[22:23], v[22:23], v[30:31]
	v_min_f32_e32 v9, 0x40e00000, v9
	v_pk_mul_f32 v[24:25], v[24:25], v[22:23]
	v_pk_mul_f32 v[22:23], v[26:27], v[12:13]
	v_mul_f32_e32 v13, 0xbfd9db23, v9
	v_pk_add_f32 v[10:11], v[10:11], v[14:15]
	v_mul_f32_e32 v14, 0x3fb8aa3b, v13
	v_ldexp_f32 v12, v21, v46
	v_fma_f32 v15, v13, s27, -v14
	v_rndne_f32_e32 v21, v14
	v_fmac_f32_e32 v15, 0x32a5705f, v13
	v_sub_f32_e32 v14, v14, v21
	v_add_f32_e32 v14, v14, v15
	v_exp_f32_e32 v14, v14
	v_cvt_i32_f32_e32 v15, v21
	v_cmp_ngt_f32_e32 vcc, s28, v32
	v_min_f32_e32 v10, 0x40e00000, v10
	v_min_f32_e32 v11, 0x40e00000, v11
	v_cndmask_b32_e32 v12, 0, v12, vcc
	v_cmp_nlt_f32_e32 vcc, s29, v32
	v_ldexp_f32 v14, v14, v15
	s_waitcnt vmcnt(0)
	v_pk_add_f32 v[2:3], v[2:3], v[6:7]
	v_cndmask_b32_e32 v12, v19, v12, vcc
	v_cmp_ngt_f32_e32 vcc, s28, v13
	v_add_f32_e32 v12, 1.0, v12
	v_rcp_f32_e32 v12, v12
	v_cndmask_b32_e32 v14, 0, v14, vcc
	v_cmp_nlt_f32_e32 vcc, s29, v13
	v_pk_add_f32 v[0:1], v[0:1], v[4:5]
	v_med3_f32 v3, v3, s30, v20
	v_cndmask_b32_e32 v13, v19, v14, vcc
	v_mul_f32_e32 v14, 0xbfd9db23, v10
	v_mul_f32_e32 v15, 0x3fb8aa3b, v14
	v_fma_f32 v21, v14, s27, -v15
	v_rndne_f32_e32 v26, v15
	v_fmac_f32_e32 v21, 0x32a5705f, v14
	v_sub_f32_e32 v15, v15, v26
	v_add_f32_e32 v15, v15, v21
	v_exp_f32_e32 v15, v15
	v_cvt_i32_f32_e32 v21, v26
	v_cmp_ngt_f32_e32 vcc, s28, v14
	v_add_f32_e32 v13, 1.0, v13
	v_rcp_f32_e32 v13, v13
	v_ldexp_f32 v15, v15, v21
	v_mul_f32_e32 v21, 0xbfd9db23, v11
	v_mul_f32_e32 v26, 0x3fb8aa3b, v21
	v_fma_f32 v27, v21, s27, -v26
	v_rndne_f32_e32 v28, v26
	v_fmac_f32_e32 v27, 0x32a5705f, v21
	v_sub_f32_e32 v26, v26, v28
	v_add_f32_e32 v26, v26, v27
	v_exp_f32_e32 v26, v26
	v_cvt_i32_f32_e32 v27, v28
	v_cndmask_b32_e32 v15, 0, v15, vcc
	v_cmp_nlt_f32_e32 vcc, s29, v14
	v_med3_f32 v2, v2, s30, v20
	v_med3_f32 v1, v1, s30, v20
	v_cndmask_b32_e32 v14, v19, v15, vcc
	v_ldexp_f32 v15, v26, v27
	v_cmp_ngt_f32_e32 vcc, s28, v21
	v_add_f32_e32 v14, 1.0, v14
	v_rcp_f32_e32 v14, v14
	v_cndmask_b32_e32 v15, 0, v15, vcc
	v_cmp_nlt_f32_e32 vcc, s29, v21
	v_med3_f32 v0, v0, s30, v20
	v_pk_add_f32 v[2:3], v[2:3], 1.0 op_sel_hi:[1,0]
	v_cndmask_b32_e32 v15, v19, v15, vcc
	v_add_f32_e32 v15, 1.0, v15
	v_rcp_f32_e32 v15, v15
	v_pk_add_f32 v[0:1], v[0:1], 1.0 op_sel_hi:[1,0]
	v_pk_mul_f32 v[4:5], v[8:9], v[12:13]
	v_cmp_le_i64_e32 vcc, s[20:21], v[16:17]
	v_pk_mul_f32 v[6:7], v[10:11], v[14:15]
	v_pk_mul_f32 v[0:1], v[0:1], v[4:5]
	;; [unrolled: 1-line block ×3, first 2 shown]
	buffer_store_dwordx4 v[22:25], v18, s[4:7], 0 offen
	buffer_store_dwordx4 v[0:3], v18, s[4:7], 16 offen
	s_or_b64 s[24:25], vcc, s[24:25]
	v_add_u32_e32 v18, s26, v18
	s_andn2_b64 exec, exec, s[24:25]
	s_cbranch_execnz .LBB255_8
.LBB255_9:
	s_endpgm
	.section	.rodata,"a",@progbits
	.p2align	6, 0x0
	.amdhsa_kernel _ZN5aiter30swiglu_act_and_mul_bias_kernelIffafLi8EEEvPT0_PKT_PKT1_PKT2_il
		.amdhsa_group_segment_fixed_size 0
		.amdhsa_private_segment_fixed_size 0
		.amdhsa_kernarg_size 304
		.amdhsa_user_sgpr_count 2
		.amdhsa_user_sgpr_dispatch_ptr 0
		.amdhsa_user_sgpr_queue_ptr 0
		.amdhsa_user_sgpr_kernarg_segment_ptr 1
		.amdhsa_user_sgpr_dispatch_id 0
		.amdhsa_user_sgpr_kernarg_preload_length 0
		.amdhsa_user_sgpr_kernarg_preload_offset 0
		.amdhsa_user_sgpr_private_segment_size 0
		.amdhsa_uses_dynamic_stack 0
		.amdhsa_enable_private_segment 0
		.amdhsa_system_sgpr_workgroup_id_x 1
		.amdhsa_system_sgpr_workgroup_id_y 0
		.amdhsa_system_sgpr_workgroup_id_z 0
		.amdhsa_system_sgpr_workgroup_info 0
		.amdhsa_system_vgpr_workitem_id 0
		.amdhsa_next_free_vgpr 47
		.amdhsa_next_free_sgpr 31
		.amdhsa_accum_offset 48
		.amdhsa_reserve_vcc 1
		.amdhsa_float_round_mode_32 0
		.amdhsa_float_round_mode_16_64 0
		.amdhsa_float_denorm_mode_32 3
		.amdhsa_float_denorm_mode_16_64 3
		.amdhsa_dx10_clamp 1
		.amdhsa_ieee_mode 1
		.amdhsa_fp16_overflow 0
		.amdhsa_tg_split 0
		.amdhsa_exception_fp_ieee_invalid_op 0
		.amdhsa_exception_fp_denorm_src 0
		.amdhsa_exception_fp_ieee_div_zero 0
		.amdhsa_exception_fp_ieee_overflow 0
		.amdhsa_exception_fp_ieee_underflow 0
		.amdhsa_exception_fp_ieee_inexact 0
		.amdhsa_exception_int_div_zero 0
	.end_amdhsa_kernel
	.section	.text._ZN5aiter30swiglu_act_and_mul_bias_kernelIffafLi8EEEvPT0_PKT_PKT1_PKT2_il,"axG",@progbits,_ZN5aiter30swiglu_act_and_mul_bias_kernelIffafLi8EEEvPT0_PKT_PKT1_PKT2_il,comdat
.Lfunc_end255:
	.size	_ZN5aiter30swiglu_act_and_mul_bias_kernelIffafLi8EEEvPT0_PKT_PKT1_PKT2_il, .Lfunc_end255-_ZN5aiter30swiglu_act_and_mul_bias_kernelIffafLi8EEEvPT0_PKT_PKT1_PKT2_il
                                        ; -- End function
	.section	.AMDGPU.csdata,"",@progbits
; Kernel info:
; codeLenInByte = 1668
; NumSgprs: 37
; NumVgprs: 47
; NumAgprs: 0
; TotalNumVgprs: 47
; ScratchSize: 0
; MemoryBound: 0
; FloatMode: 240
; IeeeMode: 1
; LDSByteSize: 0 bytes/workgroup (compile time only)
; SGPRBlocks: 4
; VGPRBlocks: 5
; NumSGPRsForWavesPerEU: 37
; NumVGPRsForWavesPerEU: 47
; AccumOffset: 48
; Occupancy: 8
; WaveLimiterHint : 0
; COMPUTE_PGM_RSRC2:SCRATCH_EN: 0
; COMPUTE_PGM_RSRC2:USER_SGPR: 2
; COMPUTE_PGM_RSRC2:TRAP_HANDLER: 0
; COMPUTE_PGM_RSRC2:TGID_X_EN: 1
; COMPUTE_PGM_RSRC2:TGID_Y_EN: 0
; COMPUTE_PGM_RSRC2:TGID_Z_EN: 0
; COMPUTE_PGM_RSRC2:TIDIG_COMP_CNT: 0
; COMPUTE_PGM_RSRC3_GFX90A:ACCUM_OFFSET: 11
; COMPUTE_PGM_RSRC3_GFX90A:TG_SPLIT: 0
	.section	.text._ZN5aiter30swiglu_act_and_mul_bias_kernelIffafLi4EEEvPT0_PKT_PKT1_PKT2_il,"axG",@progbits,_ZN5aiter30swiglu_act_and_mul_bias_kernelIffafLi4EEEvPT0_PKT_PKT1_PKT2_il,comdat
	.protected	_ZN5aiter30swiglu_act_and_mul_bias_kernelIffafLi4EEEvPT0_PKT_PKT1_PKT2_il ; -- Begin function _ZN5aiter30swiglu_act_and_mul_bias_kernelIffafLi4EEEvPT0_PKT_PKT1_PKT2_il
	.globl	_ZN5aiter30swiglu_act_and_mul_bias_kernelIffafLi4EEEvPT0_PKT_PKT1_PKT2_il
	.p2align	8
	.type	_ZN5aiter30swiglu_act_and_mul_bias_kernelIffafLi4EEEvPT0_PKT_PKT1_PKT2_il,@function
_ZN5aiter30swiglu_act_and_mul_bias_kernelIffafLi4EEEvPT0_PKT_PKT1_PKT2_il: ; @_ZN5aiter30swiglu_act_and_mul_bias_kernelIffafLi4EEEvPT0_PKT_PKT1_PKT2_il
; %bb.0:
	s_load_dwordx2 s[4:5], s[0:1], 0x10
	s_load_dword s20, s[0:1], 0x20
	s_load_dwordx2 s[8:9], s[0:1], 0x28
	v_mov_b32_e32 v1, s2
	s_mov_b32 s13, 0
	s_waitcnt lgkmcnt(0)
	global_load_ubyte v1, v1, s[4:5]
	s_ashr_i32 s21, s20, 31
	s_load_dwordx2 s[4:5], s[0:1], 0x0
	s_mul_hi_u32 s3, s20, s2
	s_mul_i32 s7, s21, s2
	s_add_i32 s15, s3, s7
	s_mul_i32 s14, s20, s2
	s_lshl_b32 s6, s20, 2
	v_mov_b64_e32 v[2:3], s[8:9]
	s_lshl_b64 s[14:15], s[14:15], 2
	s_mov_b64 s[10:11], -1
	v_lshlrev_b32_e32 v16, 2, v0
	s_waitcnt vmcnt(0)
	v_readfirstlane_b32 s3, v1
	s_nop 1
	v_mov_b32_e32 v4, s3
	s_sext_i32_i8 s3, s3
	v_readfirstlane_b32 s12, v4
	s_bfe_i64 s[8:9], s[12:13], 0x80000
	s_waitcnt lgkmcnt(0)
	s_add_u32 s4, s4, s14
	s_addc_u32 s5, s5, s15
	s_and_b32 s5, s5, 0xffff
	s_cmp_gt_i32 s3, -1
	v_cmp_lt_i64_e32 vcc, s[8:9], v[2:3]
	s_cselect_b64 s[12:13], -1, 0
	s_and_b64 s[12:13], s[12:13], vcc
	s_and_b64 vcc, exec, s[12:13]
	s_cbranch_vccnz .LBB256_5
; %bb.1:
	v_cmp_gt_i32_e32 vcc, s20, v16
	s_and_saveexec_b64 s[10:11], vcc
	s_cbranch_execz .LBB256_4
; %bb.2:
	s_load_dword s3, s[0:1], 0x3c
	v_mov_b32_e32 v17, 0
	s_mov_b32 s13, 0
	v_lshlrev_b32_e32 v1, 4, v0
	s_mov_b64 s[14:15], 0
	s_waitcnt lgkmcnt(0)
	s_and_b32 s3, s3, 0xffff
	s_lshl_b32 s12, s3, 2
	s_lshl_b32 s3, s3, 4
	s_mov_b32 s7, 0x20000
	v_mov_b32_e32 v2, v17
	v_mov_b32_e32 v3, v17
	;; [unrolled: 1-line block ×4, first 2 shown]
	v_mov_b64_e32 v[6:7], v[16:17]
.LBB256_3:                              ; =>This Inner Loop Header: Depth=1
	v_lshl_add_u64 v[6:7], s[12:13], 0, v[6:7]
	v_cmp_le_i64_e32 vcc, s[20:21], v[6:7]
	buffer_store_dwordx4 v[2:5], v1, s[4:7], 0 offen
	s_or_b64 s[14:15], vcc, s[14:15]
	v_add_u32_e32 v1, s3, v1
	s_andn2_b64 exec, exec, s[14:15]
	s_cbranch_execnz .LBB256_3
.LBB256_4:
	s_or_b64 exec, exec, s[10:11]
	s_mov_b64 s[10:11], 0
.LBB256_5:
	s_andn2_b64 vcc, exec, s[10:11]
	s_cbranch_vccnz .LBB256_9
; %bb.6:
	v_cmp_gt_i32_e32 vcc, s20, v16
	s_and_saveexec_b64 s[10:11], vcc
	s_cbranch_execz .LBB256_9
; %bb.7:
	s_load_dwordx2 s[10:11], s[0:1], 0x8
	s_load_dwordx2 s[12:13], s[0:1], 0x18
	s_mul_hi_i32 s9, s20, s8
	s_mul_i32 s8, s20, s8
	s_lshl_b64 s[8:9], s[8:9], 3
	s_load_dword s18, s[0:1], 0x3c
	s_waitcnt lgkmcnt(0)
	s_add_u32 s0, s12, s8
	s_addc_u32 s1, s13, s9
	s_lshl_b64 s[14:15], s[20:21], 2
	s_add_u32 s8, s0, s14
	s_addc_u32 s3, s1, s15
	s_and_b32 s9, s3, 0xffff
	s_mul_i32 s3, s2, s21
	s_mul_hi_u32 s12, s2, s20
	s_add_i32 s3, s12, s3
	s_mul_i32 s2, s2, s20
	s_and_b32 s1, s1, 0xffff
	s_lshl_b64 s[2:3], s[2:3], 3
	s_add_u32 s12, s10, s2
	s_addc_u32 s2, s11, s3
	s_add_u32 s16, s12, s14
	s_mov_b32 s7, 0x20000
	s_addc_u32 s3, s2, s15
	s_and_b32 s13, s2, 0xffff
	s_and_b32 s2, s18, 0xffff
	s_mov_b32 s23, 0
	s_and_b32 s17, s3, 0xffff
	v_mov_b32_e32 v17, 0
	s_lshl_b32 s22, s2, 2
	v_lshlrev_b32_e32 v18, 4, v0
	s_lshl_b32 s26, s2, 4
	s_mov_b64 s[24:25], 0
	s_mov_b32 s11, s7
	s_mov_b32 s10, s6
	;; [unrolled: 1-line block ×7, first 2 shown]
	v_mov_b32_e32 v19, 0x7f800000
	s_mov_b32 s30, 0xc0e00000
	v_mov_b32_e32 v20, 0x40e00000
	s_mov_b32 s18, s6
	s_mov_b32 s19, s7
	;; [unrolled: 1-line block ×4, first 2 shown]
.LBB256_8:                              ; =>This Inner Loop Header: Depth=1
	buffer_load_dwordx4 v[4:7], v18, s[0:3], 0 offen
	buffer_load_dwordx4 v[8:11], v18, s[12:15], 0 offen
	;; [unrolled: 1-line block ×4, first 2 shown]
	v_lshl_add_u64 v[16:17], s[22:23], 0, v[16:17]
	v_cmp_le_i64_e32 vcc, s[20:21], v[16:17]
	s_or_b64 s[24:25], vcc, s[24:25]
	s_waitcnt vmcnt(2)
	v_pk_add_f32 v[4:5], v[8:9], v[4:5]
	s_nop 0
	v_min_f32_e32 v4, 0x40e00000, v4
	v_pk_add_f32 v[6:7], v[10:11], v[6:7]
	v_min_f32_e32 v5, 0x40e00000, v5
	v_mul_f32_e32 v8, 0xbfd9db23, v4
	s_waitcnt vmcnt(0)
	v_pk_add_f32 v[0:1], v[0:1], v[12:13]
	v_min_f32_e32 v6, 0x40e00000, v6
	v_mul_f32_e32 v9, 0xbfd9db23, v5
	v_mul_f32_e32 v12, 0x3fb8aa3b, v8
	v_min_f32_e32 v7, 0x40e00000, v7
	v_mul_f32_e32 v10, 0xbfd9db23, v6
	v_mul_f32_e32 v13, 0x3fb8aa3b, v9
	v_fma_f32 v21, v8, s27, -v12
	v_rndne_f32_e32 v22, v12
	v_pk_add_f32 v[2:3], v[2:3], v[14:15]
	v_mul_f32_e32 v11, 0xbfd9db23, v7
	v_mul_f32_e32 v14, 0x3fb8aa3b, v10
	v_fma_f32 v23, v9, s27, -v13
	v_rndne_f32_e32 v24, v13
	v_fmac_f32_e32 v21, 0x32a5705f, v8
	v_sub_f32_e32 v12, v12, v22
	v_mul_f32_e32 v15, 0x3fb8aa3b, v11
	v_fma_f32 v25, v10, s27, -v14
	v_rndne_f32_e32 v26, v14
	v_fmac_f32_e32 v23, 0x32a5705f, v9
	v_sub_f32_e32 v13, v13, v24
	v_add_f32_e32 v12, v12, v21
	v_fma_f32 v27, v11, s27, -v15
	v_rndne_f32_e32 v28, v15
	v_cvt_i32_f32_e32 v22, v22
	v_fmac_f32_e32 v25, 0x32a5705f, v10
	v_sub_f32_e32 v14, v14, v26
	v_add_f32_e32 v13, v13, v23
	v_exp_f32_e32 v12, v12
	v_cvt_i32_f32_e32 v24, v24
	v_fmac_f32_e32 v27, 0x32a5705f, v11
	v_sub_f32_e32 v15, v15, v28
	v_add_f32_e32 v14, v14, v25
	v_exp_f32_e32 v13, v13
	v_cvt_i32_f32_e32 v26, v26
	v_add_f32_e32 v15, v15, v27
	v_exp_f32_e32 v14, v14
	v_cvt_i32_f32_e32 v28, v28
	v_exp_f32_e32 v15, v15
	v_ldexp_f32 v12, v12, v22
	v_cmp_ngt_f32_e32 vcc, s28, v8
	v_ldexp_f32 v13, v13, v24
	v_ldexp_f32 v14, v14, v26
	v_cndmask_b32_e32 v12, 0, v12, vcc
	v_cmp_ngt_f32_e32 vcc, s28, v9
	v_ldexp_f32 v15, v15, v28
	v_med3_f32 v3, v3, s30, v20
	v_cndmask_b32_e32 v13, 0, v13, vcc
	v_cmp_ngt_f32_e32 vcc, s28, v10
	v_med3_f32 v2, v2, s30, v20
	v_med3_f32 v1, v1, s30, v20
	v_cndmask_b32_e32 v14, 0, v14, vcc
	v_cmp_ngt_f32_e32 vcc, s28, v11
	v_med3_f32 v0, v0, s30, v20
	v_pk_add_f32 v[2:3], v[2:3], 1.0 op_sel_hi:[1,0]
	v_cndmask_b32_e32 v15, 0, v15, vcc
	v_cmp_nlt_f32_e32 vcc, s29, v8
	v_pk_add_f32 v[0:1], v[0:1], 1.0 op_sel_hi:[1,0]
	s_nop 0
	v_cndmask_b32_e32 v8, v19, v12, vcc
	v_cmp_nlt_f32_e32 vcc, s29, v9
	v_add_f32_e32 v8, 1.0, v8
	v_rcp_f32_e32 v8, v8
	v_cndmask_b32_e32 v9, v19, v13, vcc
	v_cmp_nlt_f32_e32 vcc, s29, v10
	v_add_f32_e32 v9, 1.0, v9
	v_rcp_f32_e32 v9, v9
	;; [unrolled: 4-line block ×3, first 2 shown]
	v_cndmask_b32_e32 v11, v19, v15, vcc
	v_add_f32_e32 v11, 1.0, v11
	v_rcp_f32_e32 v11, v11
	v_pk_mul_f32 v[4:5], v[4:5], v[8:9]
	v_pk_mul_f32 v[6:7], v[6:7], v[10:11]
	s_nop 0
	v_pk_mul_f32 v[2:3], v[2:3], v[6:7]
	v_pk_mul_f32 v[0:1], v[0:1], v[4:5]
	buffer_store_dwordx4 v[0:3], v18, s[4:7], 0 offen
	v_add_u32_e32 v18, s26, v18
	s_andn2_b64 exec, exec, s[24:25]
	s_cbranch_execnz .LBB256_8
.LBB256_9:
	s_endpgm
	.section	.rodata,"a",@progbits
	.p2align	6, 0x0
	.amdhsa_kernel _ZN5aiter30swiglu_act_and_mul_bias_kernelIffafLi4EEEvPT0_PKT_PKT1_PKT2_il
		.amdhsa_group_segment_fixed_size 0
		.amdhsa_private_segment_fixed_size 0
		.amdhsa_kernarg_size 304
		.amdhsa_user_sgpr_count 2
		.amdhsa_user_sgpr_dispatch_ptr 0
		.amdhsa_user_sgpr_queue_ptr 0
		.amdhsa_user_sgpr_kernarg_segment_ptr 1
		.amdhsa_user_sgpr_dispatch_id 0
		.amdhsa_user_sgpr_kernarg_preload_length 0
		.amdhsa_user_sgpr_kernarg_preload_offset 0
		.amdhsa_user_sgpr_private_segment_size 0
		.amdhsa_uses_dynamic_stack 0
		.amdhsa_enable_private_segment 0
		.amdhsa_system_sgpr_workgroup_id_x 1
		.amdhsa_system_sgpr_workgroup_id_y 0
		.amdhsa_system_sgpr_workgroup_id_z 0
		.amdhsa_system_sgpr_workgroup_info 0
		.amdhsa_system_vgpr_workitem_id 0
		.amdhsa_next_free_vgpr 29
		.amdhsa_next_free_sgpr 31
		.amdhsa_accum_offset 32
		.amdhsa_reserve_vcc 1
		.amdhsa_float_round_mode_32 0
		.amdhsa_float_round_mode_16_64 0
		.amdhsa_float_denorm_mode_32 3
		.amdhsa_float_denorm_mode_16_64 3
		.amdhsa_dx10_clamp 1
		.amdhsa_ieee_mode 1
		.amdhsa_fp16_overflow 0
		.amdhsa_tg_split 0
		.amdhsa_exception_fp_ieee_invalid_op 0
		.amdhsa_exception_fp_denorm_src 0
		.amdhsa_exception_fp_ieee_div_zero 0
		.amdhsa_exception_fp_ieee_overflow 0
		.amdhsa_exception_fp_ieee_underflow 0
		.amdhsa_exception_fp_ieee_inexact 0
		.amdhsa_exception_int_div_zero 0
	.end_amdhsa_kernel
	.section	.text._ZN5aiter30swiglu_act_and_mul_bias_kernelIffafLi4EEEvPT0_PKT_PKT1_PKT2_il,"axG",@progbits,_ZN5aiter30swiglu_act_and_mul_bias_kernelIffafLi4EEEvPT0_PKT_PKT1_PKT2_il,comdat
.Lfunc_end256:
	.size	_ZN5aiter30swiglu_act_and_mul_bias_kernelIffafLi4EEEvPT0_PKT_PKT1_PKT2_il, .Lfunc_end256-_ZN5aiter30swiglu_act_and_mul_bias_kernelIffafLi4EEEvPT0_PKT_PKT1_PKT2_il
                                        ; -- End function
	.section	.AMDGPU.csdata,"",@progbits
; Kernel info:
; codeLenInByte = 1136
; NumSgprs: 37
; NumVgprs: 29
; NumAgprs: 0
; TotalNumVgprs: 29
; ScratchSize: 0
; MemoryBound: 0
; FloatMode: 240
; IeeeMode: 1
; LDSByteSize: 0 bytes/workgroup (compile time only)
; SGPRBlocks: 4
; VGPRBlocks: 3
; NumSGPRsForWavesPerEU: 37
; NumVGPRsForWavesPerEU: 29
; AccumOffset: 32
; Occupancy: 8
; WaveLimiterHint : 0
; COMPUTE_PGM_RSRC2:SCRATCH_EN: 0
; COMPUTE_PGM_RSRC2:USER_SGPR: 2
; COMPUTE_PGM_RSRC2:TRAP_HANDLER: 0
; COMPUTE_PGM_RSRC2:TGID_X_EN: 1
; COMPUTE_PGM_RSRC2:TGID_Y_EN: 0
; COMPUTE_PGM_RSRC2:TGID_Z_EN: 0
; COMPUTE_PGM_RSRC2:TIDIG_COMP_CNT: 0
; COMPUTE_PGM_RSRC3_GFX90A:ACCUM_OFFSET: 7
; COMPUTE_PGM_RSRC3_GFX90A:TG_SPLIT: 0
	.section	.text._ZN5aiter30swiglu_act_and_mul_bias_kernelIffafLi2EEEvPT0_PKT_PKT1_PKT2_il,"axG",@progbits,_ZN5aiter30swiglu_act_and_mul_bias_kernelIffafLi2EEEvPT0_PKT_PKT1_PKT2_il,comdat
	.protected	_ZN5aiter30swiglu_act_and_mul_bias_kernelIffafLi2EEEvPT0_PKT_PKT1_PKT2_il ; -- Begin function _ZN5aiter30swiglu_act_and_mul_bias_kernelIffafLi2EEEvPT0_PKT_PKT1_PKT2_il
	.globl	_ZN5aiter30swiglu_act_and_mul_bias_kernelIffafLi2EEEvPT0_PKT_PKT1_PKT2_il
	.p2align	8
	.type	_ZN5aiter30swiglu_act_and_mul_bias_kernelIffafLi2EEEvPT0_PKT_PKT1_PKT2_il,@function
_ZN5aiter30swiglu_act_and_mul_bias_kernelIffafLi2EEEvPT0_PKT_PKT1_PKT2_il: ; @_ZN5aiter30swiglu_act_and_mul_bias_kernelIffafLi2EEEvPT0_PKT_PKT1_PKT2_il
; %bb.0:
	s_load_dwordx2 s[4:5], s[0:1], 0x10
	s_load_dword s20, s[0:1], 0x20
	s_load_dwordx2 s[8:9], s[0:1], 0x28
	v_mov_b32_e32 v1, s2
	s_mov_b32 s13, 0
	s_waitcnt lgkmcnt(0)
	global_load_ubyte v1, v1, s[4:5]
	s_ashr_i32 s21, s20, 31
	s_load_dwordx2 s[4:5], s[0:1], 0x0
	s_mul_hi_u32 s3, s20, s2
	s_mul_i32 s7, s21, s2
	s_add_i32 s15, s3, s7
	s_mul_i32 s14, s20, s2
	s_lshl_b32 s6, s20, 2
	v_mov_b64_e32 v[2:3], s[8:9]
	s_lshl_b64 s[14:15], s[14:15], 2
	s_mov_b64 s[10:11], -1
	s_waitcnt vmcnt(0)
	v_readfirstlane_b32 s3, v1
	s_nop 1
	v_mov_b32_e32 v4, s3
	s_sext_i32_i8 s3, s3
	v_readfirstlane_b32 s12, v4
	s_bfe_i64 s[8:9], s[12:13], 0x80000
	s_waitcnt lgkmcnt(0)
	s_add_u32 s4, s4, s14
	s_addc_u32 s5, s5, s15
	s_and_b32 s5, s5, 0xffff
	s_cmp_gt_i32 s3, -1
	v_cmp_lt_i64_e32 vcc, s[8:9], v[2:3]
	s_cselect_b64 s[12:13], -1, 0
	s_and_b64 s[12:13], s[12:13], vcc
	s_and_b64 vcc, exec, s[12:13]
	v_lshlrev_b32_e32 v2, 1, v0
	s_cbranch_vccnz .LBB257_5
; %bb.1:
	v_cmp_gt_i32_e32 vcc, s20, v2
	s_and_saveexec_b64 s[10:11], vcc
	s_cbranch_execz .LBB257_4
; %bb.2:
	s_load_dword s3, s[0:1], 0x3c
	v_mov_b32_e32 v3, 0
	s_mov_b32 s13, 0
	v_lshlrev_b32_e32 v1, 3, v0
	s_mov_b64 s[14:15], 0
	s_waitcnt lgkmcnt(0)
	s_and_b32 s3, s3, 0xffff
	s_lshl_b32 s12, s3, 1
	s_lshl_b32 s3, s3, 3
	s_mov_b32 s7, 0x20000
	v_mov_b32_e32 v4, v3
	v_mov_b32_e32 v5, v3
	v_mov_b64_e32 v[6:7], v[2:3]
.LBB257_3:                              ; =>This Inner Loop Header: Depth=1
	v_lshl_add_u64 v[6:7], s[12:13], 0, v[6:7]
	v_cmp_le_i64_e32 vcc, s[20:21], v[6:7]
	buffer_store_dwordx2 v[4:5], v1, s[4:7], 0 offen
	s_or_b64 s[14:15], vcc, s[14:15]
	v_add_u32_e32 v1, s3, v1
	s_andn2_b64 exec, exec, s[14:15]
	s_cbranch_execnz .LBB257_3
.LBB257_4:
	s_or_b64 exec, exec, s[10:11]
	s_mov_b64 s[10:11], 0
.LBB257_5:
	s_andn2_b64 vcc, exec, s[10:11]
	s_cbranch_vccnz .LBB257_9
; %bb.6:
	v_cmp_gt_i32_e32 vcc, s20, v2
	s_and_saveexec_b64 s[10:11], vcc
	s_cbranch_execz .LBB257_9
; %bb.7:
	s_load_dwordx2 s[10:11], s[0:1], 0x8
	s_load_dwordx2 s[12:13], s[0:1], 0x18
	s_mul_hi_i32 s9, s20, s8
	s_mul_i32 s8, s20, s8
	s_lshl_b64 s[8:9], s[8:9], 3
	s_load_dword s18, s[0:1], 0x3c
	s_waitcnt lgkmcnt(0)
	s_add_u32 s0, s12, s8
	s_addc_u32 s1, s13, s9
	s_lshl_b64 s[14:15], s[20:21], 2
	s_add_u32 s8, s0, s14
	s_addc_u32 s3, s1, s15
	s_and_b32 s9, s3, 0xffff
	s_mul_i32 s3, s2, s21
	s_mul_hi_u32 s12, s2, s20
	s_add_i32 s3, s12, s3
	s_mul_i32 s2, s2, s20
	s_and_b32 s1, s1, 0xffff
	s_lshl_b64 s[2:3], s[2:3], 3
	s_add_u32 s12, s10, s2
	s_addc_u32 s2, s11, s3
	s_add_u32 s16, s12, s14
	s_mov_b32 s7, 0x20000
	s_addc_u32 s3, s2, s15
	s_and_b32 s13, s2, 0xffff
	s_and_b32 s2, s18, 0xffff
	s_mov_b32 s23, 0
	s_and_b32 s17, s3, 0xffff
	v_mov_b32_e32 v3, 0
	s_lshl_b32 s22, s2, 1
	v_lshlrev_b32_e32 v0, 3, v0
	s_lshl_b32 s26, s2, 3
	s_mov_b64 s[24:25], 0
	s_mov_b32 s11, s7
	s_mov_b32 s10, s6
	;; [unrolled: 1-line block ×7, first 2 shown]
	v_mov_b32_e32 v1, 0x7f800000
	s_mov_b32 s30, 0xc0e00000
	v_mov_b32_e32 v4, 0x40e00000
	s_mov_b32 s18, s6
	s_mov_b32 s19, s7
	s_mov_b32 s2, s6
	s_mov_b32 s3, s7
.LBB257_8:                              ; =>This Inner Loop Header: Depth=1
	buffer_load_dwordx2 v[6:7], v0, s[0:3], 0 offen
	buffer_load_dwordx2 v[8:9], v0, s[12:15], 0 offen
	;; [unrolled: 1-line block ×4, first 2 shown]
	v_lshl_add_u64 v[2:3], s[22:23], 0, v[2:3]
	v_cmp_le_i64_e32 vcc, s[20:21], v[2:3]
	s_or_b64 s[24:25], vcc, s[24:25]
	s_waitcnt vmcnt(2)
	v_pk_add_f32 v[6:7], v[8:9], v[6:7]
	s_nop 0
	v_min_f32_e32 v6, 0x40e00000, v6
	v_min_f32_e32 v7, 0x40e00000, v7
	v_mul_f32_e32 v5, 0xbfd9db23, v6
	v_mul_f32_e32 v14, 0xbfd9db23, v7
	;; [unrolled: 1-line block ×4, first 2 shown]
	v_fma_f32 v15, v5, s27, -v8
	v_rndne_f32_e32 v16, v8
	v_fma_f32 v17, v14, s27, -v9
	v_rndne_f32_e32 v18, v9
	v_fmac_f32_e32 v15, 0x32a5705f, v5
	v_sub_f32_e32 v8, v8, v16
	v_fmac_f32_e32 v17, 0x32a5705f, v14
	v_sub_f32_e32 v9, v9, v18
	v_add_f32_e32 v8, v8, v15
	v_cvt_i32_f32_e32 v16, v16
	v_add_f32_e32 v9, v9, v17
	v_exp_f32_e32 v15, v8
	v_cvt_i32_f32_e32 v18, v18
	v_exp_f32_e32 v17, v9
	s_waitcnt vmcnt(0)
	v_pk_add_f32 v[8:9], v[10:11], v[12:13]
	v_ldexp_f32 v10, v15, v16
	v_cmp_ngt_f32_e32 vcc, s28, v5
	v_ldexp_f32 v11, v17, v18
	v_med3_f32 v9, v9, s30, v4
	v_cndmask_b32_e32 v10, 0, v10, vcc
	v_cmp_ngt_f32_e32 vcc, s28, v14
	v_med3_f32 v8, v8, s30, v4
	v_pk_add_f32 v[8:9], v[8:9], 1.0 op_sel_hi:[1,0]
	v_cndmask_b32_e32 v11, 0, v11, vcc
	v_cmp_nlt_f32_e32 vcc, s29, v5
	s_nop 1
	v_cndmask_b32_e32 v5, v1, v10, vcc
	v_cmp_nlt_f32_e32 vcc, s29, v14
	v_add_f32_e32 v5, 1.0, v5
	s_nop 0
	v_cndmask_b32_e32 v10, v1, v11, vcc
	v_add_f32_e32 v11, 1.0, v10
	v_rcp_f32_e32 v10, v5
	v_rcp_f32_e32 v11, v11
	s_nop 0
	v_pk_mul_f32 v[6:7], v[6:7], v[10:11]
	s_nop 0
	v_pk_mul_f32 v[6:7], v[8:9], v[6:7]
	buffer_store_dwordx2 v[6:7], v0, s[4:7], 0 offen
	v_add_u32_e32 v0, s26, v0
	s_andn2_b64 exec, exec, s[24:25]
	s_cbranch_execnz .LBB257_8
.LBB257_9:
	s_endpgm
	.section	.rodata,"a",@progbits
	.p2align	6, 0x0
	.amdhsa_kernel _ZN5aiter30swiglu_act_and_mul_bias_kernelIffafLi2EEEvPT0_PKT_PKT1_PKT2_il
		.amdhsa_group_segment_fixed_size 0
		.amdhsa_private_segment_fixed_size 0
		.amdhsa_kernarg_size 304
		.amdhsa_user_sgpr_count 2
		.amdhsa_user_sgpr_dispatch_ptr 0
		.amdhsa_user_sgpr_queue_ptr 0
		.amdhsa_user_sgpr_kernarg_segment_ptr 1
		.amdhsa_user_sgpr_dispatch_id 0
		.amdhsa_user_sgpr_kernarg_preload_length 0
		.amdhsa_user_sgpr_kernarg_preload_offset 0
		.amdhsa_user_sgpr_private_segment_size 0
		.amdhsa_uses_dynamic_stack 0
		.amdhsa_enable_private_segment 0
		.amdhsa_system_sgpr_workgroup_id_x 1
		.amdhsa_system_sgpr_workgroup_id_y 0
		.amdhsa_system_sgpr_workgroup_id_z 0
		.amdhsa_system_sgpr_workgroup_info 0
		.amdhsa_system_vgpr_workitem_id 0
		.amdhsa_next_free_vgpr 19
		.amdhsa_next_free_sgpr 31
		.amdhsa_accum_offset 20
		.amdhsa_reserve_vcc 1
		.amdhsa_float_round_mode_32 0
		.amdhsa_float_round_mode_16_64 0
		.amdhsa_float_denorm_mode_32 3
		.amdhsa_float_denorm_mode_16_64 3
		.amdhsa_dx10_clamp 1
		.amdhsa_ieee_mode 1
		.amdhsa_fp16_overflow 0
		.amdhsa_tg_split 0
		.amdhsa_exception_fp_ieee_invalid_op 0
		.amdhsa_exception_fp_denorm_src 0
		.amdhsa_exception_fp_ieee_div_zero 0
		.amdhsa_exception_fp_ieee_overflow 0
		.amdhsa_exception_fp_ieee_underflow 0
		.amdhsa_exception_fp_ieee_inexact 0
		.amdhsa_exception_int_div_zero 0
	.end_amdhsa_kernel
	.section	.text._ZN5aiter30swiglu_act_and_mul_bias_kernelIffafLi2EEEvPT0_PKT_PKT1_PKT2_il,"axG",@progbits,_ZN5aiter30swiglu_act_and_mul_bias_kernelIffafLi2EEEvPT0_PKT_PKT1_PKT2_il,comdat
.Lfunc_end257:
	.size	_ZN5aiter30swiglu_act_and_mul_bias_kernelIffafLi2EEEvPT0_PKT_PKT1_PKT2_il, .Lfunc_end257-_ZN5aiter30swiglu_act_and_mul_bias_kernelIffafLi2EEEvPT0_PKT_PKT1_PKT2_il
                                        ; -- End function
	.section	.AMDGPU.csdata,"",@progbits
; Kernel info:
; codeLenInByte = 896
; NumSgprs: 37
; NumVgprs: 19
; NumAgprs: 0
; TotalNumVgprs: 19
; ScratchSize: 0
; MemoryBound: 0
; FloatMode: 240
; IeeeMode: 1
; LDSByteSize: 0 bytes/workgroup (compile time only)
; SGPRBlocks: 4
; VGPRBlocks: 2
; NumSGPRsForWavesPerEU: 37
; NumVGPRsForWavesPerEU: 19
; AccumOffset: 20
; Occupancy: 8
; WaveLimiterHint : 0
; COMPUTE_PGM_RSRC2:SCRATCH_EN: 0
; COMPUTE_PGM_RSRC2:USER_SGPR: 2
; COMPUTE_PGM_RSRC2:TRAP_HANDLER: 0
; COMPUTE_PGM_RSRC2:TGID_X_EN: 1
; COMPUTE_PGM_RSRC2:TGID_Y_EN: 0
; COMPUTE_PGM_RSRC2:TGID_Z_EN: 0
; COMPUTE_PGM_RSRC2:TIDIG_COMP_CNT: 0
; COMPUTE_PGM_RSRC3_GFX90A:ACCUM_OFFSET: 4
; COMPUTE_PGM_RSRC3_GFX90A:TG_SPLIT: 0
	.section	.text._ZN5aiter30swiglu_act_and_mul_bias_kernelIffafLi1EEEvPT0_PKT_PKT1_PKT2_il,"axG",@progbits,_ZN5aiter30swiglu_act_and_mul_bias_kernelIffafLi1EEEvPT0_PKT_PKT1_PKT2_il,comdat
	.protected	_ZN5aiter30swiglu_act_and_mul_bias_kernelIffafLi1EEEvPT0_PKT_PKT1_PKT2_il ; -- Begin function _ZN5aiter30swiglu_act_and_mul_bias_kernelIffafLi1EEEvPT0_PKT_PKT1_PKT2_il
	.globl	_ZN5aiter30swiglu_act_and_mul_bias_kernelIffafLi1EEEvPT0_PKT_PKT1_PKT2_il
	.p2align	8
	.type	_ZN5aiter30swiglu_act_and_mul_bias_kernelIffafLi1EEEvPT0_PKT_PKT1_PKT2_il,@function
_ZN5aiter30swiglu_act_and_mul_bias_kernelIffafLi1EEEvPT0_PKT_PKT1_PKT2_il: ; @_ZN5aiter30swiglu_act_and_mul_bias_kernelIffafLi1EEEvPT0_PKT_PKT1_PKT2_il
; %bb.0:
	s_load_dwordx2 s[4:5], s[0:1], 0x10
	s_load_dword s20, s[0:1], 0x20
	s_load_dwordx2 s[6:7], s[0:1], 0x28
	v_mov_b32_e32 v1, s2
	s_mov_b32 s9, 0
	s_waitcnt lgkmcnt(0)
	global_load_ubyte v1, v1, s[4:5]
	s_ashr_i32 s21, s20, 31
	s_load_dwordx2 s[4:5], s[0:1], 0x0
	s_mul_hi_u32 s3, s20, s2
	v_mov_b64_e32 v[2:3], s[6:7]
	s_mul_i32 s6, s21, s2
	s_add_i32 s15, s3, s6
	s_mul_i32 s14, s20, s2
	s_lshl_b32 s10, s20, 2
	s_lshl_b64 s[14:15], s[14:15], 2
	s_mov_b64 s[12:13], -1
	s_waitcnt vmcnt(0)
	v_readfirstlane_b32 s3, v1
	s_nop 1
	v_mov_b32_e32 v4, s3
	s_sext_i32_i8 s3, s3
	v_readfirstlane_b32 s8, v4
	s_bfe_i64 s[6:7], s[8:9], 0x80000
	s_waitcnt lgkmcnt(0)
	s_add_u32 s8, s4, s14
	s_addc_u32 s4, s5, s15
	s_and_b32 s9, s4, 0xffff
	s_cmp_gt_i32 s3, -1
	v_cmp_lt_i64_e32 vcc, s[6:7], v[2:3]
	s_cselect_b64 s[4:5], -1, 0
	s_and_b64 s[4:5], s[4:5], vcc
	s_and_b64 vcc, exec, s[4:5]
	v_cmp_gt_i32_e64 s[4:5], s20, v0
	s_cbranch_vccnz .LBB258_5
; %bb.1:
	s_and_saveexec_b64 s[12:13], s[4:5]
	s_cbranch_execz .LBB258_4
; %bb.2:
	s_load_dword s3, s[0:1], 0x3c
	v_mov_b32_e32 v1, 0
	s_mov_b32 s5, 0
	v_lshlrev_b32_e32 v4, 2, v0
	s_mov_b64 s[14:15], 0
	s_waitcnt lgkmcnt(0)
	s_and_b32 s4, s3, 0xffff
	s_lshl_b32 s3, s4, 2
	s_mov_b32 s11, 0x20000
	v_mov_b64_e32 v[2:3], v[0:1]
.LBB258_3:                              ; =>This Inner Loop Header: Depth=1
	v_lshl_add_u64 v[2:3], v[2:3], 0, s[4:5]
	v_cmp_le_i64_e32 vcc, s[20:21], v[2:3]
	buffer_store_dword v1, v4, s[8:11], 0 offen
	s_or_b64 s[14:15], vcc, s[14:15]
	v_add_u32_e32 v4, s3, v4
	s_andn2_b64 exec, exec, s[14:15]
	s_cbranch_execnz .LBB258_3
.LBB258_4:
	s_or_b64 exec, exec, s[12:13]
	s_mov_b64 s[12:13], 0
.LBB258_5:
	s_andn2_b64 vcc, exec, s[12:13]
	s_cbranch_vccnz .LBB258_9
; %bb.6:
	v_cmp_gt_i32_e32 vcc, s20, v0
	s_and_saveexec_b64 s[4:5], vcc
	s_cbranch_execz .LBB258_9
; %bb.7:
	s_load_dwordx2 s[12:13], s[0:1], 0x8
	s_load_dwordx2 s[4:5], s[0:1], 0x18
	s_mul_hi_i32 s7, s20, s6
	s_mul_i32 s6, s20, s6
	s_lshl_b64 s[6:7], s[6:7], 3
	s_load_dword s14, s[0:1], 0x3c
	s_waitcnt lgkmcnt(0)
	s_add_u32 s0, s4, s6
	s_addc_u32 s1, s5, s7
	s_lshl_b64 s[6:7], s[20:21], 2
	s_add_u32 s4, s0, s6
	s_addc_u32 s3, s1, s7
	s_and_b32 s5, s3, 0xffff
	s_mul_i32 s3, s2, s21
	s_mul_hi_u32 s15, s2, s20
	s_add_i32 s3, s15, s3
	s_mul_i32 s2, s2, s20
	s_and_b32 s1, s1, 0xffff
	s_lshl_b64 s[2:3], s[2:3], 3
	s_add_u32 s12, s12, s2
	s_addc_u32 s2, s13, s3
	s_add_u32 s16, s12, s6
	s_mov_b32 s11, 0x20000
	s_addc_u32 s3, s2, s7
	s_and_b32 s22, s14, 0xffff
	s_mov_b32 s23, 0
	s_and_b32 s13, s2, 0xffff
	s_and_b32 s17, s3, 0xffff
	v_mov_b32_e32 v1, 0
	v_lshlrev_b32_e32 v2, 2, v0
	s_lshl_b32 s26, s22, 2
	s_mov_b64 s[24:25], 0
	s_mov_b32 s7, s11
	s_mov_b32 s6, s10
	;; [unrolled: 1-line block ×7, first 2 shown]
	v_mov_b32_e32 v3, 0x7f800000
	s_mov_b32 s18, s10
	s_mov_b32 s19, s11
	;; [unrolled: 1-line block ×4, first 2 shown]
.LBB258_8:                              ; =>This Inner Loop Header: Depth=1
	buffer_load_dword v4, v2, s[0:3], 0 offen
	buffer_load_dword v5, v2, s[12:15], 0 offen
	;; [unrolled: 1-line block ×4, first 2 shown]
	v_lshl_add_u64 v[0:1], v[0:1], 0, s[22:23]
	v_cmp_le_i64_e32 vcc, s[20:21], v[0:1]
	s_or_b64 s[24:25], vcc, s[24:25]
	s_waitcnt vmcnt(2)
	v_add_f32_e32 v4, v5, v4
	v_min_f32_e32 v4, 0x40e00000, v4
	v_mul_f32_e32 v5, 0xbfd9db23, v4
	v_mul_f32_e32 v8, 0x3fb8aa3b, v5
	v_fma_f32 v9, v5, s27, -v8
	v_rndne_f32_e32 v10, v8
	v_fmac_f32_e32 v9, 0x32a5705f, v5
	v_sub_f32_e32 v8, v8, v10
	v_add_f32_e32 v8, v8, v9
	v_cvt_i32_f32_e32 v10, v10
	v_exp_f32_e32 v8, v8
	s_waitcnt vmcnt(0)
	v_add_f32_e32 v6, v6, v7
	v_cmp_ngt_f32_e32 vcc, s28, v5
	v_max_f32_e32 v6, 0xc0e00000, v6
	v_ldexp_f32 v7, v8, v10
	v_cndmask_b32_e32 v7, 0, v7, vcc
	v_cmp_nlt_f32_e32 vcc, s29, v5
	v_min_f32_e32 v6, 0x40e00000, v6
	v_add_f32_e32 v6, 1.0, v6
	v_cndmask_b32_e32 v5, v3, v7, vcc
	v_add_f32_e32 v5, 1.0, v5
	v_rcp_f32_e32 v5, v5
	s_nop 0
	v_mul_f32_e32 v4, v4, v5
	v_mul_f32_e32 v4, v6, v4
	buffer_store_dword v4, v2, s[8:11], 0 offen
	v_add_u32_e32 v2, s26, v2
	s_andn2_b64 exec, exec, s[24:25]
	s_cbranch_execnz .LBB258_8
.LBB258_9:
	s_endpgm
	.section	.rodata,"a",@progbits
	.p2align	6, 0x0
	.amdhsa_kernel _ZN5aiter30swiglu_act_and_mul_bias_kernelIffafLi1EEEvPT0_PKT_PKT1_PKT2_il
		.amdhsa_group_segment_fixed_size 0
		.amdhsa_private_segment_fixed_size 0
		.amdhsa_kernarg_size 304
		.amdhsa_user_sgpr_count 2
		.amdhsa_user_sgpr_dispatch_ptr 0
		.amdhsa_user_sgpr_queue_ptr 0
		.amdhsa_user_sgpr_kernarg_segment_ptr 1
		.amdhsa_user_sgpr_dispatch_id 0
		.amdhsa_user_sgpr_kernarg_preload_length 0
		.amdhsa_user_sgpr_kernarg_preload_offset 0
		.amdhsa_user_sgpr_private_segment_size 0
		.amdhsa_uses_dynamic_stack 0
		.amdhsa_enable_private_segment 0
		.amdhsa_system_sgpr_workgroup_id_x 1
		.amdhsa_system_sgpr_workgroup_id_y 0
		.amdhsa_system_sgpr_workgroup_id_z 0
		.amdhsa_system_sgpr_workgroup_info 0
		.amdhsa_system_vgpr_workitem_id 0
		.amdhsa_next_free_vgpr 11
		.amdhsa_next_free_sgpr 30
		.amdhsa_accum_offset 12
		.amdhsa_reserve_vcc 1
		.amdhsa_float_round_mode_32 0
		.amdhsa_float_round_mode_16_64 0
		.amdhsa_float_denorm_mode_32 3
		.amdhsa_float_denorm_mode_16_64 3
		.amdhsa_dx10_clamp 1
		.amdhsa_ieee_mode 1
		.amdhsa_fp16_overflow 0
		.amdhsa_tg_split 0
		.amdhsa_exception_fp_ieee_invalid_op 0
		.amdhsa_exception_fp_denorm_src 0
		.amdhsa_exception_fp_ieee_div_zero 0
		.amdhsa_exception_fp_ieee_overflow 0
		.amdhsa_exception_fp_ieee_underflow 0
		.amdhsa_exception_fp_ieee_inexact 0
		.amdhsa_exception_int_div_zero 0
	.end_amdhsa_kernel
	.section	.text._ZN5aiter30swiglu_act_and_mul_bias_kernelIffafLi1EEEvPT0_PKT_PKT1_PKT2_il,"axG",@progbits,_ZN5aiter30swiglu_act_and_mul_bias_kernelIffafLi1EEEvPT0_PKT_PKT1_PKT2_il,comdat
.Lfunc_end258:
	.size	_ZN5aiter30swiglu_act_and_mul_bias_kernelIffafLi1EEEvPT0_PKT_PKT1_PKT2_il, .Lfunc_end258-_ZN5aiter30swiglu_act_and_mul_bias_kernelIffafLi1EEEvPT0_PKT_PKT1_PKT2_il
                                        ; -- End function
	.section	.AMDGPU.csdata,"",@progbits
; Kernel info:
; codeLenInByte = 736
; NumSgprs: 36
; NumVgprs: 11
; NumAgprs: 0
; TotalNumVgprs: 11
; ScratchSize: 0
; MemoryBound: 0
; FloatMode: 240
; IeeeMode: 1
; LDSByteSize: 0 bytes/workgroup (compile time only)
; SGPRBlocks: 4
; VGPRBlocks: 1
; NumSGPRsForWavesPerEU: 36
; NumVGPRsForWavesPerEU: 11
; AccumOffset: 12
; Occupancy: 8
; WaveLimiterHint : 0
; COMPUTE_PGM_RSRC2:SCRATCH_EN: 0
; COMPUTE_PGM_RSRC2:USER_SGPR: 2
; COMPUTE_PGM_RSRC2:TRAP_HANDLER: 0
; COMPUTE_PGM_RSRC2:TGID_X_EN: 1
; COMPUTE_PGM_RSRC2:TGID_Y_EN: 0
; COMPUTE_PGM_RSRC2:TGID_Z_EN: 0
; COMPUTE_PGM_RSRC2:TIDIG_COMP_CNT: 0
; COMPUTE_PGM_RSRC3_GFX90A:ACCUM_OFFSET: 2
; COMPUTE_PGM_RSRC3_GFX90A:TG_SPLIT: 0
	.section	.text._ZN5aiter30swiglu_act_and_mul_bias_kernelIDF16_DF16_afLi32EEEvPT0_PKT_PKT1_PKT2_il,"axG",@progbits,_ZN5aiter30swiglu_act_and_mul_bias_kernelIDF16_DF16_afLi32EEEvPT0_PKT_PKT1_PKT2_il,comdat
	.protected	_ZN5aiter30swiglu_act_and_mul_bias_kernelIDF16_DF16_afLi32EEEvPT0_PKT_PKT1_PKT2_il ; -- Begin function _ZN5aiter30swiglu_act_and_mul_bias_kernelIDF16_DF16_afLi32EEEvPT0_PKT_PKT1_PKT2_il
	.globl	_ZN5aiter30swiglu_act_and_mul_bias_kernelIDF16_DF16_afLi32EEEvPT0_PKT_PKT1_PKT2_il
	.p2align	8
	.type	_ZN5aiter30swiglu_act_and_mul_bias_kernelIDF16_DF16_afLi32EEEvPT0_PKT_PKT1_PKT2_il,@function
_ZN5aiter30swiglu_act_and_mul_bias_kernelIDF16_DF16_afLi32EEEvPT0_PKT_PKT1_PKT2_il: ; @_ZN5aiter30swiglu_act_and_mul_bias_kernelIDF16_DF16_afLi32EEEvPT0_PKT_PKT1_PKT2_il
; %bb.0:
	s_load_dwordx2 s[4:5], s[0:1], 0x10
	s_load_dword s24, s[0:1], 0x20
	s_load_dwordx2 s[6:7], s[0:1], 0x28
	v_mov_b32_e32 v1, s2
	s_mov_b32 s9, 0
	s_waitcnt lgkmcnt(0)
	global_load_ubyte v1, v1, s[4:5]
	s_add_i32 s3, s24, 1
	v_mov_b64_e32 v[2:3], s[6:7]
	s_lshr_b32 s6, s3, 31
	s_add_i32 s3, s3, s6
	s_load_dwordx2 s[4:5], s[0:1], 0x0
	s_lshl_b32 s3, s3, 1
	s_ashr_i32 s25, s24, 31
	s_and_b32 s6, s3, -4
	s_mul_hi_u32 s8, s24, s2
	s_mul_i32 s7, s25, s2
	s_mul_i32 s12, s24, s2
	s_add_i32 s13, s8, s7
	s_lshl_b64 s[12:13], s[12:13], 1
	s_mov_b64 s[10:11], -1
	v_lshlrev_b32_e32 v42, 5, v0
	s_waitcnt vmcnt(0)
	v_readfirstlane_b32 s3, v1
	s_nop 1
	v_mov_b32_e32 v4, s3
	s_sext_i32_i8 s3, s3
	v_readfirstlane_b32 s8, v4
	s_bfe_i64 s[8:9], s[8:9], 0x80000
	s_waitcnt lgkmcnt(0)
	s_add_u32 s4, s4, s12
	s_addc_u32 s5, s5, s13
	s_and_b32 s5, s5, 0xffff
	s_cmp_gt_i32 s3, -1
	v_cmp_lt_i64_e32 vcc, s[8:9], v[2:3]
	s_cselect_b64 s[12:13], -1, 0
	s_and_b64 s[12:13], s[12:13], vcc
	s_and_b64 vcc, exec, s[12:13]
	s_cbranch_vccnz .LBB259_5
; %bb.1:
	v_cmp_gt_i32_e32 vcc, s24, v42
	s_and_saveexec_b64 s[10:11], vcc
	s_cbranch_execz .LBB259_4
; %bb.2:
	s_load_dword s3, s[0:1], 0x3c
	s_mov_b32 s13, 0
	s_mov_b32 s16, s13
	s_mov_b32 s17, s13
	v_mov_b32_e32 v43, 0
	s_waitcnt lgkmcnt(0)
	s_and_b32 s3, s3, 0xffff
	s_mov_b32 s18, s13
	s_mov_b32 s19, s13
	v_mov_b64_e32 v[2:3], s[16:17]
	v_lshlrev_b32_e32 v1, 6, v0
	s_lshl_b32 s12, s3, 5
	s_lshl_b32 s3, s3, 6
	s_mov_b64 s[14:15], 0
	s_mov_b32 s7, 0x20000
	v_mov_b64_e32 v[4:5], s[18:19]
	v_mov_b64_e32 v[6:7], v[42:43]
.LBB259_3:                              ; =>This Inner Loop Header: Depth=1
	v_lshl_add_u64 v[6:7], s[12:13], 0, v[6:7]
	v_cmp_le_i64_e32 vcc, s[24:25], v[6:7]
	buffer_store_dwordx4 v[2:5], v1, s[4:7], 0 offen
	buffer_store_dwordx4 v[2:5], v1, s[4:7], 16 offen
	;; [unrolled: 1-line block ×4, first 2 shown]
	s_or_b64 s[14:15], vcc, s[14:15]
	v_add_u32_e32 v1, s3, v1
	s_andn2_b64 exec, exec, s[14:15]
	s_cbranch_execnz .LBB259_3
.LBB259_4:
	s_or_b64 exec, exec, s[10:11]
	s_mov_b64 s[10:11], 0
.LBB259_5:
	s_andn2_b64 vcc, exec, s[10:11]
	s_cbranch_vccnz .LBB259_9
; %bb.6:
	v_cmp_gt_i32_e32 vcc, s24, v42
	s_and_saveexec_b64 s[10:11], vcc
	s_cbranch_execz .LBB259_9
; %bb.7:
	s_load_dwordx2 s[14:15], s[0:1], 0x8
	s_load_dwordx2 s[10:11], s[0:1], 0x18
	s_mul_hi_i32 s9, s24, s8
	s_mul_i32 s8, s24, s8
	s_lshl_b64 s[8:9], s[8:9], 3
	s_load_dword s18, s[0:1], 0x3c
	s_waitcnt lgkmcnt(0)
	s_add_u32 s8, s10, s8
	s_addc_u32 s7, s11, s9
	s_lshl_b64 s[0:1], s[24:25], 2
	s_add_u32 s12, s8, s0
	s_addc_u32 s0, s7, s1
	s_and_b32 s13, s0, 0xffff
	s_mul_i32 s0, s2, s25
	s_mul_hi_u32 s1, s2, s24
	s_add_i32 s1, s1, s0
	s_mul_i32 s0, s2, s24
	s_lshl_b32 s10, s24, 2
	s_and_b32 s9, s7, 0xffff
	s_lshl_b64 s[0:1], s[0:1], 2
	s_add_u32 s16, s14, s0
	s_addc_u32 s2, s15, s1
	s_lshl_b64 s[0:1], s[24:25], 1
	s_add_u32 s20, s16, s0
	s_addc_u32 s0, s2, s1
	s_mov_b32 s7, 0x20000
	s_and_b32 s21, s0, 0xffff
	s_and_b32 s0, s18, 0xffff
	s_mov_b32 s3, 0
	s_mov_b32 s11, s7
	s_and_b32 s17, s2, 0xffff
	v_mov_b32_e32 v43, 0
	s_lshl_b32 s2, s0, 5
	v_lshlrev_b32_e32 v50, 7, v0
	s_lshl_b32 s28, s0, 7
	v_lshlrev_b32_e32 v51, 6, v0
	s_lshl_b32 s29, s0, 6
	s_mov_b64 s[26:27], 0
	s_mov_b32 s23, s7
	s_mov_b32 s22, s6
	s_movk_i32 s30, 0x50
	s_movk_i32 s31, 0x60
	;; [unrolled: 1-line block ×3, first 2 shown]
	s_mov_b32 s34, 0x3fb8aa3b
	s_mov_b32 s35, 0xc2ce8ed0
	s_mov_b32 s36, 0x42b17218
	v_mov_b32_e32 v52, 0x7f800000
	s_mov_b32 s37, 0xc0e00000
	v_mov_b32_e32 v53, 0x40e00000
	s_mov_b32 s18, s6
	s_mov_b32 s19, s7
.LBB259_8:                              ; =>This Inner Loop Header: Depth=1
	buffer_load_dwordx4 v[26:29], v51, s[16:19], 0 offen
	buffer_load_dwordx4 v[10:13], v51, s[20:23], 0 offen
	;; [unrolled: 1-line block ×3, first 2 shown]
	s_mov_b32 s14, s10
	s_mov_b32 s15, s11
	buffer_load_dwordx4 v[44:47], v50, s[12:15], 0 offen
	buffer_load_dwordx4 v[18:21], v51, s[16:19], 16 offen
	;; [unrolled: 1-line block ×7, first 2 shown]
	v_lshl_add_u64 v[42:43], s[2:3], 0, v[42:43]
	s_waitcnt vmcnt(9)
	v_cvt_f32_f16_e32 v8, v26
	v_cvt_f32_f16_sdwa v9, v26 dst_sel:DWORD dst_unused:UNUSED_PAD src0_sel:WORD_1
	v_cvt_f32_f16_e32 v26, v27
	v_cvt_f32_f16_sdwa v27, v27 dst_sel:DWORD dst_unused:UNUSED_PAD src0_sel:WORD_1
	s_waitcnt vmcnt(8)
	v_cvt_f32_f16_e32 v30, v10
	v_cvt_f32_f16_sdwa v31, v10 dst_sel:DWORD dst_unused:UNUSED_PAD src0_sel:WORD_1
	v_cvt_f32_f16_e32 v10, v11
	v_cvt_f32_f16_sdwa v11, v11 dst_sel:DWORD dst_unused:UNUSED_PAD src0_sel:WORD_1
	s_waitcnt vmcnt(7)
	v_pk_add_f32 v[8:9], v[36:37], v[8:9]
	v_pk_add_f32 v[26:27], v[38:39], v[26:27]
	v_min_f32_e32 v37, 0x40e00000, v9
	v_min_f32_e32 v36, 0x40e00000, v8
	;; [unrolled: 1-line block ×3, first 2 shown]
	v_mul_f32_e32 v38, 0xbfd9db23, v36
	v_mul_f32_e32 v39, 0xbfd9db23, v37
	s_waitcnt vmcnt(6)
	v_pk_add_f32 v[10:11], v[46:47], v[10:11]
	v_min_f32_e32 v27, 0x40e00000, v27
	v_mul_f32_e32 v40, 0xbfd9db23, v26
	v_mul_f32_e32 v8, 0x3fb8aa3b, v38
	;; [unrolled: 1-line block ×3, first 2 shown]
	v_pk_add_f32 v[30:31], v[44:45], v[30:31]
	v_med3_f32 v44, v10, s37, v53
	v_mul_f32_e32 v41, 0xbfd9db23, v27
	v_mul_f32_e32 v10, 0x3fb8aa3b, v40
	v_fma_f32 v46, v38, s34, -v8
	v_rndne_f32_e32 v47, v8
	v_fma_f32 v48, v39, s34, -v9
	v_rndne_f32_e32 v49, v9
	v_med3_f32 v45, v11, s37, v53
	v_mul_f32_e32 v11, 0x3fb8aa3b, v41
	v_fma_f32 v54, v40, s34, -v10
	v_rndne_f32_e32 v55, v10
	v_fmac_f32_e32 v46, 0x32a5705f, v38
	v_sub_f32_e32 v8, v8, v47
	v_fmac_f32_e32 v48, 0x32a5705f, v39
	v_sub_f32_e32 v9, v9, v49
	v_add_f32_e32 v8, v8, v46
	v_fma_f32 v46, v41, s34, -v11
	v_add_f32_e32 v9, v9, v48
	v_rndne_f32_e32 v48, v11
	v_fmac_f32_e32 v54, 0x32a5705f, v40
	v_sub_f32_e32 v10, v10, v55
	v_cvt_i32_f32_e32 v47, v47
	v_fmac_f32_e32 v46, 0x32a5705f, v41
	v_sub_f32_e32 v11, v11, v48
	v_add_f32_e32 v10, v10, v54
	v_exp_f32_e32 v8, v8
	v_cvt_i32_f32_e32 v49, v49
	v_cvt_i32_f32_e32 v55, v55
	v_add_f32_e32 v11, v11, v46
	v_exp_f32_e32 v9, v9
	v_exp_f32_e32 v46, v10
	v_cvt_i32_f32_e32 v48, v48
	v_exp_f32_e32 v54, v11
	v_ldexp_f32 v56, v8, v47
	v_cmp_ngt_f32_e32 vcc, s35, v38
	v_ldexp_f32 v49, v9, v49
	v_ldexp_f32 v55, v46, v55
	v_cvt_f32_f16_e32 v46, v28
	v_cvt_f32_f16_sdwa v47, v28 dst_sel:DWORD dst_unused:UNUSED_PAD src0_sel:WORD_1
	v_cndmask_b32_e32 v28, 0, v56, vcc
	v_cmp_ngt_f32_e32 vcc, s35, v39
	v_ldexp_f32 v48, v54, v48
	s_waitcnt vmcnt(1)
	v_pk_add_f32 v[32:33], v[32:33], v[46:47]
	v_cndmask_b32_e32 v49, 0, v49, vcc
	v_cmp_ngt_f32_e32 vcc, s35, v40
	v_med3_f32 v31, v31, s37, v53
	v_med3_f32 v30, v30, s37, v53
	v_cndmask_b32_e32 v54, 0, v55, vcc
	v_cmp_ngt_f32_e32 vcc, s35, v41
	v_min_f32_e32 v46, 0x40e00000, v32
	v_pk_add_f32 v[30:31], v[30:31], 1.0 op_sel_hi:[1,0]
	v_cndmask_b32_e32 v48, 0, v48, vcc
	v_cmp_nlt_f32_e32 vcc, s36, v38
	v_min_f32_e32 v47, 0x40e00000, v33
	buffer_load_dwordx4 v[8:11], v51, s[20:23], 32 offen
	v_cndmask_b32_e32 v28, v52, v28, vcc
	v_cmp_nlt_f32_e32 vcc, s36, v39
	v_add_f32_e32 v28, 1.0, v28
	s_nop 0
	v_cndmask_b32_e32 v38, v52, v49, vcc
	v_cmp_nlt_f32_e32 vcc, s36, v40
	v_add_f32_e32 v38, 1.0, v38
	v_rcp_f32_e32 v49, v38
	v_cndmask_b32_e32 v39, v52, v54, vcc
	v_cmp_nlt_f32_e32 vcc, s36, v41
	v_add_f32_e32 v39, 1.0, v39
	v_rcp_f32_e32 v54, v39
	v_cndmask_b32_e32 v40, v52, v48, vcc
	v_rcp_f32_e32 v48, v28
	v_mul_f32_e32 v28, 0xbfd9db23, v46
	v_add_f32_e32 v40, 1.0, v40
	v_rcp_f32_e32 v55, v40
	v_pk_mul_f32 v[36:37], v[36:37], v[48:49]
	buffer_load_dwordx4 v[38:41], v50, s[8:11], 32 offen
	v_pk_mul_f32 v[36:37], v[30:31], v[36:37]
	v_mul_f32_e32 v30, 0x3fb8aa3b, v28
	v_fma_f32 v31, v28, s34, -v30
	v_rndne_f32_e32 v32, v30
	v_fmac_f32_e32 v31, 0x32a5705f, v28
	v_sub_f32_e32 v30, v30, v32
	v_add_f32_e32 v30, v30, v31
	v_exp_f32_e32 v48, v30
	v_cvt_i32_f32_e32 v32, v32
	v_pk_mul_f32 v[26:27], v[26:27], v[54:55]
	v_pk_add_f32 v[30:31], v[44:45], 1.0 op_sel_hi:[1,0]
	v_cmp_ngt_f32_e32 vcc, s35, v28
	v_pk_mul_f32 v[44:45], v[30:31], v[26:27]
	v_ldexp_f32 v26, v48, v32
	v_cndmask_b32_e32 v26, 0, v26, vcc
	v_cmp_nlt_f32_e32 vcc, s36, v28
	v_cvt_f32_f16_sdwa v27, v12 dst_sel:DWORD dst_unused:UNUSED_PAD src0_sel:WORD_1
	v_cvt_f16_f32_e32 v54, v37
	v_cndmask_b32_e32 v28, v52, v26, vcc
	v_cvt_f32_f16_e32 v26, v12
	v_mul_f32_e32 v12, 0xbfd9db23, v47
	v_mul_f32_e32 v30, 0x3fb8aa3b, v12
	v_fma_f32 v31, v12, s34, -v30
	v_rndne_f32_e32 v32, v30
	v_fmac_f32_e32 v31, 0x32a5705f, v12
	v_sub_f32_e32 v30, v30, v32
	v_add_f32_e32 v30, v30, v31
	v_exp_f32_e32 v30, v30
	v_cvt_i32_f32_e32 v31, v32
	s_waitcnt vmcnt(2)
	v_pk_add_f32 v[22:23], v[22:23], v[26:27]
	v_cmp_ngt_f32_e32 vcc, s35, v12
	v_add_f32_e32 v28, 1.0, v28
	v_ldexp_f32 v26, v30, v31
	buffer_load_dwordx4 v[30:33], v50, s[8:11], 48 offen
	v_cndmask_b32_e32 v26, 0, v26, vcc
	v_cmp_nlt_f32_e32 vcc, s36, v12
	v_rcp_f32_e32 v48, v28
	v_med3_f32 v23, v23, s37, v53
	v_cndmask_b32_e32 v12, v52, v26, vcc
	v_add_f32_e32 v12, 1.0, v12
	v_rcp_f32_e32 v49, v12
	v_med3_f32 v22, v22, s37, v53
	v_pk_add_f32 v[22:23], v[22:23], 1.0 op_sel_hi:[1,0]
	v_cvt_f16_f32_e32 v55, v36
	v_pk_mul_f32 v[46:47], v[46:47], v[48:49]
	v_cvt_f32_f16_e32 v48, v29
	v_cvt_f32_f16_sdwa v49, v29 dst_sel:DWORD dst_unused:UNUSED_PAD src0_sel:WORD_1
	buffer_load_dwordx4 v[26:29], v50, s[12:15], 32 offen
	v_pk_mul_f32 v[46:47], v[22:23], v[46:47]
	v_pk_add_f32 v[22:23], v[34:35], v[48:49]
	s_nop 0
	v_min_f32_e32 v22, 0x40e00000, v22
	v_mul_f32_e32 v12, 0xbfd9db23, v22
	v_mul_f32_e32 v34, 0x3fb8aa3b, v12
	v_fma_f32 v35, v12, s34, -v34
	v_rndne_f32_e32 v48, v34
	v_fmac_f32_e32 v35, 0x32a5705f, v12
	v_sub_f32_e32 v34, v34, v48
	v_add_f32_e32 v34, v34, v35
	v_exp_f32_e32 v34, v34
	v_cvt_i32_f32_e32 v35, v48
	v_min_f32_e32 v23, 0x40e00000, v23
	v_cmp_ngt_f32_e32 vcc, s35, v12
	v_mul_f32_e32 v49, 0xbfd9db23, v23
	v_ldexp_f32 v34, v34, v35
	v_cndmask_b32_e32 v48, 0, v34, vcc
	v_mul_f32_e32 v34, 0x3fb8aa3b, v49
	v_fma_f32 v35, v49, s34, -v34
	v_rndne_f32_e32 v56, v34
	v_fmac_f32_e32 v35, 0x32a5705f, v49
	v_sub_f32_e32 v34, v34, v56
	v_add_f32_e32 v57, v34, v35
	buffer_load_dwordx4 v[34:37], v50, s[12:15], 48 offen
	v_cmp_nlt_f32_e32 vcc, s36, v12
	v_cvt_f32_f16_e32 v12, v13
	v_cvt_f32_f16_sdwa v13, v13 dst_sel:DWORD dst_unused:UNUSED_PAD src0_sel:WORD_1
	v_exp_f32_e32 v57, v57
	v_cvt_i32_f32_e32 v56, v56
	v_cndmask_b32_e32 v48, v52, v48, vcc
	v_pk_add_f32 v[12:13], v[24:25], v[12:13]
	v_cmp_ngt_f32_e32 vcc, s35, v49
	v_ldexp_f32 v25, v57, v56
	v_add_f32_e32 v48, 1.0, v48
	v_cndmask_b32_e32 v25, 0, v25, vcc
	v_cmp_nlt_f32_e32 vcc, s36, v49
	v_rcp_f32_e32 v24, v48
	v_cvt_f32_f16_e32 v48, v18
	v_cndmask_b32_e32 v25, v52, v25, vcc
	v_add_f32_e32 v25, 1.0, v25
	v_rcp_f32_e32 v25, v25
	v_cvt_f32_f16_sdwa v49, v18 dst_sel:DWORD dst_unused:UNUSED_PAD src0_sel:WORD_1
	v_med3_f32 v13, v13, s37, v53
	v_med3_f32 v12, v12, s37, v53
	v_pk_mul_f32 v[22:23], v[22:23], v[24:25]
	s_waitcnt vmcnt(3)
	v_pk_add_f32 v[24:25], v[38:39], v[48:49]
	v_pk_add_f32 v[12:13], v[12:13], 1.0 op_sel_hi:[1,0]
	v_min_f32_e32 v24, 0x40e00000, v24
	v_mul_f32_e32 v18, 0xbfd9db23, v24
	v_mul_f32_e32 v38, 0x3fb8aa3b, v18
	v_fma_f32 v39, v18, s34, -v38
	v_rndne_f32_e32 v48, v38
	v_fmac_f32_e32 v39, 0x32a5705f, v18
	v_sub_f32_e32 v38, v38, v48
	v_add_f32_e32 v38, v38, v39
	v_exp_f32_e32 v38, v38
	v_cvt_i32_f32_e32 v39, v48
	v_min_f32_e32 v25, 0x40e00000, v25
	v_pk_mul_f32 v[48:49], v[12:13], v[22:23]
	v_cmp_ngt_f32_e32 vcc, s35, v18
	v_ldexp_f32 v12, v38, v39
	v_mul_f32_e32 v13, 0xbfd9db23, v25
	v_cndmask_b32_e32 v12, 0, v12, vcc
	v_cmp_nlt_f32_e32 vcc, s36, v18
	v_mul_f32_e32 v18, 0x3fb8aa3b, v13
	v_fma_f32 v22, v13, s34, -v18
	v_rndne_f32_e32 v23, v18
	v_fmac_f32_e32 v22, 0x32a5705f, v13
	v_sub_f32_e32 v18, v18, v23
	v_add_f32_e32 v18, v18, v22
	v_exp_f32_e32 v18, v18
	v_cvt_i32_f32_e32 v38, v23
	v_cndmask_b32_e32 v12, v52, v12, vcc
	v_cvt_f32_f16_e32 v22, v14
	v_cvt_f32_f16_sdwa v23, v14 dst_sel:DWORD dst_unused:UNUSED_PAD src0_sel:WORD_1
	v_ldexp_f32 v14, v18, v38
	v_cmp_ngt_f32_e32 vcc, s35, v13
	v_add_f32_e32 v12, 1.0, v12
	v_rcp_f32_e32 v12, v12
	v_cndmask_b32_e32 v14, 0, v14, vcc
	v_cmp_nlt_f32_e32 vcc, s36, v13
	v_cvt_f32_f16_e32 v38, v19
	v_cvt_f32_f16_sdwa v39, v19 dst_sel:DWORD dst_unused:UNUSED_PAD src0_sel:WORD_1
	v_cndmask_b32_e32 v13, v52, v14, vcc
	v_add_f32_e32 v13, 1.0, v13
	v_rcp_f32_e32 v13, v13
	s_waitcnt vmcnt(1)
	v_pk_add_f32 v[22:23], v[26:27], v[22:23]
	v_pk_mul_f32 v[12:13], v[24:25], v[12:13]
	v_med3_f32 v27, v23, s37, v53
	v_med3_f32 v26, v22, s37, v53
	v_pk_add_f32 v[18:19], v[26:27], 1.0 op_sel_hi:[1,0]
	buffer_load_dwordx4 v[22:25], v50, s[8:11], 64 offen
	v_pk_mul_f32 v[18:19], v[18:19], v[12:13]
	v_pk_add_f32 v[12:13], v[40:41], v[38:39]
	s_nop 0
	v_min_f32_e32 v12, 0x40e00000, v12
	v_mul_f32_e32 v26, 0xbfd9db23, v12
	v_mul_f32_e32 v14, 0x3fb8aa3b, v26
	v_fma_f32 v27, v26, s34, -v14
	v_rndne_f32_e32 v38, v14
	v_fmac_f32_e32 v27, 0x32a5705f, v26
	v_sub_f32_e32 v14, v14, v38
	v_add_f32_e32 v14, v14, v27
	v_exp_f32_e32 v27, v14
	v_cvt_i32_f32_e32 v38, v38
	v_cvt_f32_f16_e32 v14, v15
	v_cvt_f32_f16_sdwa v15, v15 dst_sel:DWORD dst_unused:UNUSED_PAD src0_sel:WORD_1
	v_min_f32_e32 v13, 0x40e00000, v13
	v_ldexp_f32 v27, v27, v38
	v_cmp_ngt_f32_e32 vcc, s35, v26
	v_mul_f32_e32 v39, 0xbfd9db23, v13
	v_pk_add_f32 v[14:15], v[28:29], v[14:15]
	v_cndmask_b32_e32 v38, 0, v27, vcc
	v_mul_f32_e32 v27, 0x3fb8aa3b, v39
	v_fma_f32 v28, v39, s34, -v27
	v_rndne_f32_e32 v29, v27
	v_fmac_f32_e32 v28, 0x32a5705f, v39
	v_sub_f32_e32 v27, v27, v29
	v_add_f32_e32 v27, v27, v28
	v_exp_f32_e32 v40, v27
	v_cvt_i32_f32_e32 v41, v29
	v_cmp_nlt_f32_e32 vcc, s36, v26
	buffer_load_dwordx4 v[26:29], v50, s[12:15], 64 offen
	v_med3_f32 v15, v15, s37, v53
	v_cndmask_b32_e32 v38, v52, v38, vcc
	v_ldexp_f32 v40, v40, v41
	v_cmp_ngt_f32_e32 vcc, s35, v39
	v_add_f32_e32 v38, 1.0, v38
	v_rcp_f32_e32 v38, v38
	v_cndmask_b32_e32 v40, 0, v40, vcc
	v_cmp_nlt_f32_e32 vcc, s36, v39
	v_cvt_f32_f16_sdwa v41, v20 dst_sel:DWORD dst_unused:UNUSED_PAD src0_sel:WORD_1
	v_med3_f32 v14, v14, s37, v53
	v_cndmask_b32_e32 v39, v52, v40, vcc
	v_add_f32_e32 v39, 1.0, v39
	v_rcp_f32_e32 v39, v39
	v_cvt_f32_f16_e32 v40, v20
	v_pk_add_f32 v[14:15], v[14:15], 1.0 op_sel_hi:[1,0]
	v_pk_mul_f32 v[12:13], v[12:13], v[38:39]
	s_nop 0
	v_pk_mul_f32 v[38:39], v[14:15], v[12:13]
	v_pk_add_f32 v[12:13], v[30:31], v[40:41]
	v_cvt_f16_f32_e32 v40, v45
	v_min_f32_e32 v12, 0x40e00000, v12
	v_mul_f32_e32 v14, 0xbfd9db23, v12
	v_mul_f32_e32 v15, 0x3fb8aa3b, v14
	v_min_f32_e32 v13, 0x40e00000, v13
	v_fma_f32 v20, v14, s34, -v15
	v_rndne_f32_e32 v30, v15
	v_fmac_f32_e32 v20, 0x32a5705f, v14
	v_sub_f32_e32 v15, v15, v30
	v_cvt_f16_f32_e32 v45, v46
	v_mul_f32_e32 v46, 0xbfd9db23, v13
	v_add_f32_e32 v15, v15, v20
	v_cvt_i32_f32_e32 v20, v30
	v_mul_f32_e32 v30, 0x3fb8aa3b, v46
	v_exp_f32_e32 v15, v15
	v_cvt_f16_f32_e32 v41, v44
	v_cvt_f16_f32_e32 v44, v47
	v_fma_f32 v31, v46, s34, -v30
	v_rndne_f32_e32 v47, v30
	v_fmac_f32_e32 v31, 0x32a5705f, v46
	v_sub_f32_e32 v30, v30, v47
	v_add_f32_e32 v30, v30, v31
	v_exp_f32_e32 v30, v30
	v_cvt_i32_f32_e32 v31, v47
	v_ldexp_f32 v15, v15, v20
	v_cvt_f32_f16_e32 v20, v21
	v_cvt_f32_f16_sdwa v21, v21 dst_sel:DWORD dst_unused:UNUSED_PAD src0_sel:WORD_1
	v_cmp_ngt_f32_e32 vcc, s35, v14
	v_cvt_f16_f32_e32 v47, v48
	v_pk_add_f32 v[20:21], v[32:33], v[20:21]
	v_cndmask_b32_e32 v15, 0, v15, vcc
	v_cmp_nlt_f32_e32 vcc, s36, v14
	v_min_f32_e32 v20, 0x40e00000, v20
	v_mul_f32_e32 v60, 0xbfd9db23, v20
	v_cndmask_b32_e32 v14, v52, v15, vcc
	v_ldexp_f32 v15, v30, v31
	v_cvt_f32_f16_e32 v30, v16
	v_cvt_f32_f16_sdwa v31, v16 dst_sel:DWORD dst_unused:UNUSED_PAD src0_sel:WORD_1
	v_mul_f32_e32 v16, 0x3fb8aa3b, v60
	v_min_f32_e32 v21, 0x40e00000, v21
	v_cmp_ngt_f32_e32 vcc, s35, v46
	s_waitcnt vmcnt(2)
	v_pk_add_f32 v[30:31], v[34:35], v[30:31]
	v_cvt_f16_f32_e32 v35, v18
	v_med3_f32 v57, v31, s37, v53
	v_med3_f32 v56, v30, s37, v53
	v_fma_f32 v30, v60, s34, -v16
	v_rndne_f32_e32 v31, v16
	v_fmac_f32_e32 v30, 0x32a5705f, v60
	v_sub_f32_e32 v16, v16, v31
	v_add_f32_e32 v16, v16, v30
	v_exp_f32_e32 v16, v16
	v_cvt_i32_f32_e32 v30, v31
	v_cvt_f16_f32_e32 v34, v19
	v_cndmask_b32_e32 v15, 0, v15, vcc
	v_cmp_nlt_f32_e32 vcc, s36, v46
	v_ldexp_f32 v18, v16, v30
	v_cvt_f32_f16_e32 v16, v17
	v_cvt_f32_f16_sdwa v17, v17 dst_sel:DWORD dst_unused:UNUSED_PAD src0_sel:WORD_1
	buffer_load_dwordx4 v[30:33], v50, s[8:11], s30 offen
	v_cndmask_b32_e32 v15, v52, v15, vcc
	v_cmp_ngt_f32_e32 vcc, s35, v60
	v_pk_add_f32 v[36:37], v[36:37], v[16:17]
	v_mul_f32_e32 v16, 0xbfd9db23, v21
	v_mul_f32_e32 v17, 0x3fb8aa3b, v16
	v_fma_f32 v19, v16, s34, -v17
	v_rndne_f32_e32 v48, v17
	v_fmac_f32_e32 v19, 0x32a5705f, v16
	v_sub_f32_e32 v17, v17, v48
	v_add_f32_e32 v17, v17, v19
	v_exp_f32_e32 v17, v17
	v_cvt_i32_f32_e32 v19, v48
	v_cndmask_b32_e32 v18, 0, v18, vcc
	v_cmp_nlt_f32_e32 vcc, s36, v60
	v_cvt_f16_f32_e32 v46, v49
	v_ldexp_f32 v17, v17, v19
	v_cndmask_b32_e32 v18, v52, v18, vcc
	v_cmp_ngt_f32_e32 vcc, s35, v16
	v_add_f32_e32 v18, 1.0, v18
	v_rcp_f32_e32 v48, v18
	v_cndmask_b32_e32 v17, 0, v17, vcc
	v_cmp_nlt_f32_e32 vcc, s36, v16
	v_add_f32_e32 v14, 1.0, v14
	v_add_f32_e32 v15, 1.0, v15
	v_cndmask_b32_e32 v16, v52, v17, vcc
	v_add_f32_e32 v16, 1.0, v16
	v_rcp_f32_e32 v49, v16
	buffer_load_dwordx4 v[16:19], v50, s[12:15], s30 offen
	v_rcp_f32_e32 v14, v14
	v_rcp_f32_e32 v15, v15
	v_pk_mul_f32 v[20:21], v[20:21], v[48:49]
	v_cvt_f32_f16_e32 v48, v4
	v_cvt_f32_f16_sdwa v49, v4 dst_sel:DWORD dst_unused:UNUSED_PAD src0_sel:WORD_1
	v_med3_f32 v37, v37, s37, v53
	v_med3_f32 v36, v36, s37, v53
	v_pk_add_f32 v[36:37], v[36:37], 1.0 op_sel_hi:[1,0]
	v_pk_mul_f32 v[58:59], v[12:13], v[14:15]
	buffer_load_dwordx4 v[12:15], v51, s[20:23], 48 offen
	v_pk_mul_f32 v[20:21], v[36:37], v[20:21]
	v_cvt_f32_f16_e32 v36, v8
	v_cvt_f32_f16_sdwa v37, v8 dst_sel:DWORD dst_unused:UNUSED_PAD src0_sel:WORD_1
	s_waitcnt vmcnt(4)
	v_pk_add_f32 v[22:23], v[22:23], v[48:49]
	v_pk_add_f32 v[56:57], v[56:57], 1.0 op_sel_hi:[1,0]
	v_min_f32_e32 v22, 0x40e00000, v22
	v_mul_f32_e32 v4, 0xbfd9db23, v22
	v_mul_f32_e32 v8, 0x3fb8aa3b, v4
	s_waitcnt vmcnt(3)
	v_pk_add_f32 v[26:27], v[26:27], v[36:37]
	v_fma_f32 v36, v4, s34, -v8
	v_rndne_f32_e32 v37, v8
	v_fmac_f32_e32 v36, 0x32a5705f, v4
	v_sub_f32_e32 v8, v8, v37
	v_add_f32_e32 v8, v8, v36
	v_exp_f32_e32 v8, v8
	v_cvt_i32_f32_e32 v36, v37
	v_min_f32_e32 v23, 0x40e00000, v23
	v_cmp_ngt_f32_e64 s[0:1], s35, v4
	v_med3_f32 v27, v27, s37, v53
	v_ldexp_f32 v8, v8, v36
	v_mul_f32_e32 v36, 0xbfd9db23, v23
	v_mul_f32_e32 v37, 0x3fb8aa3b, v36
	v_fma_f32 v48, v36, s34, -v37
	v_rndne_f32_e32 v49, v37
	v_fmac_f32_e32 v48, 0x32a5705f, v36
	v_sub_f32_e32 v37, v37, v49
	v_add_f32_e32 v37, v37, v48
	v_exp_f32_e32 v37, v37
	v_cvt_i32_f32_e32 v48, v49
	v_cmp_ngt_f32_e32 vcc, s35, v36
	v_cndmask_b32_e64 v8, 0, v8, s[0:1]
	v_cmp_nlt_f32_e64 s[0:1], s36, v4
	v_ldexp_f32 v37, v37, v48
	v_cndmask_b32_e32 v37, 0, v37, vcc
	v_cmp_nlt_f32_e32 vcc, s36, v36
	v_cndmask_b32_e64 v4, v52, v8, s[0:1]
	v_add_f32_e32 v4, 1.0, v4
	v_cndmask_b32_e32 v8, v52, v37, vcc
	v_add_f32_e32 v8, 1.0, v8
	v_rcp_f32_e32 v48, v4
	v_rcp_f32_e32 v49, v8
	v_med3_f32 v26, v26, s37, v53
	v_pk_mul_f32 v[56:57], v[56:57], v[58:59]
	v_cvt_f16_f32_e32 v36, v39
	v_pk_mul_f32 v[22:23], v[22:23], v[48:49]
	v_cvt_f32_f16_e32 v48, v5
	v_cvt_f32_f16_sdwa v49, v5 dst_sel:DWORD dst_unused:UNUSED_PAD src0_sel:WORD_1
	v_pk_add_f32 v[4:5], v[26:27], 1.0 op_sel_hi:[1,0]
	v_cvt_f16_f32_e32 v37, v38
	v_pk_mul_f32 v[4:5], v[4:5], v[22:23]
	v_pk_add_f32 v[22:23], v[24:25], v[48:49]
	v_cvt_f16_f32_e32 v48, v21
	v_min_f32_e32 v22, 0x40e00000, v22
	v_mul_f32_e32 v8, 0xbfd9db23, v22
	v_mul_f32_e32 v24, 0x3fb8aa3b, v8
	v_fma_f32 v25, v8, s34, -v24
	v_rndne_f32_e32 v26, v24
	v_fmac_f32_e32 v25, 0x32a5705f, v8
	v_sub_f32_e32 v24, v24, v26
	v_add_f32_e32 v24, v24, v25
	v_exp_f32_e32 v24, v24
	v_cvt_i32_f32_e32 v25, v26
	v_min_f32_e32 v23, 0x40e00000, v23
	v_cvt_f16_f32_e32 v49, v20
	v_cmp_ngt_f32_e32 vcc, s35, v8
	v_ldexp_f32 v20, v24, v25
	v_mul_f32_e32 v21, 0xbfd9db23, v23
	v_cndmask_b32_e32 v20, 0, v20, vcc
	v_cmp_nlt_f32_e32 vcc, s36, v8
	v_mul_f32_e32 v8, 0x3fb8aa3b, v21
	v_fma_f32 v24, v21, s34, -v8
	v_rndne_f32_e32 v25, v8
	v_fmac_f32_e32 v24, 0x32a5705f, v21
	v_sub_f32_e32 v8, v8, v25
	v_add_f32_e32 v24, v8, v24
	v_exp_f32_e32 v24, v24
	v_cvt_i32_f32_e32 v25, v25
	v_cndmask_b32_e32 v20, v52, v20, vcc
	v_cmp_ngt_f32_e32 vcc, s35, v21
	v_add_f32_e32 v20, 1.0, v20
	v_ldexp_f32 v24, v24, v25
	v_cndmask_b32_e32 v24, 0, v24, vcc
	v_cmp_nlt_f32_e32 vcc, s36, v21
	v_rcp_f32_e32 v20, v20
	v_cvt_f32_f16_sdwa v25, v6 dst_sel:DWORD dst_unused:UNUSED_PAD src0_sel:WORD_1
	v_cndmask_b32_e32 v21, v52, v24, vcc
	v_add_f32_e32 v21, 1.0, v21
	v_rcp_f32_e32 v21, v21
	v_cvt_f32_f16_e32 v24, v6
	v_cvt_f32_f16_e32 v8, v9
	v_cvt_f32_f16_sdwa v9, v9 dst_sel:DWORD dst_unused:UNUSED_PAD src0_sel:WORD_1
	v_pk_mul_f32 v[20:21], v[22:23], v[20:21]
	s_waitcnt vmcnt(2)
	v_pk_add_f32 v[22:23], v[30:31], v[24:25]
	v_cvt_f16_f32_e32 v38, v57
	v_min_f32_e32 v22, 0x40e00000, v22
	v_mul_f32_e32 v6, 0xbfd9db23, v22
	v_mul_f32_e32 v24, 0x3fb8aa3b, v6
	v_fma_f32 v25, v6, s34, -v24
	v_rndne_f32_e32 v26, v24
	v_fmac_f32_e32 v25, 0x32a5705f, v6
	v_sub_f32_e32 v24, v24, v26
	v_add_f32_e32 v24, v24, v25
	v_exp_f32_e32 v24, v24
	v_cvt_i32_f32_e32 v25, v26
	v_pk_add_f32 v[8:9], v[28:29], v[8:9]
	v_min_f32_e32 v23, 0x40e00000, v23
	v_med3_f32 v9, v9, s37, v53
	v_med3_f32 v8, v8, s37, v53
	v_pk_add_f32 v[8:9], v[8:9], 1.0 op_sel_hi:[1,0]
	v_cmp_ngt_f32_e32 vcc, s35, v6
	v_pk_mul_f32 v[8:9], v[8:9], v[20:21]
	v_ldexp_f32 v20, v24, v25
	v_cndmask_b32_e32 v20, 0, v20, vcc
	v_cmp_nlt_f32_e32 vcc, s36, v6
	v_mul_f32_e32 v21, 0xbfd9db23, v23
	v_cvt_f16_f32_e32 v39, v56
	v_cndmask_b32_e32 v6, v52, v20, vcc
	v_mul_f32_e32 v20, 0x3fb8aa3b, v21
	v_fma_f32 v24, v21, s34, -v20
	v_rndne_f32_e32 v25, v20
	v_fmac_f32_e32 v24, 0x32a5705f, v21
	v_sub_f32_e32 v20, v20, v25
	v_add_f32_e32 v20, v20, v24
	v_exp_f32_e32 v26, v20
	v_cvt_i32_f32_e32 v27, v25
	v_add_f32_e32 v6, 1.0, v6
	v_rcp_f32_e32 v20, v6
	v_cvt_f32_f16_e32 v24, v10
	v_cvt_f32_f16_sdwa v25, v10 dst_sel:DWORD dst_unused:UNUSED_PAD src0_sel:WORD_1
	v_ldexp_f32 v6, v26, v27
	v_cmp_ngt_f32_e32 vcc, s35, v21
	v_cvt_f16_f32_e32 v28, v9
	s_waitcnt vmcnt(1)
	v_pk_add_f32 v[16:17], v[16:17], v[24:25]
	v_cndmask_b32_e32 v6, 0, v6, vcc
	v_cmp_nlt_f32_e32 vcc, s36, v21
	buffer_load_dwordx4 v[24:27], v50, s[8:11], s31 offen
	v_med3_f32 v31, v17, s37, v53
	v_cndmask_b32_e32 v6, v52, v6, vcc
	v_add_f32_e32 v6, 1.0, v6
	v_rcp_f32_e32 v21, v6
	v_cvt_f32_f16_e32 v6, v7
	v_cvt_f32_f16_sdwa v7, v7 dst_sel:DWORD dst_unused:UNUSED_PAD src0_sel:WORD_1
	v_med3_f32 v30, v16, s37, v53
	v_pk_mul_f32 v[56:57], v[22:23], v[20:21]
	buffer_load_dwordx4 v[20:23], v50, s[12:15], s31 offen
	v_pk_add_f32 v[6:7], v[32:33], v[6:7]
	v_cvt_f16_f32_e32 v16, v5
	v_min_f32_e32 v32, 0x40e00000, v6
	v_mul_f32_e32 v6, 0xbfd9db23, v32
	v_min_f32_e32 v33, 0x40e00000, v7
	v_mul_f32_e32 v7, 0x3fb8aa3b, v6
	v_fma_f32 v10, v6, s34, -v7
	v_rndne_f32_e32 v17, v7
	v_fmac_f32_e32 v10, 0x32a5705f, v6
	v_sub_f32_e32 v7, v7, v17
	v_add_f32_e32 v7, v7, v10
	v_exp_f32_e32 v5, v7
	v_cvt_i32_f32_e32 v7, v17
	v_cvt_f16_f32_e32 v17, v4
	v_cvt_f16_f32_e32 v29, v8
	v_cvt_f32_f16_e32 v4, v11
	v_ldexp_f32 v7, v5, v7
	v_cvt_f32_f16_sdwa v5, v11 dst_sel:DWORD dst_unused:UNUSED_PAD src0_sel:WORD_1
	buffer_load_dwordx4 v[8:11], v50, s[8:11], s33 offen
	v_cmp_ngt_f32_e32 vcc, s35, v6
	v_pk_add_f32 v[30:31], v[30:31], 1.0 op_sel_hi:[1,0]
	v_pk_add_f32 v[18:19], v[18:19], v[4:5]
	v_mul_f32_e32 v4, 0xbfd9db23, v33
	v_mul_f32_e32 v5, 0x3fb8aa3b, v4
	v_fma_f32 v58, v4, s34, -v5
	v_rndne_f32_e32 v59, v5
	v_fmac_f32_e32 v58, 0x32a5705f, v4
	v_sub_f32_e32 v5, v5, v59
	v_add_f32_e32 v5, v5, v58
	v_exp_f32_e32 v5, v5
	v_cvt_i32_f32_e32 v59, v59
	v_cndmask_b32_e32 v7, 0, v7, vcc
	v_cmp_nlt_f32_e32 vcc, s36, v6
	v_pk_mul_f32 v[30:31], v[30:31], v[56:57]
	v_ldexp_f32 v5, v5, v59
	v_cndmask_b32_e32 v6, v52, v7, vcc
	v_cmp_ngt_f32_e32 vcc, s35, v4
	v_add_f32_e32 v6, 1.0, v6
	v_rcp_f32_e32 v58, v6
	v_cndmask_b32_e32 v5, 0, v5, vcc
	v_cmp_nlt_f32_e32 vcc, s36, v4
	v_cvt_f32_f16_e32 v56, v0
	v_cvt_f32_f16_sdwa v57, v0 dst_sel:DWORD dst_unused:UNUSED_PAD src0_sel:WORD_1
	v_cndmask_b32_e32 v4, v52, v5, vcc
	v_add_f32_e32 v4, 1.0, v4
	v_rcp_f32_e32 v59, v4
	buffer_load_dwordx4 v[4:7], v50, s[12:15], s33 offen
	v_med3_f32 v19, v19, s37, v53
	v_med3_f32 v18, v18, s37, v53
	v_pk_mul_f32 v[32:33], v[32:33], v[58:59]
	v_pk_add_f32 v[18:19], v[18:19], 1.0 op_sel_hi:[1,0]
	v_cvt_f16_f32_e32 v31, v31
	v_pk_mul_f32 v[18:19], v[18:19], v[32:33]
	s_waitcnt vmcnt(4)
	v_cvt_f32_f16_e32 v32, v12
	v_cvt_f32_f16_sdwa v33, v12 dst_sel:DWORD dst_unused:UNUSED_PAD src0_sel:WORD_1
	v_cvt_f16_f32_e32 v30, v30
	v_add_u32_e32 v50, s28, v50
	s_waitcnt vmcnt(3)
	v_pk_add_f32 v[24:25], v[24:25], v[56:57]
	s_nop 0
	v_min_f32_e32 v24, 0x40e00000, v24
	v_mul_f32_e32 v0, 0xbfd9db23, v24
	v_mul_f32_e32 v12, 0x3fb8aa3b, v0
	v_min_f32_e32 v25, 0x40e00000, v25
	v_cmp_ngt_f32_e64 s[0:1], s35, v0
	s_waitcnt vmcnt(2)
	v_pk_add_f32 v[20:21], v[20:21], v[32:33]
	v_fma_f32 v32, v0, s34, -v12
	v_rndne_f32_e32 v33, v12
	v_fmac_f32_e32 v32, 0x32a5705f, v0
	v_sub_f32_e32 v12, v12, v33
	v_add_f32_e32 v12, v12, v32
	v_exp_f32_e32 v12, v12
	v_cvt_i32_f32_e32 v32, v33
	v_med3_f32 v21, v21, s37, v53
	v_med3_f32 v20, v20, s37, v53
	v_pk_add_f32 v[20:21], v[20:21], 1.0 op_sel_hi:[1,0]
	v_ldexp_f32 v12, v12, v32
	v_mul_f32_e32 v32, 0xbfd9db23, v25
	v_mul_f32_e32 v33, 0x3fb8aa3b, v32
	v_fma_f32 v56, v32, s34, -v33
	v_rndne_f32_e32 v57, v33
	v_fmac_f32_e32 v56, 0x32a5705f, v32
	v_sub_f32_e32 v33, v33, v57
	v_add_f32_e32 v33, v33, v56
	v_exp_f32_e32 v33, v33
	v_cvt_i32_f32_e32 v56, v57
	v_cndmask_b32_e64 v12, 0, v12, s[0:1]
	v_cmp_nlt_f32_e64 s[0:1], s36, v0
	v_cmp_ngt_f32_e32 vcc, s35, v32
	v_ldexp_f32 v33, v33, v56
	v_cndmask_b32_e64 v0, v52, v12, s[0:1]
	v_cndmask_b32_e32 v33, 0, v33, vcc
	v_cmp_nlt_f32_e32 vcc, s36, v32
	v_add_f32_e32 v0, 1.0, v0
	v_rcp_f32_e32 v32, v0
	v_cndmask_b32_e32 v12, v52, v33, vcc
	v_cvt_f32_f16_e32 v0, v1
	v_cvt_f32_f16_sdwa v1, v1 dst_sel:DWORD dst_unused:UNUSED_PAD src0_sel:WORD_1
	v_add_f32_e32 v12, 1.0, v12
	v_rcp_f32_e32 v33, v12
	v_cvt_f16_f32_e32 v56, v19
	v_pk_add_f32 v[0:1], v[26:27], v[0:1]
	v_cvt_f16_f32_e32 v57, v18
	v_min_f32_e32 v0, 0x40e00000, v0
	v_pk_mul_f32 v[18:19], v[24:25], v[32:33]
	v_mul_f32_e32 v12, 0xbfd9db23, v0
	v_pk_mul_f32 v[18:19], v[20:21], v[18:19]
	v_mul_f32_e32 v20, 0x3fb8aa3b, v12
	v_fma_f32 v21, v12, s34, -v20
	v_rndne_f32_e32 v24, v20
	v_fmac_f32_e32 v21, 0x32a5705f, v12
	v_sub_f32_e32 v20, v20, v24
	v_add_f32_e32 v20, v20, v21
	v_exp_f32_e32 v20, v20
	v_cvt_i32_f32_e32 v21, v24
	v_min_f32_e32 v1, 0x40e00000, v1
	v_cvt_f16_f32_e32 v24, v19
	v_cvt_f16_f32_e32 v25, v18
	v_ldexp_f32 v18, v20, v21
	v_cmp_ngt_f32_e32 vcc, s35, v12
	v_mul_f32_e32 v19, 0xbfd9db23, v1
	s_nop 0
	v_cndmask_b32_e32 v18, 0, v18, vcc
	v_cmp_nlt_f32_e32 vcc, s36, v12
	v_mul_f32_e32 v12, 0x3fb8aa3b, v19
	v_fma_f32 v20, v19, s34, -v12
	v_rndne_f32_e32 v21, v12
	v_fmac_f32_e32 v20, 0x32a5705f, v19
	v_sub_f32_e32 v12, v12, v21
	v_add_f32_e32 v20, v12, v20
	v_exp_f32_e32 v20, v20
	v_cvt_i32_f32_e32 v21, v21
	v_cndmask_b32_e32 v18, v52, v18, vcc
	v_cmp_ngt_f32_e32 vcc, s35, v19
	v_cvt_f32_f16_e32 v12, v13
	v_ldexp_f32 v20, v20, v21
	v_cndmask_b32_e32 v20, 0, v20, vcc
	v_cmp_nlt_f32_e32 vcc, s36, v19
	v_cvt_f32_f16_sdwa v13, v13 dst_sel:DWORD dst_unused:UNUSED_PAD src0_sel:WORD_1
	v_cvt_f32_f16_sdwa v21, v2 dst_sel:DWORD dst_unused:UNUSED_PAD src0_sel:WORD_1
	v_cndmask_b32_e32 v19, v52, v20, vcc
	v_cvt_f32_f16_e32 v20, v2
	v_add_f32_e32 v18, 1.0, v18
	v_add_f32_e32 v19, 1.0, v19
	v_rcp_f32_e32 v18, v18
	v_rcp_f32_e32 v19, v19
	v_pk_add_f32 v[12:13], v[22:23], v[12:13]
	s_waitcnt vmcnt(1)
	v_pk_add_f32 v[8:9], v[8:9], v[20:21]
	v_med3_f32 v13, v13, s37, v53
	v_med3_f32 v12, v12, s37, v53
	v_min_f32_e32 v8, 0x40e00000, v8
	v_pk_mul_f32 v[0:1], v[0:1], v[18:19]
	v_pk_add_f32 v[12:13], v[12:13], 1.0 op_sel_hi:[1,0]
	v_mul_f32_e32 v2, 0xbfd9db23, v8
	v_pk_mul_f32 v[0:1], v[12:13], v[0:1]
	v_mul_f32_e32 v12, 0x3fb8aa3b, v2
	v_fma_f32 v13, v2, s34, -v12
	v_rndne_f32_e32 v18, v12
	v_fmac_f32_e32 v13, 0x32a5705f, v2
	v_sub_f32_e32 v12, v12, v18
	v_add_f32_e32 v12, v12, v13
	v_exp_f32_e32 v12, v12
	v_cvt_i32_f32_e32 v13, v18
	v_min_f32_e32 v9, 0x40e00000, v9
	v_cvt_f16_f32_e32 v19, v0
	v_cmp_ngt_f32_e32 vcc, s35, v2
	v_ldexp_f32 v0, v12, v13
	v_mul_f32_e32 v13, 0xbfd9db23, v9
	v_cndmask_b32_e32 v0, 0, v0, vcc
	v_cmp_nlt_f32_e32 vcc, s36, v2
	v_mul_f32_e32 v12, 0x3fb8aa3b, v13
	v_cvt_f16_f32_e32 v18, v1
	v_cndmask_b32_e32 v2, v52, v0, vcc
	v_cvt_f32_f16_e32 v0, v14
	v_cvt_f32_f16_sdwa v1, v14 dst_sel:DWORD dst_unused:UNUSED_PAD src0_sel:WORD_1
	v_fma_f32 v14, v13, s34, -v12
	v_rndne_f32_e32 v20, v12
	v_fmac_f32_e32 v14, 0x32a5705f, v13
	v_sub_f32_e32 v12, v12, v20
	v_add_f32_e32 v12, v12, v14
	v_exp_f32_e32 v14, v12
	v_cvt_i32_f32_e32 v20, v20
	v_add_f32_e32 v2, 1.0, v2
	v_rcp_f32_e32 v12, v2
	v_cmp_ngt_f32_e32 vcc, s35, v13
	v_ldexp_f32 v2, v14, v20
	s_waitcnt vmcnt(0)
	v_pk_add_f32 v[0:1], v[4:5], v[0:1]
	v_cndmask_b32_e32 v2, 0, v2, vcc
	v_cmp_nlt_f32_e32 vcc, s36, v13
	v_med3_f32 v1, v1, s37, v53
	v_med3_f32 v0, v0, s37, v53
	v_cndmask_b32_e32 v2, v52, v2, vcc
	v_add_f32_e32 v2, 1.0, v2
	v_rcp_f32_e32 v13, v2
	v_cvt_f32_f16_e32 v2, v3
	v_cvt_f32_f16_sdwa v3, v3 dst_sel:DWORD dst_unused:UNUSED_PAD src0_sel:WORD_1
	v_pk_add_f32 v[0:1], v[0:1], 1.0 op_sel_hi:[1,0]
	v_pk_mul_f32 v[4:5], v[8:9], v[12:13]
	v_pk_add_f32 v[2:3], v[10:11], v[2:3]
	s_nop 0
	v_min_f32_e32 v2, 0x40e00000, v2
	v_pk_mul_f32 v[0:1], v[0:1], v[4:5]
	v_mul_f32_e32 v4, 0xbfd9db23, v2
	v_mul_f32_e32 v5, 0x3fb8aa3b, v4
	v_fma_f32 v8, v4, s34, -v5
	v_rndne_f32_e32 v9, v5
	v_fmac_f32_e32 v8, 0x32a5705f, v4
	v_sub_f32_e32 v5, v5, v9
	v_add_f32_e32 v5, v5, v8
	v_exp_f32_e32 v5, v5
	v_cvt_i32_f32_e32 v8, v9
	v_min_f32_e32 v3, 0x40e00000, v3
	v_cvt_f16_f32_e32 v9, v1
	v_cvt_f16_f32_e32 v10, v0
	v_ldexp_f32 v0, v5, v8
	v_cmp_ngt_f32_e32 vcc, s35, v4
	v_mul_f32_e32 v1, 0xbfd9db23, v3
	s_nop 0
	v_cndmask_b32_e32 v0, 0, v0, vcc
	v_cmp_nlt_f32_e32 vcc, s36, v4
	v_mul_f32_e32 v4, 0x3fb8aa3b, v1
	v_fma_f32 v5, v1, s34, -v4
	v_rndne_f32_e32 v8, v4
	v_fmac_f32_e32 v5, 0x32a5705f, v1
	v_sub_f32_e32 v4, v4, v8
	v_add_f32_e32 v4, v4, v5
	v_exp_f32_e32 v11, v4
	v_cvt_i32_f32_e32 v8, v8
	v_cndmask_b32_e32 v0, v52, v0, vcc
	v_cmp_ngt_f32_e32 vcc, s35, v1
	v_cvt_f32_f16_e32 v4, v15
	v_ldexp_f32 v8, v11, v8
	v_cndmask_b32_e32 v8, 0, v8, vcc
	v_cmp_nlt_f32_e32 vcc, s36, v1
	v_cvt_f32_f16_sdwa v5, v15 dst_sel:DWORD dst_unused:UNUSED_PAD src0_sel:WORD_1
	v_add_f32_e32 v0, 1.0, v0
	v_cndmask_b32_e32 v1, v52, v8, vcc
	v_add_f32_e32 v1, 1.0, v1
	v_rcp_f32_e32 v0, v0
	v_rcp_f32_e32 v1, v1
	v_pk_add_f32 v[4:5], v[6:7], v[4:5]
	v_cmp_le_i64_e32 vcc, s[24:25], v[42:43]
	v_med3_f32 v5, v5, s37, v53
	v_med3_f32 v4, v4, s37, v53
	v_pk_mul_f32 v[0:1], v[2:3], v[0:1]
	v_pk_add_f32 v[2:3], v[4:5], 1.0 op_sel_hi:[1,0]
	s_or_b64 s[26:27], vcc, s[26:27]
	v_pk_mul_f32 v[0:1], v[2:3], v[0:1]
	v_pack_b32_f16 v3, v47, v46
	v_cvt_f16_f32_e32 v4, v1
	v_cvt_f16_f32_e32 v5, v0
	v_pack_b32_f16 v1, v41, v40
	v_pack_b32_f16 v2, v45, v44
	v_pack_b32_f16 v0, v55, v54
	buffer_store_dwordx4 v[0:3], v51, s[4:7], 0 offen
	s_nop 1
	v_pack_b32_f16 v3, v49, v48
	v_pack_b32_f16 v1, v37, v36
	v_pack_b32_f16 v2, v39, v38
	v_pack_b32_f16 v0, v35, v34
	buffer_store_dwordx4 v[0:3], v51, s[4:7], 16 offen
	s_nop 1
	v_pack_b32_f16 v3, v57, v56
	v_pack_b32_f16 v1, v29, v28
	v_pack_b32_f16 v2, v30, v31
	v_pack_b32_f16 v0, v17, v16
	buffer_store_dwordx4 v[0:3], v51, s[4:7], 32 offen
	s_nop 1
	v_pack_b32_f16 v3, v5, v4
	v_pack_b32_f16 v1, v19, v18
	v_pack_b32_f16 v2, v10, v9
	;; [unrolled: 1-line block ×3, first 2 shown]
	buffer_store_dwordx4 v[0:3], v51, s[4:7], 48 offen
	v_add_u32_e32 v51, s29, v51
	s_andn2_b64 exec, exec, s[26:27]
	s_cbranch_execnz .LBB259_8
.LBB259_9:
	s_endpgm
	.section	.rodata,"a",@progbits
	.p2align	6, 0x0
	.amdhsa_kernel _ZN5aiter30swiglu_act_and_mul_bias_kernelIDF16_DF16_afLi32EEEvPT0_PKT_PKT1_PKT2_il
		.amdhsa_group_segment_fixed_size 0
		.amdhsa_private_segment_fixed_size 0
		.amdhsa_kernarg_size 304
		.amdhsa_user_sgpr_count 2
		.amdhsa_user_sgpr_dispatch_ptr 0
		.amdhsa_user_sgpr_queue_ptr 0
		.amdhsa_user_sgpr_kernarg_segment_ptr 1
		.amdhsa_user_sgpr_dispatch_id 0
		.amdhsa_user_sgpr_kernarg_preload_length 0
		.amdhsa_user_sgpr_kernarg_preload_offset 0
		.amdhsa_user_sgpr_private_segment_size 0
		.amdhsa_uses_dynamic_stack 0
		.amdhsa_enable_private_segment 0
		.amdhsa_system_sgpr_workgroup_id_x 1
		.amdhsa_system_sgpr_workgroup_id_y 0
		.amdhsa_system_sgpr_workgroup_id_z 0
		.amdhsa_system_sgpr_workgroup_info 0
		.amdhsa_system_vgpr_workitem_id 0
		.amdhsa_next_free_vgpr 61
		.amdhsa_next_free_sgpr 38
		.amdhsa_accum_offset 64
		.amdhsa_reserve_vcc 1
		.amdhsa_float_round_mode_32 0
		.amdhsa_float_round_mode_16_64 0
		.amdhsa_float_denorm_mode_32 3
		.amdhsa_float_denorm_mode_16_64 3
		.amdhsa_dx10_clamp 1
		.amdhsa_ieee_mode 1
		.amdhsa_fp16_overflow 0
		.amdhsa_tg_split 0
		.amdhsa_exception_fp_ieee_invalid_op 0
		.amdhsa_exception_fp_denorm_src 0
		.amdhsa_exception_fp_ieee_div_zero 0
		.amdhsa_exception_fp_ieee_overflow 0
		.amdhsa_exception_fp_ieee_underflow 0
		.amdhsa_exception_fp_ieee_inexact 0
		.amdhsa_exception_int_div_zero 0
	.end_amdhsa_kernel
	.section	.text._ZN5aiter30swiglu_act_and_mul_bias_kernelIDF16_DF16_afLi32EEEvPT0_PKT_PKT1_PKT2_il,"axG",@progbits,_ZN5aiter30swiglu_act_and_mul_bias_kernelIDF16_DF16_afLi32EEEvPT0_PKT_PKT1_PKT2_il,comdat
.Lfunc_end259:
	.size	_ZN5aiter30swiglu_act_and_mul_bias_kernelIDF16_DF16_afLi32EEEvPT0_PKT_PKT1_PKT2_il, .Lfunc_end259-_ZN5aiter30swiglu_act_and_mul_bias_kernelIDF16_DF16_afLi32EEEvPT0_PKT_PKT1_PKT2_il
                                        ; -- End function
	.section	.AMDGPU.csdata,"",@progbits
; Kernel info:
; codeLenInByte = 5524
; NumSgprs: 44
; NumVgprs: 61
; NumAgprs: 0
; TotalNumVgprs: 61
; ScratchSize: 0
; MemoryBound: 0
; FloatMode: 240
; IeeeMode: 1
; LDSByteSize: 0 bytes/workgroup (compile time only)
; SGPRBlocks: 5
; VGPRBlocks: 7
; NumSGPRsForWavesPerEU: 44
; NumVGPRsForWavesPerEU: 61
; AccumOffset: 64
; Occupancy: 8
; WaveLimiterHint : 0
; COMPUTE_PGM_RSRC2:SCRATCH_EN: 0
; COMPUTE_PGM_RSRC2:USER_SGPR: 2
; COMPUTE_PGM_RSRC2:TRAP_HANDLER: 0
; COMPUTE_PGM_RSRC2:TGID_X_EN: 1
; COMPUTE_PGM_RSRC2:TGID_Y_EN: 0
; COMPUTE_PGM_RSRC2:TGID_Z_EN: 0
; COMPUTE_PGM_RSRC2:TIDIG_COMP_CNT: 0
; COMPUTE_PGM_RSRC3_GFX90A:ACCUM_OFFSET: 15
; COMPUTE_PGM_RSRC3_GFX90A:TG_SPLIT: 0
	.section	.text._ZN5aiter30swiglu_act_and_mul_bias_kernelIDF16_DF16_afLi16EEEvPT0_PKT_PKT1_PKT2_il,"axG",@progbits,_ZN5aiter30swiglu_act_and_mul_bias_kernelIDF16_DF16_afLi16EEEvPT0_PKT_PKT1_PKT2_il,comdat
	.protected	_ZN5aiter30swiglu_act_and_mul_bias_kernelIDF16_DF16_afLi16EEEvPT0_PKT_PKT1_PKT2_il ; -- Begin function _ZN5aiter30swiglu_act_and_mul_bias_kernelIDF16_DF16_afLi16EEEvPT0_PKT_PKT1_PKT2_il
	.globl	_ZN5aiter30swiglu_act_and_mul_bias_kernelIDF16_DF16_afLi16EEEvPT0_PKT_PKT1_PKT2_il
	.p2align	8
	.type	_ZN5aiter30swiglu_act_and_mul_bias_kernelIDF16_DF16_afLi16EEEvPT0_PKT_PKT1_PKT2_il,@function
_ZN5aiter30swiglu_act_and_mul_bias_kernelIDF16_DF16_afLi16EEEvPT0_PKT_PKT1_PKT2_il: ; @_ZN5aiter30swiglu_act_and_mul_bias_kernelIDF16_DF16_afLi16EEEvPT0_PKT_PKT1_PKT2_il
; %bb.0:
	s_load_dwordx2 s[4:5], s[0:1], 0x10
	s_load_dword s24, s[0:1], 0x20
	s_load_dwordx2 s[6:7], s[0:1], 0x28
	v_mov_b32_e32 v1, s2
	s_mov_b32 s9, 0
	s_waitcnt lgkmcnt(0)
	global_load_ubyte v1, v1, s[4:5]
	s_add_i32 s3, s24, 1
	v_mov_b64_e32 v[2:3], s[6:7]
	s_lshr_b32 s6, s3, 31
	s_add_i32 s3, s3, s6
	s_load_dwordx2 s[4:5], s[0:1], 0x0
	s_lshl_b32 s3, s3, 1
	s_ashr_i32 s25, s24, 31
	s_and_b32 s6, s3, -4
	s_mul_hi_u32 s8, s24, s2
	s_mul_i32 s7, s25, s2
	s_mul_i32 s12, s24, s2
	s_add_i32 s13, s8, s7
	s_lshl_b64 s[12:13], s[12:13], 1
	s_mov_b64 s[10:11], -1
	v_lshlrev_b32_e32 v40, 4, v0
	s_waitcnt vmcnt(0)
	v_readfirstlane_b32 s3, v1
	s_nop 1
	v_mov_b32_e32 v4, s3
	s_sext_i32_i8 s3, s3
	v_readfirstlane_b32 s8, v4
	s_bfe_i64 s[8:9], s[8:9], 0x80000
	s_waitcnt lgkmcnt(0)
	s_add_u32 s4, s4, s12
	s_addc_u32 s5, s5, s13
	s_and_b32 s5, s5, 0xffff
	s_cmp_gt_i32 s3, -1
	v_cmp_lt_i64_e32 vcc, s[8:9], v[2:3]
	s_cselect_b64 s[12:13], -1, 0
	s_and_b64 s[12:13], s[12:13], vcc
	s_and_b64 vcc, exec, s[12:13]
	s_cbranch_vccnz .LBB260_5
; %bb.1:
	v_cmp_gt_i32_e32 vcc, s24, v40
	s_and_saveexec_b64 s[10:11], vcc
	s_cbranch_execz .LBB260_4
; %bb.2:
	s_load_dword s3, s[0:1], 0x3c
	s_mov_b32 s13, 0
	s_mov_b32 s16, s13
	;; [unrolled: 1-line block ×3, first 2 shown]
	v_mov_b32_e32 v41, 0
	s_waitcnt lgkmcnt(0)
	s_and_b32 s3, s3, 0xffff
	s_mov_b32 s18, s13
	s_mov_b32 s19, s13
	v_mov_b64_e32 v[2:3], s[16:17]
	v_lshlrev_b32_e32 v1, 5, v0
	s_lshl_b32 s12, s3, 4
	s_lshl_b32 s3, s3, 5
	s_mov_b64 s[14:15], 0
	s_mov_b32 s7, 0x20000
	v_mov_b64_e32 v[4:5], s[18:19]
	v_mov_b64_e32 v[6:7], v[40:41]
.LBB260_3:                              ; =>This Inner Loop Header: Depth=1
	v_lshl_add_u64 v[6:7], s[12:13], 0, v[6:7]
	v_cmp_le_i64_e32 vcc, s[24:25], v[6:7]
	buffer_store_dwordx4 v[2:5], v1, s[4:7], 0 offen
	buffer_store_dwordx4 v[2:5], v1, s[4:7], 16 offen
	s_or_b64 s[14:15], vcc, s[14:15]
	v_add_u32_e32 v1, s3, v1
	s_andn2_b64 exec, exec, s[14:15]
	s_cbranch_execnz .LBB260_3
.LBB260_4:
	s_or_b64 exec, exec, s[10:11]
	s_mov_b64 s[10:11], 0
.LBB260_5:
	s_andn2_b64 vcc, exec, s[10:11]
	s_cbranch_vccnz .LBB260_9
; %bb.6:
	v_cmp_gt_i32_e32 vcc, s24, v40
	s_and_saveexec_b64 s[10:11], vcc
	s_cbranch_execz .LBB260_9
; %bb.7:
	s_load_dwordx2 s[14:15], s[0:1], 0x8
	s_load_dwordx2 s[10:11], s[0:1], 0x18
	s_mul_hi_i32 s9, s24, s8
	s_mul_i32 s8, s24, s8
	s_lshl_b64 s[8:9], s[8:9], 3
	s_load_dword s3, s[0:1], 0x3c
	s_waitcnt lgkmcnt(0)
	s_add_u32 s8, s10, s8
	s_addc_u32 s7, s11, s9
	s_lshl_b64 s[0:1], s[24:25], 2
	s_add_u32 s12, s8, s0
	s_addc_u32 s0, s7, s1
	s_and_b32 s13, s0, 0xffff
	s_mul_i32 s0, s2, s25
	s_mul_hi_u32 s1, s2, s24
	s_add_i32 s1, s1, s0
	s_mul_i32 s0, s2, s24
	s_lshl_b32 s10, s24, 2
	s_and_b32 s9, s7, 0xffff
	s_lshl_b64 s[0:1], s[0:1], 2
	s_add_u32 s16, s14, s0
	s_addc_u32 s2, s15, s1
	s_lshl_b64 s[0:1], s[24:25], 1
	s_add_u32 s20, s16, s0
	s_addc_u32 s0, s2, s1
	s_mov_b32 s7, 0x20000
	s_and_b32 s21, s0, 0xffff
	s_and_b32 s0, s3, 0xffff
	s_mov_b32 s27, 0
	s_mov_b32 s11, s7
	s_and_b32 s17, s2, 0xffff
	v_mov_b32_e32 v41, 0
	s_lshl_b32 s26, s0, 4
	v_lshlrev_b32_e32 v42, 6, v0
	s_lshl_b32 s30, s0, 6
	v_lshlrev_b32_e32 v43, 5, v0
	s_lshl_b32 s31, s0, 5
	s_mov_b64 s[28:29], 0
	s_mov_b32 s33, 0x3fb8aa3b
	s_mov_b32 s34, 0xc2ce8ed0
	;; [unrolled: 1-line block ×3, first 2 shown]
	v_mov_b32_e32 v44, 0x7f800000
	s_mov_b32 s36, 0xc0e00000
	v_mov_b32_e32 v45, 0x40e00000
	s_mov_b32 s18, s6
	s_mov_b32 s19, s7
	;; [unrolled: 1-line block ×4, first 2 shown]
.LBB260_8:                              ; =>This Inner Loop Header: Depth=1
	buffer_load_dwordx4 v[28:31], v43, s[16:19], 0 offen
	buffer_load_dwordx4 v[20:23], v43, s[20:23], 0 offen
	;; [unrolled: 1-line block ×3, first 2 shown]
	s_mov_b32 s14, s10
	s_mov_b32 s15, s11
	buffer_load_dwordx4 v[32:35], v42, s[12:15], 0 offen
	buffer_load_dwordx4 v[8:11], v43, s[16:19], 16 offen
	;; [unrolled: 1-line block ×7, first 2 shown]
	v_lshl_add_u64 v[40:41], s[26:27], 0, v[40:41]
	s_waitcnt vmcnt(9)
	v_cvt_f32_f16_e32 v46, v28
	v_cvt_f32_f16_sdwa v47, v28 dst_sel:DWORD dst_unused:UNUSED_PAD src0_sel:WORD_1
	v_cvt_f32_f16_e32 v28, v29
	v_cvt_f32_f16_sdwa v29, v29 dst_sel:DWORD dst_unused:UNUSED_PAD src0_sel:WORD_1
	s_waitcnt vmcnt(8)
	v_cvt_f32_f16_e32 v48, v20
	v_cvt_f32_f16_sdwa v49, v20 dst_sel:DWORD dst_unused:UNUSED_PAD src0_sel:WORD_1
	v_cvt_f32_f16_e32 v20, v21
	v_cvt_f32_f16_sdwa v21, v21 dst_sel:DWORD dst_unused:UNUSED_PAD src0_sel:WORD_1
	s_waitcnt vmcnt(7)
	v_pk_add_f32 v[12:13], v[12:13], v[46:47]
	v_pk_add_f32 v[14:15], v[14:15], v[28:29]
	v_min_f32_e32 v29, 0x40e00000, v13
	v_min_f32_e32 v28, 0x40e00000, v12
	s_waitcnt vmcnt(6)
	v_pk_add_f32 v[32:33], v[32:33], v[48:49]
	v_pk_add_f32 v[20:21], v[34:35], v[20:21]
	v_min_f32_e32 v48, 0x40e00000, v14
	v_mul_f32_e32 v12, 0xbfd9db23, v28
	v_mul_f32_e32 v13, 0xbfd9db23, v29
	v_min_f32_e32 v49, 0x40e00000, v15
	v_med3_f32 v50, v20, s36, v45
	v_mul_f32_e32 v20, 0xbfd9db23, v48
	v_mul_f32_e32 v14, 0x3fb8aa3b, v12
	;; [unrolled: 1-line block ×3, first 2 shown]
	v_med3_f32 v46, v32, s36, v45
	v_med3_f32 v51, v21, s36, v45
	v_mul_f32_e32 v21, 0xbfd9db23, v49
	v_mul_f32_e32 v32, 0x3fb8aa3b, v20
	v_fma_f32 v34, v12, s33, -v14
	v_rndne_f32_e32 v35, v14
	v_fma_f32 v52, v13, s33, -v15
	v_rndne_f32_e32 v53, v15
	v_med3_f32 v47, v33, s36, v45
	v_mul_f32_e32 v33, 0x3fb8aa3b, v21
	v_fma_f32 v54, v20, s33, -v32
	v_rndne_f32_e32 v55, v32
	v_fmac_f32_e32 v34, 0x32a5705f, v12
	v_sub_f32_e32 v14, v14, v35
	v_fmac_f32_e32 v52, 0x32a5705f, v13
	v_sub_f32_e32 v15, v15, v53
	v_add_f32_e32 v14, v14, v34
	v_fma_f32 v34, v21, s33, -v33
	v_add_f32_e32 v15, v15, v52
	v_rndne_f32_e32 v52, v33
	v_fmac_f32_e32 v54, 0x32a5705f, v20
	v_sub_f32_e32 v32, v32, v55
	v_cvt_i32_f32_e32 v35, v35
	v_fmac_f32_e32 v34, 0x32a5705f, v21
	v_sub_f32_e32 v33, v33, v52
	v_add_f32_e32 v32, v32, v54
	v_exp_f32_e32 v14, v14
	v_cvt_i32_f32_e32 v53, v53
	v_cvt_i32_f32_e32 v55, v55
	v_add_f32_e32 v33, v33, v34
	v_exp_f32_e32 v15, v15
	v_exp_f32_e32 v32, v32
	v_cvt_i32_f32_e32 v52, v52
	v_exp_f32_e32 v33, v33
	v_ldexp_f32 v14, v14, v35
	v_cmp_ngt_f32_e32 vcc, s34, v12
	v_ldexp_f32 v15, v15, v53
	v_ldexp_f32 v53, v32, v55
	v_cndmask_b32_e32 v54, 0, v14, vcc
	v_cmp_nlt_f32_e32 vcc, s35, v12
	v_cmp_ngt_f32_e64 s[2:3], s34, v20
	v_ldexp_f32 v52, v33, v52
	v_cmp_ngt_f32_e64 s[0:1], s34, v13
	v_cndmask_b32_e64 v53, 0, v53, s[2:3]
	v_cmp_ngt_f32_e64 s[2:3], s34, v21
	v_cndmask_b32_e32 v54, v44, v54, vcc
	v_cmp_nlt_f32_e32 vcc, s35, v20
	v_cndmask_b32_e64 v55, 0, v15, s[0:1]
	v_cmp_nlt_f32_e64 s[0:1], s35, v13
	v_cndmask_b32_e64 v52, 0, v52, s[2:3]
	v_cndmask_b32_e32 v20, v44, v53, vcc
	v_cmp_nlt_f32_e32 vcc, s35, v21
	v_cndmask_b32_e64 v55, v44, v55, s[0:1]
	v_add_f32_e32 v53, 1.0, v55
	v_cndmask_b32_e32 v21, v44, v52, vcc
	v_add_f32_e32 v52, 1.0, v54
	v_add_f32_e32 v54, 1.0, v20
	;; [unrolled: 1-line block ×3, first 2 shown]
	v_rcp_f32_e32 v20, v52
	v_rcp_f32_e32 v21, v53
	;; [unrolled: 1-line block ×4, first 2 shown]
	v_cvt_f32_f16_e32 v54, v30
	v_cvt_f32_f16_sdwa v55, v30 dst_sel:DWORD dst_unused:UNUSED_PAD src0_sel:WORD_1
	buffer_load_dwordx4 v[32:35], v42, s[12:15], 32 offen
	buffer_load_dwordx4 v[12:15], v42, s[12:15], 48 offen
	v_pk_add_f32 v[46:47], v[46:47], 1.0 op_sel_hi:[1,0]
	v_pk_mul_f32 v[20:21], v[28:29], v[20:21]
	s_waitcnt vmcnt(5)
	v_pk_add_f32 v[36:37], v[36:37], v[54:55]
	v_pk_mul_f32 v[46:47], v[46:47], v[20:21]
	v_min_f32_e32 v36, 0x40e00000, v36
	v_pk_mul_f32 v[28:29], v[48:49], v[52:53]
	v_cvt_f16_f32_e32 v20, v47
	v_cvt_f16_f32_e32 v21, v46
	v_pk_add_f32 v[46:47], v[50:51], 1.0 op_sel_hi:[1,0]
	v_mul_f32_e32 v30, 0xbfd9db23, v36
	v_pk_mul_f32 v[46:47], v[46:47], v[28:29]
	v_mul_f32_e32 v28, 0x3fb8aa3b, v30
	v_fma_f32 v29, v30, s33, -v28
	v_rndne_f32_e32 v48, v28
	v_fmac_f32_e32 v29, 0x32a5705f, v30
	v_sub_f32_e32 v28, v28, v48
	v_add_f32_e32 v28, v28, v29
	v_exp_f32_e32 v49, v28
	v_cvt_i32_f32_e32 v48, v48
	v_cvt_f16_f32_e32 v29, v46
	v_cmp_ngt_f32_e32 vcc, s34, v30
	v_min_f32_e32 v37, 0x40e00000, v37
	v_ldexp_f32 v46, v49, v48
	v_cndmask_b32_e32 v46, 0, v46, vcc
	v_cmp_nlt_f32_e32 vcc, s35, v30
	v_cvt_f16_f32_e32 v28, v47
	v_cvt_f32_f16_sdwa v47, v22 dst_sel:DWORD dst_unused:UNUSED_PAD src0_sel:WORD_1
	v_cndmask_b32_e32 v30, v44, v46, vcc
	v_cvt_f32_f16_e32 v46, v22
	v_mul_f32_e32 v22, 0xbfd9db23, v37
	v_mul_f32_e32 v48, 0x3fb8aa3b, v22
	v_fma_f32 v49, v22, s33, -v48
	v_rndne_f32_e32 v50, v48
	v_fmac_f32_e32 v49, 0x32a5705f, v22
	v_sub_f32_e32 v48, v48, v50
	v_add_f32_e32 v48, v48, v49
	v_exp_f32_e32 v49, v48
	v_cvt_i32_f32_e32 v50, v50
	v_add_f32_e32 v30, 1.0, v30
	v_rcp_f32_e32 v48, v30
	v_cmp_ngt_f32_e32 vcc, s34, v22
	v_ldexp_f32 v30, v49, v50
	s_waitcnt vmcnt(2)
	v_pk_add_f32 v[24:25], v[24:25], v[46:47]
	v_cndmask_b32_e32 v30, 0, v30, vcc
	v_cmp_nlt_f32_e32 vcc, s35, v22
	v_med3_f32 v25, v25, s36, v45
	v_med3_f32 v24, v24, s36, v45
	v_cndmask_b32_e32 v22, v44, v30, vcc
	v_add_f32_e32 v22, 1.0, v22
	v_cvt_f32_f16_e32 v30, v31
	v_cvt_f32_f16_sdwa v31, v31 dst_sel:DWORD dst_unused:UNUSED_PAD src0_sel:WORD_1
	v_rcp_f32_e32 v49, v22
	v_pk_add_f32 v[24:25], v[24:25], 1.0 op_sel_hi:[1,0]
	v_add_u32_e32 v42, s30, v42
	v_pk_add_f32 v[30:31], v[38:39], v[30:31]
	v_pk_mul_f32 v[36:37], v[36:37], v[48:49]
	v_min_f32_e32 v30, 0x40e00000, v30
	v_pk_mul_f32 v[24:25], v[24:25], v[36:37]
	v_mul_f32_e32 v36, 0xbfd9db23, v30
	v_mul_f32_e32 v22, 0x3fb8aa3b, v36
	v_fma_f32 v37, v36, s33, -v22
	v_rndne_f32_e32 v38, v22
	v_fmac_f32_e32 v37, 0x32a5705f, v36
	v_sub_f32_e32 v22, v22, v38
	v_add_f32_e32 v22, v22, v37
	v_exp_f32_e32 v37, v22
	v_cvt_i32_f32_e32 v38, v38
	v_cvt_f16_f32_e32 v22, v25
	v_min_f32_e32 v31, 0x40e00000, v31
	v_cmp_ngt_f32_e32 vcc, s34, v36
	v_ldexp_f32 v25, v37, v38
	v_cvt_f32_f16_sdwa v37, v23 dst_sel:DWORD dst_unused:UNUSED_PAD src0_sel:WORD_1
	v_cndmask_b32_e32 v25, 0, v25, vcc
	v_cmp_nlt_f32_e32 vcc, s35, v36
	v_cvt_f32_f16_e32 v36, v23
	v_mul_f32_e32 v23, 0xbfd9db23, v31
	v_mul_f32_e32 v38, 0x3fb8aa3b, v23
	v_fma_f32 v39, v23, s33, -v38
	v_rndne_f32_e32 v46, v38
	v_fmac_f32_e32 v39, 0x32a5705f, v23
	v_sub_f32_e32 v38, v38, v46
	v_add_f32_e32 v38, v38, v39
	v_exp_f32_e32 v39, v38
	v_cvt_i32_f32_e32 v46, v46
	v_cndmask_b32_e32 v25, v44, v25, vcc
	v_add_f32_e32 v25, 1.0, v25
	v_rcp_f32_e32 v38, v25
	v_ldexp_f32 v25, v39, v46
	v_cmp_ngt_f32_e32 vcc, s34, v23
	v_pk_add_f32 v[26:27], v[26:27], v[36:37]
	v_cvt_f32_f16_e32 v36, v8
	v_cndmask_b32_e32 v25, 0, v25, vcc
	v_cmp_nlt_f32_e32 vcc, s35, v23
	v_cvt_f32_f16_sdwa v37, v8 dst_sel:DWORD dst_unused:UNUSED_PAD src0_sel:WORD_1
	v_med3_f32 v27, v27, s36, v45
	v_cndmask_b32_e32 v23, v44, v25, vcc
	v_add_f32_e32 v23, 1.0, v23
	v_rcp_f32_e32 v39, v23
	v_med3_f32 v26, v26, s36, v45
	v_pk_add_f32 v[26:27], v[26:27], 1.0 op_sel_hi:[1,0]
	v_pk_add_f32 v[16:17], v[16:17], v[36:37]
	v_pk_mul_f32 v[30:31], v[30:31], v[38:39]
	v_cvt_f16_f32_e32 v24, v24
	v_pk_mul_f32 v[26:27], v[26:27], v[30:31]
	v_min_f32_e32 v30, 0x40e00000, v16
	v_mul_f32_e32 v23, 0xbfd9db23, v30
	v_mul_f32_e32 v8, 0x3fb8aa3b, v23
	v_fma_f32 v16, v23, s33, -v8
	v_rndne_f32_e32 v25, v8
	v_fmac_f32_e32 v16, 0x32a5705f, v23
	v_sub_f32_e32 v8, v8, v25
	v_add_f32_e32 v8, v8, v16
	v_exp_f32_e32 v36, v8
	v_cvt_i32_f32_e32 v25, v25
	v_min_f32_e32 v31, 0x40e00000, v17
	v_cvt_f16_f32_e32 v8, v27
	v_cvt_f16_f32_e32 v16, v26
	v_ldexp_f32 v17, v36, v25
	v_cmp_ngt_f32_e32 vcc, s34, v23
	v_cvt_f32_f16_e32 v26, v0
	v_cvt_f32_f16_sdwa v27, v0 dst_sel:DWORD dst_unused:UNUSED_PAD src0_sel:WORD_1
	v_mul_f32_e32 v0, 0xbfd9db23, v31
	v_cndmask_b32_e32 v17, 0, v17, vcc
	v_cmp_nlt_f32_e32 vcc, s35, v23
	v_mul_f32_e32 v23, 0x3fb8aa3b, v0
	v_fma_f32 v25, v0, s33, -v23
	v_rndne_f32_e32 v36, v23
	v_fmac_f32_e32 v25, 0x32a5705f, v0
	v_sub_f32_e32 v23, v23, v36
	v_add_f32_e32 v23, v23, v25
	v_exp_f32_e32 v23, v23
	v_cvt_i32_f32_e32 v25, v36
	v_cndmask_b32_e32 v17, v44, v17, vcc
	s_waitcnt vmcnt(1)
	v_pk_add_f32 v[26:27], v[32:33], v[26:27]
	v_cvt_f32_f16_e32 v32, v9
	v_cvt_f32_f16_sdwa v33, v9 dst_sel:DWORD dst_unused:UNUSED_PAD src0_sel:WORD_1
	v_add_f32_e32 v17, 1.0, v17
	v_rcp_f32_e32 v36, v17
	v_ldexp_f32 v17, v23, v25
	v_cmp_ngt_f32_e32 vcc, s34, v0
	v_pk_add_f32 v[18:19], v[18:19], v[32:33]
	v_med3_f32 v27, v27, s36, v45
	v_cndmask_b32_e32 v17, 0, v17, vcc
	v_cmp_nlt_f32_e32 vcc, s35, v0
	v_min_f32_e32 v18, 0x40e00000, v18
	v_med3_f32 v26, v26, s36, v45
	v_cndmask_b32_e32 v0, v44, v17, vcc
	v_add_f32_e32 v0, 1.0, v0
	v_rcp_f32_e32 v37, v0
	v_mul_f32_e32 v0, 0xbfd9db23, v18
	v_mul_f32_e32 v9, 0x3fb8aa3b, v0
	v_fma_f32 v17, v0, s33, -v9
	v_rndne_f32_e32 v23, v9
	v_fmac_f32_e32 v17, 0x32a5705f, v0
	v_sub_f32_e32 v9, v9, v23
	v_add_f32_e32 v9, v9, v17
	v_exp_f32_e32 v9, v9
	v_cvt_i32_f32_e32 v17, v23
	v_pk_mul_f32 v[30:31], v[30:31], v[36:37]
	v_pk_add_f32 v[26:27], v[26:27], 1.0 op_sel_hi:[1,0]
	v_min_f32_e32 v19, 0x40e00000, v19
	v_pk_mul_f32 v[26:27], v[26:27], v[30:31]
	v_ldexp_f32 v9, v9, v17
	v_mul_f32_e32 v17, 0xbfd9db23, v19
	v_cvt_f16_f32_e32 v25, v26
	v_mul_f32_e32 v26, 0x3fb8aa3b, v17
	v_cvt_f16_f32_e32 v23, v27
	v_fma_f32 v27, v17, s33, -v26
	v_rndne_f32_e32 v30, v26
	v_fmac_f32_e32 v27, 0x32a5705f, v17
	v_sub_f32_e32 v26, v26, v30
	v_add_f32_e32 v26, v26, v27
	v_cmp_ngt_f32_e32 vcc, s34, v0
	v_exp_f32_e32 v27, v26
	v_cvt_i32_f32_e32 v30, v30
	v_cndmask_b32_e32 v9, 0, v9, vcc
	v_cmp_nlt_f32_e32 vcc, s35, v0
	v_cvt_f32_f16_sdwa v31, v10 dst_sel:DWORD dst_unused:UNUSED_PAD src0_sel:WORD_1
	s_nop 0
	v_cndmask_b32_e32 v0, v44, v9, vcc
	v_add_f32_e32 v9, 1.0, v0
	v_rcp_f32_e32 v26, v9
	v_ldexp_f32 v9, v27, v30
	v_cmp_ngt_f32_e32 vcc, s34, v17
	v_cvt_f32_f16_e32 v30, v10
	v_cvt_f32_f16_e32 v0, v1
	v_cndmask_b32_e32 v9, 0, v9, vcc
	v_cmp_nlt_f32_e32 vcc, s35, v17
	v_cvt_f32_f16_sdwa v1, v1 dst_sel:DWORD dst_unused:UNUSED_PAD src0_sel:WORD_1
	v_pk_add_f32 v[4:5], v[4:5], v[30:31]
	v_cndmask_b32_e32 v9, v44, v9, vcc
	v_add_f32_e32 v9, 1.0, v9
	v_rcp_f32_e32 v27, v9
	v_pk_add_f32 v[0:1], v[34:35], v[0:1]
	v_min_f32_e32 v4, 0x40e00000, v4
	v_med3_f32 v1, v1, s36, v45
	v_med3_f32 v0, v0, s36, v45
	v_mul_f32_e32 v9, 0xbfd9db23, v4
	v_pk_mul_f32 v[18:19], v[18:19], v[26:27]
	v_pk_add_f32 v[0:1], v[0:1], 1.0 op_sel_hi:[1,0]
	v_mul_f32_e32 v10, 0x3fb8aa3b, v9
	v_pk_mul_f32 v[0:1], v[0:1], v[18:19]
	v_fma_f32 v17, v9, s33, -v10
	v_rndne_f32_e32 v18, v10
	v_fmac_f32_e32 v17, 0x32a5705f, v9
	v_sub_f32_e32 v10, v10, v18
	v_add_f32_e32 v10, v10, v17
	v_exp_f32_e32 v10, v10
	v_cvt_i32_f32_e32 v17, v18
	v_cvt_f16_f32_e32 v27, v0
	v_cmp_ngt_f32_e32 vcc, s34, v9
	v_min_f32_e32 v5, 0x40e00000, v5
	v_ldexp_f32 v0, v10, v17
	v_cndmask_b32_e32 v0, 0, v0, vcc
	v_cmp_nlt_f32_e32 vcc, s35, v9
	v_cvt_f16_f32_e32 v26, v1
	v_cvt_f32_f16_sdwa v1, v2 dst_sel:DWORD dst_unused:UNUSED_PAD src0_sel:WORD_1
	v_cndmask_b32_e32 v0, v44, v0, vcc
	v_add_f32_e32 v9, 1.0, v0
	v_cvt_f32_f16_e32 v0, v2
	v_mul_f32_e32 v2, 0xbfd9db23, v5
	v_mul_f32_e32 v10, 0x3fb8aa3b, v2
	v_fma_f32 v17, v2, s33, -v10
	v_rndne_f32_e32 v18, v10
	v_fmac_f32_e32 v17, 0x32a5705f, v2
	v_sub_f32_e32 v10, v10, v18
	v_add_f32_e32 v10, v10, v17
	v_exp_f32_e32 v10, v10
	v_cvt_i32_f32_e32 v17, v18
	v_rcp_f32_e32 v18, v9
	v_cmp_ngt_f32_e32 vcc, s34, v2
	s_waitcnt vmcnt(0)
	v_pk_add_f32 v[0:1], v[12:13], v[0:1]
	v_ldexp_f32 v9, v10, v17
	v_cndmask_b32_e32 v9, 0, v9, vcc
	v_cmp_nlt_f32_e32 vcc, s35, v2
	v_cvt_f32_f16_e32 v10, v11
	v_cvt_f32_f16_sdwa v11, v11 dst_sel:DWORD dst_unused:UNUSED_PAD src0_sel:WORD_1
	v_cndmask_b32_e32 v2, v44, v9, vcc
	v_add_f32_e32 v2, 1.0, v2
	v_rcp_f32_e32 v19, v2
	v_med3_f32 v1, v1, s36, v45
	v_med3_f32 v0, v0, s36, v45
	v_pk_add_f32 v[0:1], v[0:1], 1.0 op_sel_hi:[1,0]
	v_pk_mul_f32 v[4:5], v[4:5], v[18:19]
	s_nop 0
	v_pk_mul_f32 v[0:1], v[0:1], v[4:5]
	v_pk_add_f32 v[4:5], v[6:7], v[10:11]
	v_cvt_f16_f32_e32 v10, v0
	v_min_f32_e32 v4, 0x40e00000, v4
	v_mul_f32_e32 v2, 0xbfd9db23, v4
	v_mul_f32_e32 v6, 0x3fb8aa3b, v2
	v_fma_f32 v7, v2, s33, -v6
	v_rndne_f32_e32 v9, v6
	v_fmac_f32_e32 v7, 0x32a5705f, v2
	v_sub_f32_e32 v6, v6, v9
	v_add_f32_e32 v6, v6, v7
	v_exp_f32_e32 v6, v6
	v_cvt_i32_f32_e32 v7, v9
	v_min_f32_e32 v5, 0x40e00000, v5
	v_cvt_f16_f32_e32 v9, v1
	v_cmp_ngt_f32_e32 vcc, s34, v2
	v_ldexp_f32 v0, v6, v7
	v_mul_f32_e32 v1, 0xbfd9db23, v5
	v_cndmask_b32_e32 v0, 0, v0, vcc
	v_cmp_nlt_f32_e32 vcc, s35, v2
	v_mul_f32_e32 v2, 0x3fb8aa3b, v1
	v_fma_f32 v6, v1, s33, -v2
	v_rndne_f32_e32 v7, v2
	v_fmac_f32_e32 v6, 0x32a5705f, v1
	v_sub_f32_e32 v2, v2, v7
	v_add_f32_e32 v2, v2, v6
	v_exp_f32_e32 v6, v2
	v_cvt_i32_f32_e32 v7, v7
	v_cndmask_b32_e32 v0, v44, v0, vcc
	v_cmp_ngt_f32_e32 vcc, s34, v1
	v_cvt_f32_f16_e32 v2, v3
	v_ldexp_f32 v6, v6, v7
	v_cndmask_b32_e32 v6, 0, v6, vcc
	v_cmp_nlt_f32_e32 vcc, s35, v1
	v_cvt_f32_f16_sdwa v3, v3 dst_sel:DWORD dst_unused:UNUSED_PAD src0_sel:WORD_1
	v_add_f32_e32 v0, 1.0, v0
	v_cndmask_b32_e32 v1, v44, v6, vcc
	v_add_f32_e32 v1, 1.0, v1
	v_rcp_f32_e32 v0, v0
	v_rcp_f32_e32 v1, v1
	v_pk_add_f32 v[2:3], v[14:15], v[2:3]
	v_cmp_le_i64_e32 vcc, s[24:25], v[40:41]
	v_med3_f32 v3, v3, s36, v45
	v_med3_f32 v2, v2, s36, v45
	v_pk_mul_f32 v[0:1], v[4:5], v[0:1]
	v_pk_add_f32 v[2:3], v[2:3], 1.0 op_sel_hi:[1,0]
	s_or_b64 s[28:29], vcc, s[28:29]
	v_pk_mul_f32 v[0:1], v[2:3], v[0:1]
	v_pack_b32_f16 v3, v16, v8
	v_cvt_f16_f32_e32 v4, v1
	v_cvt_f16_f32_e32 v5, v0
	v_pack_b32_f16 v1, v29, v28
	v_pack_b32_f16 v2, v24, v22
	;; [unrolled: 1-line block ×3, first 2 shown]
	buffer_store_dwordx4 v[0:3], v43, s[4:7], 0 offen
	s_nop 1
	v_pack_b32_f16 v3, v5, v4
	v_pack_b32_f16 v1, v27, v26
	;; [unrolled: 1-line block ×4, first 2 shown]
	buffer_store_dwordx4 v[0:3], v43, s[4:7], 16 offen
	v_add_u32_e32 v43, s31, v43
	s_andn2_b64 exec, exec, s[28:29]
	s_cbranch_execnz .LBB260_8
.LBB260_9:
	s_endpgm
	.section	.rodata,"a",@progbits
	.p2align	6, 0x0
	.amdhsa_kernel _ZN5aiter30swiglu_act_and_mul_bias_kernelIDF16_DF16_afLi16EEEvPT0_PKT_PKT1_PKT2_il
		.amdhsa_group_segment_fixed_size 0
		.amdhsa_private_segment_fixed_size 0
		.amdhsa_kernarg_size 304
		.amdhsa_user_sgpr_count 2
		.amdhsa_user_sgpr_dispatch_ptr 0
		.amdhsa_user_sgpr_queue_ptr 0
		.amdhsa_user_sgpr_kernarg_segment_ptr 1
		.amdhsa_user_sgpr_dispatch_id 0
		.amdhsa_user_sgpr_kernarg_preload_length 0
		.amdhsa_user_sgpr_kernarg_preload_offset 0
		.amdhsa_user_sgpr_private_segment_size 0
		.amdhsa_uses_dynamic_stack 0
		.amdhsa_enable_private_segment 0
		.amdhsa_system_sgpr_workgroup_id_x 1
		.amdhsa_system_sgpr_workgroup_id_y 0
		.amdhsa_system_sgpr_workgroup_id_z 0
		.amdhsa_system_sgpr_workgroup_info 0
		.amdhsa_system_vgpr_workitem_id 0
		.amdhsa_next_free_vgpr 56
		.amdhsa_next_free_sgpr 37
		.amdhsa_accum_offset 56
		.amdhsa_reserve_vcc 1
		.amdhsa_float_round_mode_32 0
		.amdhsa_float_round_mode_16_64 0
		.amdhsa_float_denorm_mode_32 3
		.amdhsa_float_denorm_mode_16_64 3
		.amdhsa_dx10_clamp 1
		.amdhsa_ieee_mode 1
		.amdhsa_fp16_overflow 0
		.amdhsa_tg_split 0
		.amdhsa_exception_fp_ieee_invalid_op 0
		.amdhsa_exception_fp_denorm_src 0
		.amdhsa_exception_fp_ieee_div_zero 0
		.amdhsa_exception_fp_ieee_overflow 0
		.amdhsa_exception_fp_ieee_underflow 0
		.amdhsa_exception_fp_ieee_inexact 0
		.amdhsa_exception_int_div_zero 0
	.end_amdhsa_kernel
	.section	.text._ZN5aiter30swiglu_act_and_mul_bias_kernelIDF16_DF16_afLi16EEEvPT0_PKT_PKT1_PKT2_il,"axG",@progbits,_ZN5aiter30swiglu_act_and_mul_bias_kernelIDF16_DF16_afLi16EEEvPT0_PKT_PKT1_PKT2_il,comdat
.Lfunc_end260:
	.size	_ZN5aiter30swiglu_act_and_mul_bias_kernelIDF16_DF16_afLi16EEEvPT0_PKT_PKT1_PKT2_il, .Lfunc_end260-_ZN5aiter30swiglu_act_and_mul_bias_kernelIDF16_DF16_afLi16EEEvPT0_PKT_PKT1_PKT2_il
                                        ; -- End function
	.section	.AMDGPU.csdata,"",@progbits
; Kernel info:
; codeLenInByte = 3072
; NumSgprs: 43
; NumVgprs: 56
; NumAgprs: 0
; TotalNumVgprs: 56
; ScratchSize: 0
; MemoryBound: 0
; FloatMode: 240
; IeeeMode: 1
; LDSByteSize: 0 bytes/workgroup (compile time only)
; SGPRBlocks: 5
; VGPRBlocks: 6
; NumSGPRsForWavesPerEU: 43
; NumVGPRsForWavesPerEU: 56
; AccumOffset: 56
; Occupancy: 8
; WaveLimiterHint : 0
; COMPUTE_PGM_RSRC2:SCRATCH_EN: 0
; COMPUTE_PGM_RSRC2:USER_SGPR: 2
; COMPUTE_PGM_RSRC2:TRAP_HANDLER: 0
; COMPUTE_PGM_RSRC2:TGID_X_EN: 1
; COMPUTE_PGM_RSRC2:TGID_Y_EN: 0
; COMPUTE_PGM_RSRC2:TGID_Z_EN: 0
; COMPUTE_PGM_RSRC2:TIDIG_COMP_CNT: 0
; COMPUTE_PGM_RSRC3_GFX90A:ACCUM_OFFSET: 13
; COMPUTE_PGM_RSRC3_GFX90A:TG_SPLIT: 0
	.section	.text._ZN5aiter30swiglu_act_and_mul_bias_kernelIDF16_DF16_afLi8EEEvPT0_PKT_PKT1_PKT2_il,"axG",@progbits,_ZN5aiter30swiglu_act_and_mul_bias_kernelIDF16_DF16_afLi8EEEvPT0_PKT_PKT1_PKT2_il,comdat
	.protected	_ZN5aiter30swiglu_act_and_mul_bias_kernelIDF16_DF16_afLi8EEEvPT0_PKT_PKT1_PKT2_il ; -- Begin function _ZN5aiter30swiglu_act_and_mul_bias_kernelIDF16_DF16_afLi8EEEvPT0_PKT_PKT1_PKT2_il
	.globl	_ZN5aiter30swiglu_act_and_mul_bias_kernelIDF16_DF16_afLi8EEEvPT0_PKT_PKT1_PKT2_il
	.p2align	8
	.type	_ZN5aiter30swiglu_act_and_mul_bias_kernelIDF16_DF16_afLi8EEEvPT0_PKT_PKT1_PKT2_il,@function
_ZN5aiter30swiglu_act_and_mul_bias_kernelIDF16_DF16_afLi8EEEvPT0_PKT_PKT1_PKT2_il: ; @_ZN5aiter30swiglu_act_and_mul_bias_kernelIDF16_DF16_afLi8EEEvPT0_PKT_PKT1_PKT2_il
; %bb.0:
	s_load_dwordx2 s[4:5], s[0:1], 0x10
	s_load_dword s20, s[0:1], 0x20
	s_load_dwordx2 s[6:7], s[0:1], 0x28
	v_mov_b32_e32 v1, s2
	s_mov_b32 s9, 0
	s_waitcnt lgkmcnt(0)
	global_load_ubyte v1, v1, s[4:5]
	s_add_i32 s3, s20, 1
	v_mov_b64_e32 v[2:3], s[6:7]
	s_lshr_b32 s6, s3, 31
	s_add_i32 s3, s3, s6
	s_load_dwordx2 s[4:5], s[0:1], 0x0
	s_lshl_b32 s3, s3, 1
	s_ashr_i32 s21, s20, 31
	s_and_b32 s6, s3, -4
	s_mul_hi_u32 s8, s20, s2
	s_mul_i32 s7, s21, s2
	s_mul_i32 s12, s20, s2
	s_add_i32 s13, s8, s7
	s_lshl_b64 s[12:13], s[12:13], 1
	s_mov_b64 s[10:11], -1
	v_lshlrev_b32_e32 v24, 3, v0
	s_waitcnt vmcnt(0)
	v_readfirstlane_b32 s3, v1
	s_nop 1
	v_mov_b32_e32 v4, s3
	s_sext_i32_i8 s3, s3
	v_readfirstlane_b32 s8, v4
	s_bfe_i64 s[8:9], s[8:9], 0x80000
	s_waitcnt lgkmcnt(0)
	s_add_u32 s4, s4, s12
	s_addc_u32 s5, s5, s13
	s_and_b32 s5, s5, 0xffff
	s_cmp_gt_i32 s3, -1
	v_cmp_lt_i64_e32 vcc, s[8:9], v[2:3]
	s_cselect_b64 s[12:13], -1, 0
	s_and_b64 s[12:13], s[12:13], vcc
	s_and_b64 vcc, exec, s[12:13]
	s_cbranch_vccnz .LBB261_5
; %bb.1:
	v_cmp_gt_i32_e32 vcc, s20, v24
	s_and_saveexec_b64 s[10:11], vcc
	s_cbranch_execz .LBB261_4
; %bb.2:
	s_load_dword s3, s[0:1], 0x3c
	v_mov_b32_e32 v25, 0
	s_mov_b32 s13, 0
	v_lshlrev_b32_e32 v1, 4, v0
	s_mov_b64 s[14:15], 0
	s_waitcnt lgkmcnt(0)
	s_and_b32 s3, s3, 0xffff
	s_lshl_b32 s12, s3, 3
	s_lshl_b32 s3, s3, 4
	s_mov_b32 s7, 0x20000
	v_mov_b32_e32 v2, v25
	v_mov_b32_e32 v3, v25
	v_mov_b32_e32 v4, v25
	v_mov_b32_e32 v5, v25
	v_mov_b64_e32 v[6:7], v[24:25]
.LBB261_3:                              ; =>This Inner Loop Header: Depth=1
	v_lshl_add_u64 v[6:7], s[12:13], 0, v[6:7]
	v_cmp_le_i64_e32 vcc, s[20:21], v[6:7]
	buffer_store_dwordx4 v[2:5], v1, s[4:7], 0 offen
	s_or_b64 s[14:15], vcc, s[14:15]
	v_add_u32_e32 v1, s3, v1
	s_andn2_b64 exec, exec, s[14:15]
	s_cbranch_execnz .LBB261_3
.LBB261_4:
	s_or_b64 exec, exec, s[10:11]
	s_mov_b64 s[10:11], 0
.LBB261_5:
	s_andn2_b64 vcc, exec, s[10:11]
	s_cbranch_vccnz .LBB261_9
; %bb.6:
	v_cmp_gt_i32_e32 vcc, s20, v24
	s_and_saveexec_b64 s[10:11], vcc
	s_cbranch_execz .LBB261_9
; %bb.7:
	s_load_dwordx2 s[12:13], s[0:1], 0x8
	s_load_dwordx2 s[10:11], s[0:1], 0x18
	s_mul_hi_i32 s9, s20, s8
	s_mul_i32 s8, s20, s8
	s_lshl_b64 s[8:9], s[8:9], 3
	s_load_dword s14, s[0:1], 0x3c
	s_waitcnt lgkmcnt(0)
	s_add_u32 s8, s10, s8
	s_addc_u32 s3, s11, s9
	s_lshl_b64 s[0:1], s[20:21], 2
	s_add_u32 s0, s8, s0
	s_addc_u32 s1, s3, s1
	s_and_b32 s9, s3, 0xffff
	s_mul_i32 s3, s2, s21
	s_mul_hi_u32 s15, s2, s20
	s_add_i32 s3, s15, s3
	s_mul_i32 s2, s2, s20
	s_lshl_b32 s10, s20, 2
	s_and_b32 s1, s1, 0xffff
	s_lshl_b64 s[2:3], s[2:3], 2
	s_add_u32 s12, s12, s2
	s_addc_u32 s13, s13, s3
	s_lshl_b64 s[2:3], s[20:21], 1
	s_add_u32 s16, s12, s2
	s_addc_u32 s2, s13, s3
	s_mov_b32 s7, 0x20000
	s_and_b32 s17, s2, 0xffff
	s_and_b32 s2, s14, 0xffff
	s_mov_b32 s23, 0
	s_mov_b32 s11, s7
	s_and_b32 s13, s13, 0xffff
	v_mov_b32_e32 v25, 0
	s_lshl_b32 s22, s2, 3
	v_lshlrev_b32_e32 v26, 5, v0
	s_lshl_b32 s26, s2, 5
	v_lshlrev_b32_e32 v27, 4, v0
	s_lshl_b32 s27, s2, 4
	s_mov_b64 s[24:25], 0
	s_mov_b32 s28, 0x3fb8aa3b
	s_mov_b32 s29, 0xc2ce8ed0
	;; [unrolled: 1-line block ×3, first 2 shown]
	v_mov_b32_e32 v28, 0x7f800000
	s_mov_b32 s31, 0xc0e00000
	v_mov_b32_e32 v29, 0x40e00000
	s_mov_b32 s14, s6
	s_mov_b32 s15, s7
	;; [unrolled: 1-line block ×4, first 2 shown]
.LBB261_8:                              ; =>This Inner Loop Header: Depth=1
	buffer_load_dwordx4 v[8:11], v27, s[12:15], 0 offen
	buffer_load_dwordx4 v[0:3], v27, s[16:19], 0 offen
	s_mov_b32 s2, s10
	s_mov_b32 s3, s11
	buffer_load_dwordx4 v[16:19], v26, s[8:11], 0 offen
	buffer_load_dwordx4 v[20:23], v26, s[0:3], 0 offen
	;; [unrolled: 1-line block ×4, first 2 shown]
	v_lshl_add_u64 v[24:25], s[22:23], 0, v[24:25]
	v_add_u32_e32 v26, s26, v26
	s_waitcnt vmcnt(5)
	v_cvt_f32_f16_e32 v30, v8
	v_cvt_f32_f16_sdwa v31, v8 dst_sel:DWORD dst_unused:UNUSED_PAD src0_sel:WORD_1
	s_waitcnt vmcnt(4)
	v_cvt_f32_f16_e32 v32, v0
	v_cvt_f32_f16_sdwa v33, v0 dst_sel:DWORD dst_unused:UNUSED_PAD src0_sel:WORD_1
	v_cvt_f32_f16_e32 v0, v1
	v_cvt_f32_f16_sdwa v1, v1 dst_sel:DWORD dst_unused:UNUSED_PAD src0_sel:WORD_1
	v_cvt_f32_f16_e32 v8, v9
	v_cvt_f32_f16_sdwa v9, v9 dst_sel:DWORD dst_unused:UNUSED_PAD src0_sel:WORD_1
	v_cvt_f32_f16_e32 v34, v10
	v_cvt_f32_f16_sdwa v35, v10 dst_sel:DWORD dst_unused:UNUSED_PAD src0_sel:WORD_1
	s_waitcnt vmcnt(3)
	v_pk_add_f32 v[16:17], v[16:17], v[30:31]
	s_waitcnt vmcnt(2)
	v_pk_add_f32 v[20:21], v[20:21], v[32:33]
	v_pk_add_f32 v[0:1], v[22:23], v[0:1]
	v_min_f32_e32 v16, 0x40e00000, v16
	v_pk_add_f32 v[8:9], v[18:19], v[8:9]
	v_min_f32_e32 v17, 0x40e00000, v17
	v_med3_f32 v19, v21, s31, v29
	v_med3_f32 v21, v1, s31, v29
	v_mul_f32_e32 v1, 0xbfd9db23, v16
	s_waitcnt vmcnt(1)
	v_pk_add_f32 v[12:13], v[12:13], v[34:35]
	v_min_f32_e32 v8, 0x40e00000, v8
	v_mul_f32_e32 v10, 0xbfd9db23, v17
	v_mul_f32_e32 v23, 0x3fb8aa3b, v1
	v_med3_f32 v18, v20, s31, v29
	v_min_f32_e32 v9, 0x40e00000, v9
	v_med3_f32 v20, v0, s31, v29
	v_min_f32_e32 v0, 0x40e00000, v12
	v_mul_f32_e32 v12, 0xbfd9db23, v8
	v_mul_f32_e32 v30, 0x3fb8aa3b, v10
	v_fma_f32 v34, v1, s28, -v23
	v_rndne_f32_e32 v35, v23
	v_mul_f32_e32 v22, 0xbfd9db23, v9
	v_mul_f32_e32 v31, 0x3fb8aa3b, v12
	v_fma_f32 v36, v10, s28, -v30
	v_rndne_f32_e32 v37, v30
	v_fmac_f32_e32 v34, 0x32a5705f, v1
	v_sub_f32_e32 v23, v23, v35
	v_mul_f32_e32 v33, 0x3fb8aa3b, v22
	v_fma_f32 v38, v12, s28, -v31
	v_rndne_f32_e32 v39, v31
	v_fmac_f32_e32 v36, 0x32a5705f, v10
	v_sub_f32_e32 v30, v30, v37
	v_add_f32_e32 v23, v23, v34
	v_fma_f32 v40, v22, s28, -v33
	v_rndne_f32_e32 v41, v33
	v_cvt_i32_f32_e32 v35, v35
	v_fmac_f32_e32 v38, 0x32a5705f, v12
	v_sub_f32_e32 v31, v31, v39
	v_add_f32_e32 v30, v30, v36
	v_exp_f32_e32 v23, v23
	v_cvt_i32_f32_e32 v37, v37
	v_fmac_f32_e32 v40, 0x32a5705f, v22
	v_sub_f32_e32 v33, v33, v41
	v_add_f32_e32 v31, v31, v38
	v_exp_f32_e32 v30, v30
	v_cvt_i32_f32_e32 v39, v39
	v_add_f32_e32 v33, v33, v40
	v_exp_f32_e32 v31, v31
	v_cvt_i32_f32_e32 v41, v41
	v_exp_f32_e32 v33, v33
	v_ldexp_f32 v23, v23, v35
	v_cmp_ngt_f32_e32 vcc, s29, v1
	v_ldexp_f32 v30, v30, v37
	v_ldexp_f32 v31, v31, v39
	v_cndmask_b32_e32 v23, 0, v23, vcc
	v_cmp_ngt_f32_e32 vcc, s29, v10
	v_ldexp_f32 v33, v33, v41
	v_mul_f32_e32 v32, 0xbfd9db23, v0
	v_cndmask_b32_e32 v30, 0, v30, vcc
	v_cmp_ngt_f32_e32 vcc, s29, v12
	v_pk_add_f32 v[18:19], v[18:19], 1.0 op_sel_hi:[1,0]
	v_pk_add_f32 v[20:21], v[20:21], 1.0 op_sel_hi:[1,0]
	v_cndmask_b32_e32 v31, 0, v31, vcc
	v_cmp_ngt_f32_e32 vcc, s29, v22
	s_nop 1
	v_cndmask_b32_e32 v33, 0, v33, vcc
	v_cmp_nlt_f32_e32 vcc, s30, v1
	s_nop 1
	v_cndmask_b32_e32 v1, v28, v23, vcc
	v_cmp_nlt_f32_e32 vcc, s30, v10
	v_add_f32_e32 v1, 1.0, v1
	s_nop 0
	v_cndmask_b32_e32 v10, v28, v30, vcc
	v_cmp_nlt_f32_e32 vcc, s30, v12
	v_add_f32_e32 v10, 1.0, v10
	v_rcp_f32_e32 v23, v10
	v_cndmask_b32_e32 v12, v28, v31, vcc
	v_cmp_nlt_f32_e32 vcc, s30, v22
	v_add_f32_e32 v12, 1.0, v12
	v_rcp_f32_e32 v30, v12
	v_cndmask_b32_e32 v22, v28, v33, vcc
	v_add_f32_e32 v31, 1.0, v22
	v_rcp_f32_e32 v22, v1
	v_mul_f32_e32 v1, 0x3fb8aa3b, v32
	v_fma_f32 v10, v32, s28, -v1
	v_rndne_f32_e32 v12, v1
	v_fmac_f32_e32 v10, 0x32a5705f, v32
	v_sub_f32_e32 v1, v1, v12
	v_rcp_f32_e32 v31, v31
	v_add_f32_e32 v1, v1, v10
	v_exp_f32_e32 v10, v1
	v_cvt_i32_f32_e32 v12, v12
	v_pk_mul_f32 v[16:17], v[16:17], v[22:23]
	v_pk_mul_f32 v[22:23], v[8:9], v[30:31]
	v_min_f32_e32 v1, 0x40e00000, v13
	v_pk_mul_f32 v[8:9], v[18:19], v[16:17]
	v_pk_mul_f32 v[16:17], v[20:21], v[22:23]
	v_ldexp_f32 v10, v10, v12
	v_cvt_f32_f16_e32 v12, v2
	v_cvt_f32_f16_sdwa v13, v2 dst_sel:DWORD dst_unused:UNUSED_PAD src0_sel:WORD_1
	v_mul_f32_e32 v2, 0xbfd9db23, v1
	v_cvt_f16_f32_e32 v19, v16
	v_mul_f32_e32 v16, 0x3fb8aa3b, v2
	v_cvt_f16_f32_e32 v18, v17
	v_fma_f32 v17, v2, s28, -v16
	v_rndne_f32_e32 v20, v16
	v_fmac_f32_e32 v17, 0x32a5705f, v2
	v_sub_f32_e32 v16, v16, v20
	v_add_f32_e32 v16, v16, v17
	v_cmp_ngt_f32_e32 vcc, s29, v32
	v_exp_f32_e32 v17, v16
	v_cvt_i32_f32_e32 v20, v20
	v_cndmask_b32_e32 v10, 0, v10, vcc
	v_cmp_nlt_f32_e32 vcc, s30, v32
	s_waitcnt vmcnt(0)
	v_pk_add_f32 v[4:5], v[4:5], v[12:13]
	v_cvt_f16_f32_e32 v9, v9
	v_cndmask_b32_e32 v10, v28, v10, vcc
	v_add_f32_e32 v10, 1.0, v10
	v_rcp_f32_e32 v16, v10
	v_ldexp_f32 v10, v17, v20
	v_cmp_ngt_f32_e32 vcc, s29, v2
	v_med3_f32 v5, v5, s31, v29
	v_med3_f32 v4, v4, s31, v29
	v_cndmask_b32_e32 v10, 0, v10, vcc
	v_cmp_nlt_f32_e32 vcc, s30, v2
	v_pk_add_f32 v[4:5], v[4:5], 1.0 op_sel_hi:[1,0]
	s_nop 0
	v_cndmask_b32_e32 v2, v28, v10, vcc
	v_cvt_f32_f16_e32 v10, v11
	v_cvt_f32_f16_sdwa v11, v11 dst_sel:DWORD dst_unused:UNUSED_PAD src0_sel:WORD_1
	v_add_f32_e32 v2, 1.0, v2
	v_rcp_f32_e32 v17, v2
	v_pk_add_f32 v[10:11], v[14:15], v[10:11]
	s_nop 0
	v_min_f32_e32 v10, 0x40e00000, v10
	v_mul_f32_e32 v2, 0xbfd9db23, v10
	v_mul_f32_e32 v12, 0x3fb8aa3b, v2
	v_fma_f32 v13, v2, s28, -v12
	v_rndne_f32_e32 v14, v12
	v_fmac_f32_e32 v13, 0x32a5705f, v2
	v_sub_f32_e32 v12, v12, v14
	v_add_f32_e32 v12, v12, v13
	v_exp_f32_e32 v12, v12
	v_cvt_i32_f32_e32 v13, v14
	v_pk_mul_f32 v[0:1], v[0:1], v[16:17]
	v_min_f32_e32 v11, 0x40e00000, v11
	v_pk_mul_f32 v[0:1], v[4:5], v[0:1]
	v_ldexp_f32 v4, v12, v13
	v_cmp_ngt_f32_e32 vcc, s29, v2
	v_mul_f32_e32 v12, 0xbfd9db23, v11
	v_cvt_f16_f32_e32 v0, v0
	v_cndmask_b32_e32 v4, 0, v4, vcc
	v_cmp_nlt_f32_e32 vcc, s30, v2
	s_nop 1
	v_cndmask_b32_e32 v2, v28, v4, vcc
	v_mul_f32_e32 v4, 0x3fb8aa3b, v12
	v_fma_f32 v5, v12, s28, -v4
	v_rndne_f32_e32 v13, v4
	v_fmac_f32_e32 v5, 0x32a5705f, v12
	v_sub_f32_e32 v4, v4, v13
	v_add_f32_e32 v4, v4, v5
	v_exp_f32_e32 v14, v4
	v_cvt_i32_f32_e32 v13, v13
	v_cvt_f32_f16_e32 v4, v3
	v_cvt_f32_f16_sdwa v5, v3 dst_sel:DWORD dst_unused:UNUSED_PAD src0_sel:WORD_1
	v_cmp_ngt_f32_e32 vcc, s29, v12
	v_ldexp_f32 v3, v14, v13
	v_add_f32_e32 v2, 1.0, v2
	v_cndmask_b32_e32 v3, 0, v3, vcc
	v_cmp_nlt_f32_e32 vcc, s30, v12
	v_rcp_f32_e32 v2, v2
	v_pk_add_f32 v[4:5], v[6:7], v[4:5]
	v_cndmask_b32_e32 v3, v28, v3, vcc
	v_add_f32_e32 v3, 1.0, v3
	v_rcp_f32_e32 v3, v3
	v_med3_f32 v5, v5, s31, v29
	v_med3_f32 v4, v4, s31, v29
	v_pk_add_f32 v[4:5], v[4:5], 1.0 op_sel_hi:[1,0]
	v_pk_mul_f32 v[2:3], v[10:11], v[2:3]
	v_cmp_le_i64_e32 vcc, s[20:21], v[24:25]
	v_pk_mul_f32 v[2:3], v[4:5], v[2:3]
	v_cvt_f16_f32_e32 v4, v1
	v_cvt_f16_f32_e32 v3, v3
	;; [unrolled: 1-line block ×4, first 2 shown]
	v_pack_b32_f16 v1, v19, v18
	s_or_b64 s[24:25], vcc, s[24:25]
	v_pack_b32_f16 v3, v2, v3
	v_pack_b32_f16 v2, v0, v4
	;; [unrolled: 1-line block ×3, first 2 shown]
	buffer_store_dwordx4 v[0:3], v27, s[4:7], 0 offen
	v_add_u32_e32 v27, s27, v27
	s_andn2_b64 exec, exec, s[24:25]
	s_cbranch_execnz .LBB261_8
.LBB261_9:
	s_endpgm
	.section	.rodata,"a",@progbits
	.p2align	6, 0x0
	.amdhsa_kernel _ZN5aiter30swiglu_act_and_mul_bias_kernelIDF16_DF16_afLi8EEEvPT0_PKT_PKT1_PKT2_il
		.amdhsa_group_segment_fixed_size 0
		.amdhsa_private_segment_fixed_size 0
		.amdhsa_kernarg_size 304
		.amdhsa_user_sgpr_count 2
		.amdhsa_user_sgpr_dispatch_ptr 0
		.amdhsa_user_sgpr_queue_ptr 0
		.amdhsa_user_sgpr_kernarg_segment_ptr 1
		.amdhsa_user_sgpr_dispatch_id 0
		.amdhsa_user_sgpr_kernarg_preload_length 0
		.amdhsa_user_sgpr_kernarg_preload_offset 0
		.amdhsa_user_sgpr_private_segment_size 0
		.amdhsa_uses_dynamic_stack 0
		.amdhsa_enable_private_segment 0
		.amdhsa_system_sgpr_workgroup_id_x 1
		.amdhsa_system_sgpr_workgroup_id_y 0
		.amdhsa_system_sgpr_workgroup_id_z 0
		.amdhsa_system_sgpr_workgroup_info 0
		.amdhsa_system_vgpr_workitem_id 0
		.amdhsa_next_free_vgpr 42
		.amdhsa_next_free_sgpr 32
		.amdhsa_accum_offset 44
		.amdhsa_reserve_vcc 1
		.amdhsa_float_round_mode_32 0
		.amdhsa_float_round_mode_16_64 0
		.amdhsa_float_denorm_mode_32 3
		.amdhsa_float_denorm_mode_16_64 3
		.amdhsa_dx10_clamp 1
		.amdhsa_ieee_mode 1
		.amdhsa_fp16_overflow 0
		.amdhsa_tg_split 0
		.amdhsa_exception_fp_ieee_invalid_op 0
		.amdhsa_exception_fp_denorm_src 0
		.amdhsa_exception_fp_ieee_div_zero 0
		.amdhsa_exception_fp_ieee_overflow 0
		.amdhsa_exception_fp_ieee_underflow 0
		.amdhsa_exception_fp_ieee_inexact 0
		.amdhsa_exception_int_div_zero 0
	.end_amdhsa_kernel
	.section	.text._ZN5aiter30swiglu_act_and_mul_bias_kernelIDF16_DF16_afLi8EEEvPT0_PKT_PKT1_PKT2_il,"axG",@progbits,_ZN5aiter30swiglu_act_and_mul_bias_kernelIDF16_DF16_afLi8EEEvPT0_PKT_PKT1_PKT2_il,comdat
.Lfunc_end261:
	.size	_ZN5aiter30swiglu_act_and_mul_bias_kernelIDF16_DF16_afLi8EEEvPT0_PKT_PKT1_PKT2_il, .Lfunc_end261-_ZN5aiter30swiglu_act_and_mul_bias_kernelIDF16_DF16_afLi8EEEvPT0_PKT_PKT1_PKT2_il
                                        ; -- End function
	.section	.AMDGPU.csdata,"",@progbits
; Kernel info:
; codeLenInByte = 1852
; NumSgprs: 38
; NumVgprs: 42
; NumAgprs: 0
; TotalNumVgprs: 42
; ScratchSize: 0
; MemoryBound: 0
; FloatMode: 240
; IeeeMode: 1
; LDSByteSize: 0 bytes/workgroup (compile time only)
; SGPRBlocks: 4
; VGPRBlocks: 5
; NumSGPRsForWavesPerEU: 38
; NumVGPRsForWavesPerEU: 42
; AccumOffset: 44
; Occupancy: 8
; WaveLimiterHint : 0
; COMPUTE_PGM_RSRC2:SCRATCH_EN: 0
; COMPUTE_PGM_RSRC2:USER_SGPR: 2
; COMPUTE_PGM_RSRC2:TRAP_HANDLER: 0
; COMPUTE_PGM_RSRC2:TGID_X_EN: 1
; COMPUTE_PGM_RSRC2:TGID_Y_EN: 0
; COMPUTE_PGM_RSRC2:TGID_Z_EN: 0
; COMPUTE_PGM_RSRC2:TIDIG_COMP_CNT: 0
; COMPUTE_PGM_RSRC3_GFX90A:ACCUM_OFFSET: 10
; COMPUTE_PGM_RSRC3_GFX90A:TG_SPLIT: 0
	.section	.text._ZN5aiter30swiglu_act_and_mul_bias_kernelIDF16_DF16_afLi4EEEvPT0_PKT_PKT1_PKT2_il,"axG",@progbits,_ZN5aiter30swiglu_act_and_mul_bias_kernelIDF16_DF16_afLi4EEEvPT0_PKT_PKT1_PKT2_il,comdat
	.protected	_ZN5aiter30swiglu_act_and_mul_bias_kernelIDF16_DF16_afLi4EEEvPT0_PKT_PKT1_PKT2_il ; -- Begin function _ZN5aiter30swiglu_act_and_mul_bias_kernelIDF16_DF16_afLi4EEEvPT0_PKT_PKT1_PKT2_il
	.globl	_ZN5aiter30swiglu_act_and_mul_bias_kernelIDF16_DF16_afLi4EEEvPT0_PKT_PKT1_PKT2_il
	.p2align	8
	.type	_ZN5aiter30swiglu_act_and_mul_bias_kernelIDF16_DF16_afLi4EEEvPT0_PKT_PKT1_PKT2_il,@function
_ZN5aiter30swiglu_act_and_mul_bias_kernelIDF16_DF16_afLi4EEEvPT0_PKT_PKT1_PKT2_il: ; @_ZN5aiter30swiglu_act_and_mul_bias_kernelIDF16_DF16_afLi4EEEvPT0_PKT_PKT1_PKT2_il
; %bb.0:
	s_load_dwordx2 s[4:5], s[0:1], 0x10
	s_load_dword s20, s[0:1], 0x20
	s_load_dwordx2 s[6:7], s[0:1], 0x28
	v_mov_b32_e32 v1, s2
	s_mov_b32 s9, 0
	s_waitcnt lgkmcnt(0)
	global_load_ubyte v1, v1, s[4:5]
	s_add_i32 s3, s20, 1
	v_mov_b64_e32 v[2:3], s[6:7]
	s_lshr_b32 s6, s3, 31
	s_add_i32 s3, s3, s6
	s_load_dwordx2 s[4:5], s[0:1], 0x0
	s_lshl_b32 s3, s3, 1
	s_ashr_i32 s21, s20, 31
	s_and_b32 s6, s3, -4
	s_mul_hi_u32 s8, s20, s2
	s_mul_i32 s7, s21, s2
	s_mul_i32 s12, s20, s2
	s_add_i32 s13, s8, s7
	s_lshl_b64 s[12:13], s[12:13], 1
	s_mov_b64 s[10:11], -1
	v_lshlrev_b32_e32 v8, 2, v0
	s_waitcnt vmcnt(0)
	v_readfirstlane_b32 s3, v1
	s_nop 1
	v_mov_b32_e32 v4, s3
	s_sext_i32_i8 s3, s3
	v_readfirstlane_b32 s8, v4
	s_bfe_i64 s[8:9], s[8:9], 0x80000
	s_waitcnt lgkmcnt(0)
	s_add_u32 s4, s4, s12
	s_addc_u32 s5, s5, s13
	s_and_b32 s5, s5, 0xffff
	s_cmp_gt_i32 s3, -1
	v_cmp_lt_i64_e32 vcc, s[8:9], v[2:3]
	s_cselect_b64 s[12:13], -1, 0
	s_and_b64 s[12:13], s[12:13], vcc
	s_and_b64 vcc, exec, s[12:13]
	s_cbranch_vccnz .LBB262_5
; %bb.1:
	v_cmp_gt_i32_e32 vcc, s20, v8
	s_and_saveexec_b64 s[10:11], vcc
	s_cbranch_execz .LBB262_4
; %bb.2:
	s_load_dword s3, s[0:1], 0x3c
	v_mov_b32_e32 v9, 0
	s_mov_b32 s13, 0
	v_lshlrev_b32_e32 v1, 3, v0
	s_mov_b64 s[14:15], 0
	s_waitcnt lgkmcnt(0)
	s_and_b32 s3, s3, 0xffff
	s_lshl_b32 s12, s3, 2
	s_lshl_b32 s3, s3, 3
	s_mov_b32 s7, 0x20000
	v_mov_b32_e32 v2, v9
	v_mov_b32_e32 v3, v9
	v_mov_b64_e32 v[4:5], v[8:9]
.LBB262_3:                              ; =>This Inner Loop Header: Depth=1
	v_lshl_add_u64 v[4:5], s[12:13], 0, v[4:5]
	v_cmp_le_i64_e32 vcc, s[20:21], v[4:5]
	buffer_store_dwordx2 v[2:3], v1, s[4:7], 0 offen
	s_or_b64 s[14:15], vcc, s[14:15]
	v_add_u32_e32 v1, s3, v1
	s_andn2_b64 exec, exec, s[14:15]
	s_cbranch_execnz .LBB262_3
.LBB262_4:
	s_or_b64 exec, exec, s[10:11]
	s_mov_b64 s[10:11], 0
.LBB262_5:
	s_andn2_b64 vcc, exec, s[10:11]
	s_cbranch_vccnz .LBB262_9
; %bb.6:
	v_cmp_gt_i32_e32 vcc, s20, v8
	s_and_saveexec_b64 s[10:11], vcc
	s_cbranch_execz .LBB262_9
; %bb.7:
	s_load_dwordx2 s[12:13], s[0:1], 0x8
	s_load_dwordx2 s[10:11], s[0:1], 0x18
	s_mul_hi_i32 s9, s20, s8
	s_mul_i32 s8, s20, s8
	s_lshl_b64 s[8:9], s[8:9], 3
	s_load_dword s14, s[0:1], 0x3c
	s_waitcnt lgkmcnt(0)
	s_add_u32 s8, s10, s8
	s_addc_u32 s3, s11, s9
	s_lshl_b64 s[0:1], s[20:21], 2
	s_add_u32 s0, s8, s0
	s_addc_u32 s1, s3, s1
	s_and_b32 s9, s3, 0xffff
	s_mul_i32 s3, s2, s21
	s_mul_hi_u32 s15, s2, s20
	s_add_i32 s3, s15, s3
	s_mul_i32 s2, s2, s20
	s_lshl_b32 s10, s20, 2
	s_and_b32 s1, s1, 0xffff
	s_lshl_b64 s[2:3], s[2:3], 2
	s_add_u32 s12, s12, s2
	s_addc_u32 s13, s13, s3
	s_lshl_b64 s[2:3], s[20:21], 1
	s_add_u32 s16, s12, s2
	s_addc_u32 s2, s13, s3
	s_mov_b32 s7, 0x20000
	s_and_b32 s17, s2, 0xffff
	s_and_b32 s2, s14, 0xffff
	s_mov_b32 s23, 0
	s_mov_b32 s11, s7
	s_and_b32 s13, s13, 0xffff
	v_mov_b32_e32 v9, 0
	s_lshl_b32 s22, s2, 2
	v_lshlrev_b32_e32 v14, 4, v0
	s_lshl_b32 s26, s2, 4
	v_lshlrev_b32_e32 v15, 3, v0
	s_lshl_b32 s27, s2, 3
	s_mov_b64 s[24:25], 0
	s_mov_b32 s28, 0x3fb8aa3b
	s_mov_b32 s29, 0xc2ce8ed0
	s_mov_b32 s30, 0x42b17218
	v_mov_b32_e32 v16, 0x7f800000
	s_mov_b32 s31, 0xc0e00000
	v_mov_b32_e32 v17, 0x40e00000
	s_mov_b32 s14, s6
	s_mov_b32 s15, s7
	;; [unrolled: 1-line block ×4, first 2 shown]
.LBB262_8:                              ; =>This Inner Loop Header: Depth=1
	buffer_load_dwordx2 v[12:13], v15, s[12:15], 0 offen
	buffer_load_dwordx2 v[10:11], v15, s[16:19], 0 offen
	s_mov_b32 s2, s10
	s_mov_b32 s3, s11
	buffer_load_dwordx4 v[0:3], v14, s[8:11], 0 offen
	buffer_load_dwordx4 v[4:7], v14, s[0:3], 0 offen
	v_lshl_add_u64 v[8:9], s[22:23], 0, v[8:9]
	v_add_u32_e32 v14, s26, v14
	s_waitcnt vmcnt(3)
	v_cvt_f32_f16_e32 v18, v12
	v_cvt_f32_f16_sdwa v19, v12 dst_sel:DWORD dst_unused:UNUSED_PAD src0_sel:WORD_1
	s_waitcnt vmcnt(2)
	v_cvt_f32_f16_e32 v20, v10
	v_cvt_f32_f16_sdwa v21, v10 dst_sel:DWORD dst_unused:UNUSED_PAD src0_sel:WORD_1
	v_cvt_f32_f16_e32 v12, v13
	v_cvt_f32_f16_sdwa v13, v13 dst_sel:DWORD dst_unused:UNUSED_PAD src0_sel:WORD_1
	;; [unrolled: 2-line block ×3, first 2 shown]
	s_waitcnt vmcnt(1)
	v_pk_add_f32 v[0:1], v[0:1], v[18:19]
	v_pk_add_f32 v[2:3], v[2:3], v[12:13]
	v_min_f32_e32 v0, 0x40e00000, v0
	s_waitcnt vmcnt(0)
	v_pk_add_f32 v[6:7], v[6:7], v[10:11]
	v_min_f32_e32 v1, 0x40e00000, v1
	v_mul_f32_e32 v10, 0xbfd9db23, v0
	v_min_f32_e32 v2, 0x40e00000, v2
	v_mul_f32_e32 v11, 0xbfd9db23, v1
	v_mul_f32_e32 v18, 0x3fb8aa3b, v10
	v_min_f32_e32 v3, 0x40e00000, v3
	v_mul_f32_e32 v12, 0xbfd9db23, v2
	v_mul_f32_e32 v19, 0x3fb8aa3b, v11
	v_fma_f32 v22, v10, s28, -v18
	v_rndne_f32_e32 v23, v18
	v_pk_add_f32 v[4:5], v[4:5], v[20:21]
	v_mul_f32_e32 v13, 0xbfd9db23, v3
	v_mul_f32_e32 v20, 0x3fb8aa3b, v12
	v_fma_f32 v24, v11, s28, -v19
	v_rndne_f32_e32 v25, v19
	v_fmac_f32_e32 v22, 0x32a5705f, v10
	v_sub_f32_e32 v18, v18, v23
	v_mul_f32_e32 v21, 0x3fb8aa3b, v13
	v_fma_f32 v26, v12, s28, -v20
	v_rndne_f32_e32 v27, v20
	v_fmac_f32_e32 v24, 0x32a5705f, v11
	v_sub_f32_e32 v19, v19, v25
	v_add_f32_e32 v18, v18, v22
	v_fma_f32 v28, v13, s28, -v21
	v_rndne_f32_e32 v29, v21
	v_cvt_i32_f32_e32 v23, v23
	v_fmac_f32_e32 v26, 0x32a5705f, v12
	v_sub_f32_e32 v20, v20, v27
	v_add_f32_e32 v19, v19, v24
	v_exp_f32_e32 v18, v18
	v_cvt_i32_f32_e32 v25, v25
	v_fmac_f32_e32 v28, 0x32a5705f, v13
	v_sub_f32_e32 v21, v21, v29
	v_add_f32_e32 v20, v20, v26
	v_exp_f32_e32 v19, v19
	v_cvt_i32_f32_e32 v27, v27
	v_add_f32_e32 v21, v21, v28
	v_exp_f32_e32 v20, v20
	v_cvt_i32_f32_e32 v29, v29
	v_exp_f32_e32 v21, v21
	v_ldexp_f32 v18, v18, v23
	v_cmp_ngt_f32_e32 vcc, s29, v10
	v_ldexp_f32 v19, v19, v25
	v_ldexp_f32 v20, v20, v27
	v_cndmask_b32_e32 v18, 0, v18, vcc
	v_cmp_ngt_f32_e32 vcc, s29, v11
	v_ldexp_f32 v21, v21, v29
	v_med3_f32 v5, v5, s31, v17
	v_cndmask_b32_e32 v19, 0, v19, vcc
	v_cmp_ngt_f32_e32 vcc, s29, v12
	v_med3_f32 v4, v4, s31, v17
	v_med3_f32 v7, v7, s31, v17
	v_cndmask_b32_e32 v20, 0, v20, vcc
	v_cmp_ngt_f32_e32 vcc, s29, v13
	v_med3_f32 v6, v6, s31, v17
	v_pk_add_f32 v[4:5], v[4:5], 1.0 op_sel_hi:[1,0]
	v_cndmask_b32_e32 v21, 0, v21, vcc
	v_cmp_nlt_f32_e32 vcc, s30, v10
	v_pk_add_f32 v[6:7], v[6:7], 1.0 op_sel_hi:[1,0]
	s_nop 0
	v_cndmask_b32_e32 v10, v16, v18, vcc
	v_cmp_nlt_f32_e32 vcc, s30, v11
	v_add_f32_e32 v10, 1.0, v10
	v_rcp_f32_e32 v10, v10
	v_cndmask_b32_e32 v11, v16, v19, vcc
	v_cmp_nlt_f32_e32 vcc, s30, v12
	v_add_f32_e32 v11, 1.0, v11
	v_rcp_f32_e32 v11, v11
	;; [unrolled: 4-line block ×3, first 2 shown]
	v_cndmask_b32_e32 v13, v16, v21, vcc
	v_add_f32_e32 v13, 1.0, v13
	v_rcp_f32_e32 v13, v13
	v_pk_mul_f32 v[0:1], v[0:1], v[10:11]
	v_cmp_le_i64_e32 vcc, s[20:21], v[8:9]
	v_pk_mul_f32 v[0:1], v[4:5], v[0:1]
	v_pk_mul_f32 v[2:3], v[2:3], v[12:13]
	v_cvt_f16_f32_e32 v4, v1
	v_pk_mul_f32 v[2:3], v[6:7], v[2:3]
	v_cvt_f16_f32_e32 v0, v0
	v_cvt_f16_f32_e32 v1, v3
	;; [unrolled: 1-line block ×3, first 2 shown]
	s_or_b64 s[24:25], vcc, s[24:25]
	v_pack_b32_f16 v0, v0, v4
	v_pack_b32_f16 v1, v2, v1
	buffer_store_dwordx2 v[0:1], v15, s[4:7], 0 offen
	v_add_u32_e32 v15, s27, v15
	s_andn2_b64 exec, exec, s[24:25]
	s_cbranch_execnz .LBB262_8
.LBB262_9:
	s_endpgm
	.section	.rodata,"a",@progbits
	.p2align	6, 0x0
	.amdhsa_kernel _ZN5aiter30swiglu_act_and_mul_bias_kernelIDF16_DF16_afLi4EEEvPT0_PKT_PKT1_PKT2_il
		.amdhsa_group_segment_fixed_size 0
		.amdhsa_private_segment_fixed_size 0
		.amdhsa_kernarg_size 304
		.amdhsa_user_sgpr_count 2
		.amdhsa_user_sgpr_dispatch_ptr 0
		.amdhsa_user_sgpr_queue_ptr 0
		.amdhsa_user_sgpr_kernarg_segment_ptr 1
		.amdhsa_user_sgpr_dispatch_id 0
		.amdhsa_user_sgpr_kernarg_preload_length 0
		.amdhsa_user_sgpr_kernarg_preload_offset 0
		.amdhsa_user_sgpr_private_segment_size 0
		.amdhsa_uses_dynamic_stack 0
		.amdhsa_enable_private_segment 0
		.amdhsa_system_sgpr_workgroup_id_x 1
		.amdhsa_system_sgpr_workgroup_id_y 0
		.amdhsa_system_sgpr_workgroup_id_z 0
		.amdhsa_system_sgpr_workgroup_info 0
		.amdhsa_system_vgpr_workitem_id 0
		.amdhsa_next_free_vgpr 30
		.amdhsa_next_free_sgpr 32
		.amdhsa_accum_offset 32
		.amdhsa_reserve_vcc 1
		.amdhsa_float_round_mode_32 0
		.amdhsa_float_round_mode_16_64 0
		.amdhsa_float_denorm_mode_32 3
		.amdhsa_float_denorm_mode_16_64 3
		.amdhsa_dx10_clamp 1
		.amdhsa_ieee_mode 1
		.amdhsa_fp16_overflow 0
		.amdhsa_tg_split 0
		.amdhsa_exception_fp_ieee_invalid_op 0
		.amdhsa_exception_fp_denorm_src 0
		.amdhsa_exception_fp_ieee_div_zero 0
		.amdhsa_exception_fp_ieee_overflow 0
		.amdhsa_exception_fp_ieee_underflow 0
		.amdhsa_exception_fp_ieee_inexact 0
		.amdhsa_exception_int_div_zero 0
	.end_amdhsa_kernel
	.section	.text._ZN5aiter30swiglu_act_and_mul_bias_kernelIDF16_DF16_afLi4EEEvPT0_PKT_PKT1_PKT2_il,"axG",@progbits,_ZN5aiter30swiglu_act_and_mul_bias_kernelIDF16_DF16_afLi4EEEvPT0_PKT_PKT1_PKT2_il,comdat
.Lfunc_end262:
	.size	_ZN5aiter30swiglu_act_and_mul_bias_kernelIDF16_DF16_afLi4EEEvPT0_PKT_PKT1_PKT2_il, .Lfunc_end262-_ZN5aiter30swiglu_act_and_mul_bias_kernelIDF16_DF16_afLi4EEEvPT0_PKT_PKT1_PKT2_il
                                        ; -- End function
	.section	.AMDGPU.csdata,"",@progbits
; Kernel info:
; codeLenInByte = 1240
; NumSgprs: 38
; NumVgprs: 30
; NumAgprs: 0
; TotalNumVgprs: 30
; ScratchSize: 0
; MemoryBound: 0
; FloatMode: 240
; IeeeMode: 1
; LDSByteSize: 0 bytes/workgroup (compile time only)
; SGPRBlocks: 4
; VGPRBlocks: 3
; NumSGPRsForWavesPerEU: 38
; NumVGPRsForWavesPerEU: 30
; AccumOffset: 32
; Occupancy: 8
; WaveLimiterHint : 0
; COMPUTE_PGM_RSRC2:SCRATCH_EN: 0
; COMPUTE_PGM_RSRC2:USER_SGPR: 2
; COMPUTE_PGM_RSRC2:TRAP_HANDLER: 0
; COMPUTE_PGM_RSRC2:TGID_X_EN: 1
; COMPUTE_PGM_RSRC2:TGID_Y_EN: 0
; COMPUTE_PGM_RSRC2:TGID_Z_EN: 0
; COMPUTE_PGM_RSRC2:TIDIG_COMP_CNT: 0
; COMPUTE_PGM_RSRC3_GFX90A:ACCUM_OFFSET: 7
; COMPUTE_PGM_RSRC3_GFX90A:TG_SPLIT: 0
	.section	.text._ZN5aiter30swiglu_act_and_mul_bias_kernelIDF16_DF16_afLi2EEEvPT0_PKT_PKT1_PKT2_il,"axG",@progbits,_ZN5aiter30swiglu_act_and_mul_bias_kernelIDF16_DF16_afLi2EEEvPT0_PKT_PKT1_PKT2_il,comdat
	.protected	_ZN5aiter30swiglu_act_and_mul_bias_kernelIDF16_DF16_afLi2EEEvPT0_PKT_PKT1_PKT2_il ; -- Begin function _ZN5aiter30swiglu_act_and_mul_bias_kernelIDF16_DF16_afLi2EEEvPT0_PKT_PKT1_PKT2_il
	.globl	_ZN5aiter30swiglu_act_and_mul_bias_kernelIDF16_DF16_afLi2EEEvPT0_PKT_PKT1_PKT2_il
	.p2align	8
	.type	_ZN5aiter30swiglu_act_and_mul_bias_kernelIDF16_DF16_afLi2EEEvPT0_PKT_PKT1_PKT2_il,@function
_ZN5aiter30swiglu_act_and_mul_bias_kernelIDF16_DF16_afLi2EEEvPT0_PKT_PKT1_PKT2_il: ; @_ZN5aiter30swiglu_act_and_mul_bias_kernelIDF16_DF16_afLi2EEEvPT0_PKT_PKT1_PKT2_il
; %bb.0:
	s_load_dwordx2 s[4:5], s[0:1], 0x10
	s_load_dword s20, s[0:1], 0x20
	s_load_dwordx2 s[6:7], s[0:1], 0x28
	v_mov_b32_e32 v1, s2
	s_mov_b32 s9, 0
	s_waitcnt lgkmcnt(0)
	global_load_ubyte v1, v1, s[4:5]
	s_add_i32 s3, s20, 1
	v_mov_b64_e32 v[2:3], s[6:7]
	s_lshr_b32 s6, s3, 31
	s_add_i32 s3, s3, s6
	s_load_dwordx2 s[4:5], s[0:1], 0x0
	s_lshl_b32 s3, s3, 1
	s_ashr_i32 s21, s20, 31
	s_and_b32 s6, s3, -4
	s_mul_hi_u32 s8, s20, s2
	s_mul_i32 s7, s21, s2
	s_mul_i32 s12, s20, s2
	s_add_i32 s13, s8, s7
	s_lshl_b64 s[12:13], s[12:13], 1
	s_mov_b64 s[10:11], -1
	s_waitcnt vmcnt(0)
	v_readfirstlane_b32 s3, v1
	s_nop 1
	v_mov_b32_e32 v4, s3
	s_sext_i32_i8 s3, s3
	v_readfirstlane_b32 s8, v4
	s_bfe_i64 s[8:9], s[8:9], 0x80000
	s_waitcnt lgkmcnt(0)
	s_add_u32 s4, s4, s12
	s_addc_u32 s5, s5, s13
	s_and_b32 s5, s5, 0xffff
	s_cmp_gt_i32 s3, -1
	v_cmp_lt_i64_e32 vcc, s[8:9], v[2:3]
	s_cselect_b64 s[12:13], -1, 0
	s_and_b64 s[12:13], s[12:13], vcc
	s_and_b64 vcc, exec, s[12:13]
	v_lshlrev_b32_e32 v2, 1, v0
	s_cbranch_vccnz .LBB263_5
; %bb.1:
	v_cmp_gt_i32_e32 vcc, s20, v2
	s_and_saveexec_b64 s[10:11], vcc
	s_cbranch_execz .LBB263_4
; %bb.2:
	s_load_dword s3, s[0:1], 0x3c
	v_mov_b32_e32 v3, 0
	s_mov_b32 s13, 0
	v_lshlrev_b32_e32 v1, 2, v0
	s_mov_b64 s[14:15], 0
	s_waitcnt lgkmcnt(0)
	s_and_b32 s3, s3, 0xffff
	s_lshl_b32 s12, s3, 1
	s_lshl_b32 s3, s3, 2
	s_mov_b32 s7, 0x20000
	v_mov_b64_e32 v[4:5], v[2:3]
.LBB263_3:                              ; =>This Inner Loop Header: Depth=1
	v_lshl_add_u64 v[4:5], s[12:13], 0, v[4:5]
	v_cmp_le_i64_e32 vcc, s[20:21], v[4:5]
	buffer_store_dword v3, v1, s[4:7], 0 offen
	s_or_b64 s[14:15], vcc, s[14:15]
	v_add_u32_e32 v1, s3, v1
	s_andn2_b64 exec, exec, s[14:15]
	s_cbranch_execnz .LBB263_3
.LBB263_4:
	s_or_b64 exec, exec, s[10:11]
	s_mov_b64 s[10:11], 0
.LBB263_5:
	s_andn2_b64 vcc, exec, s[10:11]
	s_cbranch_vccnz .LBB263_9
; %bb.6:
	v_cmp_gt_i32_e32 vcc, s20, v2
	s_and_saveexec_b64 s[10:11], vcc
	s_cbranch_execz .LBB263_9
; %bb.7:
	s_load_dwordx2 s[12:13], s[0:1], 0x8
	s_load_dwordx2 s[10:11], s[0:1], 0x18
	s_mul_hi_i32 s9, s20, s8
	s_mul_i32 s8, s20, s8
	s_lshl_b64 s[8:9], s[8:9], 3
	s_load_dword s14, s[0:1], 0x3c
	s_waitcnt lgkmcnt(0)
	s_add_u32 s8, s10, s8
	s_addc_u32 s3, s11, s9
	s_lshl_b64 s[0:1], s[20:21], 2
	s_add_u32 s0, s8, s0
	s_addc_u32 s1, s3, s1
	s_and_b32 s9, s3, 0xffff
	s_mul_i32 s3, s2, s21
	s_mul_hi_u32 s15, s2, s20
	s_add_i32 s3, s15, s3
	s_mul_i32 s2, s2, s20
	s_lshl_b32 s10, s20, 2
	s_and_b32 s1, s1, 0xffff
	s_lshl_b64 s[2:3], s[2:3], 2
	s_add_u32 s12, s12, s2
	s_addc_u32 s13, s13, s3
	s_lshl_b64 s[2:3], s[20:21], 1
	s_add_u32 s16, s12, s2
	s_addc_u32 s2, s13, s3
	s_mov_b32 s7, 0x20000
	s_and_b32 s17, s2, 0xffff
	s_and_b32 s2, s14, 0xffff
	s_mov_b32 s23, 0
	s_mov_b32 s11, s7
	s_and_b32 s13, s13, 0xffff
	v_mov_b32_e32 v3, 0
	s_lshl_b32 s22, s2, 1
	v_lshlrev_b32_e32 v1, 3, v0
	s_lshl_b32 s26, s2, 3
	v_lshlrev_b32_e32 v0, 2, v0
	s_lshl_b32 s27, s2, 2
	s_mov_b64 s[24:25], 0
	s_mov_b32 s28, 0x3fb8aa3b
	s_mov_b32 s29, 0xc2ce8ed0
	;; [unrolled: 1-line block ×3, first 2 shown]
	v_mov_b32_e32 v4, 0x7f800000
	s_mov_b32 s31, 0xc0e00000
	v_mov_b32_e32 v5, 0x40e00000
	s_mov_b32 s14, s6
	s_mov_b32 s15, s7
	;; [unrolled: 1-line block ×4, first 2 shown]
.LBB263_8:                              ; =>This Inner Loop Header: Depth=1
	buffer_load_dword v11, v0, s[12:15], 0 offen
	buffer_load_dword v13, v0, s[16:19], 0 offen
	buffer_load_dwordx2 v[6:7], v1, s[8:11], 0 offen
	s_mov_b32 s2, s10
	s_mov_b32 s3, s11
	buffer_load_dwordx2 v[8:9], v1, s[0:3], 0 offen
	v_lshl_add_u64 v[2:3], s[22:23], 0, v[2:3]
	v_add_u32_e32 v1, s26, v1
	s_waitcnt vmcnt(3)
	v_cvt_f32_f16_e32 v10, v11
	v_cvt_f32_f16_sdwa v11, v11 dst_sel:DWORD dst_unused:UNUSED_PAD src0_sel:WORD_1
	s_waitcnt vmcnt(2)
	v_cvt_f32_f16_e32 v12, v13
	v_cvt_f32_f16_sdwa v13, v13 dst_sel:DWORD dst_unused:UNUSED_PAD src0_sel:WORD_1
	s_waitcnt vmcnt(1)
	v_pk_add_f32 v[6:7], v[6:7], v[10:11]
	s_nop 0
	v_min_f32_e32 v6, 0x40e00000, v6
	v_min_f32_e32 v7, 0x40e00000, v7
	v_mul_f32_e32 v10, 0xbfd9db23, v6
	v_mul_f32_e32 v11, 0xbfd9db23, v7
	;; [unrolled: 1-line block ×4, first 2 shown]
	v_fma_f32 v16, v10, s28, -v14
	v_rndne_f32_e32 v17, v14
	v_fma_f32 v18, v11, s28, -v15
	v_rndne_f32_e32 v19, v15
	v_fmac_f32_e32 v16, 0x32a5705f, v10
	v_sub_f32_e32 v14, v14, v17
	v_fmac_f32_e32 v18, 0x32a5705f, v11
	v_sub_f32_e32 v15, v15, v19
	v_add_f32_e32 v14, v14, v16
	v_cvt_i32_f32_e32 v17, v17
	v_add_f32_e32 v15, v15, v18
	v_exp_f32_e32 v14, v14
	v_cvt_i32_f32_e32 v19, v19
	v_exp_f32_e32 v15, v15
	s_waitcnt vmcnt(0)
	v_pk_add_f32 v[8:9], v[8:9], v[12:13]
	v_ldexp_f32 v12, v14, v17
	v_cmp_ngt_f32_e32 vcc, s29, v10
	v_ldexp_f32 v13, v15, v19
	v_med3_f32 v9, v9, s31, v5
	v_cndmask_b32_e32 v12, 0, v12, vcc
	v_cmp_ngt_f32_e32 vcc, s29, v11
	v_med3_f32 v8, v8, s31, v5
	v_pk_add_f32 v[8:9], v[8:9], 1.0 op_sel_hi:[1,0]
	v_cndmask_b32_e32 v13, 0, v13, vcc
	v_cmp_nlt_f32_e32 vcc, s30, v10
	s_nop 1
	v_cndmask_b32_e32 v10, v4, v12, vcc
	v_cmp_nlt_f32_e32 vcc, s30, v11
	v_add_f32_e32 v10, 1.0, v10
	v_rcp_f32_e32 v10, v10
	v_cndmask_b32_e32 v11, v4, v13, vcc
	v_add_f32_e32 v11, 1.0, v11
	v_rcp_f32_e32 v11, v11
	v_cmp_le_i64_e32 vcc, s[20:21], v[2:3]
	s_or_b64 s[24:25], vcc, s[24:25]
	v_pk_mul_f32 v[6:7], v[6:7], v[10:11]
	s_nop 0
	v_pk_mul_f32 v[6:7], v[8:9], v[6:7]
	s_nop 0
	v_cvt_f16_f32_e32 v7, v7
	v_cvt_f16_f32_e32 v6, v6
	v_pack_b32_f16 v6, v6, v7
	buffer_store_dword v6, v0, s[4:7], 0 offen
	v_add_u32_e32 v0, s27, v0
	s_andn2_b64 exec, exec, s[24:25]
	s_cbranch_execnz .LBB263_8
.LBB263_9:
	s_endpgm
	.section	.rodata,"a",@progbits
	.p2align	6, 0x0
	.amdhsa_kernel _ZN5aiter30swiglu_act_and_mul_bias_kernelIDF16_DF16_afLi2EEEvPT0_PKT_PKT1_PKT2_il
		.amdhsa_group_segment_fixed_size 0
		.amdhsa_private_segment_fixed_size 0
		.amdhsa_kernarg_size 304
		.amdhsa_user_sgpr_count 2
		.amdhsa_user_sgpr_dispatch_ptr 0
		.amdhsa_user_sgpr_queue_ptr 0
		.amdhsa_user_sgpr_kernarg_segment_ptr 1
		.amdhsa_user_sgpr_dispatch_id 0
		.amdhsa_user_sgpr_kernarg_preload_length 0
		.amdhsa_user_sgpr_kernarg_preload_offset 0
		.amdhsa_user_sgpr_private_segment_size 0
		.amdhsa_uses_dynamic_stack 0
		.amdhsa_enable_private_segment 0
		.amdhsa_system_sgpr_workgroup_id_x 1
		.amdhsa_system_sgpr_workgroup_id_y 0
		.amdhsa_system_sgpr_workgroup_id_z 0
		.amdhsa_system_sgpr_workgroup_info 0
		.amdhsa_system_vgpr_workitem_id 0
		.amdhsa_next_free_vgpr 20
		.amdhsa_next_free_sgpr 32
		.amdhsa_accum_offset 20
		.amdhsa_reserve_vcc 1
		.amdhsa_float_round_mode_32 0
		.amdhsa_float_round_mode_16_64 0
		.amdhsa_float_denorm_mode_32 3
		.amdhsa_float_denorm_mode_16_64 3
		.amdhsa_dx10_clamp 1
		.amdhsa_ieee_mode 1
		.amdhsa_fp16_overflow 0
		.amdhsa_tg_split 0
		.amdhsa_exception_fp_ieee_invalid_op 0
		.amdhsa_exception_fp_denorm_src 0
		.amdhsa_exception_fp_ieee_div_zero 0
		.amdhsa_exception_fp_ieee_overflow 0
		.amdhsa_exception_fp_ieee_underflow 0
		.amdhsa_exception_fp_ieee_inexact 0
		.amdhsa_exception_int_div_zero 0
	.end_amdhsa_kernel
	.section	.text._ZN5aiter30swiglu_act_and_mul_bias_kernelIDF16_DF16_afLi2EEEvPT0_PKT_PKT1_PKT2_il,"axG",@progbits,_ZN5aiter30swiglu_act_and_mul_bias_kernelIDF16_DF16_afLi2EEEvPT0_PKT_PKT1_PKT2_il,comdat
.Lfunc_end263:
	.size	_ZN5aiter30swiglu_act_and_mul_bias_kernelIDF16_DF16_afLi2EEEvPT0_PKT_PKT1_PKT2_il, .Lfunc_end263-_ZN5aiter30swiglu_act_and_mul_bias_kernelIDF16_DF16_afLi2EEEvPT0_PKT_PKT1_PKT2_il
                                        ; -- End function
	.section	.AMDGPU.csdata,"",@progbits
; Kernel info:
; codeLenInByte = 964
; NumSgprs: 38
; NumVgprs: 20
; NumAgprs: 0
; TotalNumVgprs: 20
; ScratchSize: 0
; MemoryBound: 0
; FloatMode: 240
; IeeeMode: 1
; LDSByteSize: 0 bytes/workgroup (compile time only)
; SGPRBlocks: 4
; VGPRBlocks: 2
; NumSGPRsForWavesPerEU: 38
; NumVGPRsForWavesPerEU: 20
; AccumOffset: 20
; Occupancy: 8
; WaveLimiterHint : 0
; COMPUTE_PGM_RSRC2:SCRATCH_EN: 0
; COMPUTE_PGM_RSRC2:USER_SGPR: 2
; COMPUTE_PGM_RSRC2:TRAP_HANDLER: 0
; COMPUTE_PGM_RSRC2:TGID_X_EN: 1
; COMPUTE_PGM_RSRC2:TGID_Y_EN: 0
; COMPUTE_PGM_RSRC2:TGID_Z_EN: 0
; COMPUTE_PGM_RSRC2:TIDIG_COMP_CNT: 0
; COMPUTE_PGM_RSRC3_GFX90A:ACCUM_OFFSET: 4
; COMPUTE_PGM_RSRC3_GFX90A:TG_SPLIT: 0
	.section	.text._ZN5aiter30swiglu_act_and_mul_bias_kernelIDF16_DF16_afLi1EEEvPT0_PKT_PKT1_PKT2_il,"axG",@progbits,_ZN5aiter30swiglu_act_and_mul_bias_kernelIDF16_DF16_afLi1EEEvPT0_PKT_PKT1_PKT2_il,comdat
	.protected	_ZN5aiter30swiglu_act_and_mul_bias_kernelIDF16_DF16_afLi1EEEvPT0_PKT_PKT1_PKT2_il ; -- Begin function _ZN5aiter30swiglu_act_and_mul_bias_kernelIDF16_DF16_afLi1EEEvPT0_PKT_PKT1_PKT2_il
	.globl	_ZN5aiter30swiglu_act_and_mul_bias_kernelIDF16_DF16_afLi1EEEvPT0_PKT_PKT1_PKT2_il
	.p2align	8
	.type	_ZN5aiter30swiglu_act_and_mul_bias_kernelIDF16_DF16_afLi1EEEvPT0_PKT_PKT1_PKT2_il,@function
_ZN5aiter30swiglu_act_and_mul_bias_kernelIDF16_DF16_afLi1EEEvPT0_PKT_PKT1_PKT2_il: ; @_ZN5aiter30swiglu_act_and_mul_bias_kernelIDF16_DF16_afLi1EEEvPT0_PKT_PKT1_PKT2_il
; %bb.0:
	s_load_dwordx2 s[4:5], s[0:1], 0x10
	s_load_dword s20, s[0:1], 0x20
	s_load_dwordx2 s[6:7], s[0:1], 0x28
	v_mov_b32_e32 v1, s2
	s_mov_b32 s9, 0
	s_waitcnt lgkmcnt(0)
	global_load_ubyte v1, v1, s[4:5]
	s_add_i32 s3, s20, 1
	s_ashr_i32 s21, s20, 31
	v_mov_b64_e32 v[2:3], s[6:7]
	s_lshr_b32 s6, s3, 31
	s_mul_hi_u32 s8, s20, s2
	s_mul_i32 s7, s21, s2
	s_add_i32 s3, s3, s6
	s_load_dwordx2 s[4:5], s[0:1], 0x0
	s_mul_i32 s10, s20, s2
	s_add_i32 s11, s8, s7
	s_lshl_b32 s3, s3, 1
	s_lshl_b64 s[14:15], s[10:11], 1
	s_and_b32 s10, s3, -4
	s_mov_b64 s[12:13], -1
	s_waitcnt vmcnt(0)
	v_readfirstlane_b32 s3, v1
	s_nop 1
	v_mov_b32_e32 v4, s3
	s_sext_i32_i8 s3, s3
	v_readfirstlane_b32 s8, v4
	s_bfe_i64 s[6:7], s[8:9], 0x80000
	s_waitcnt lgkmcnt(0)
	s_add_u32 s8, s4, s14
	s_addc_u32 s4, s5, s15
	s_and_b32 s9, s4, 0xffff
	s_cmp_gt_i32 s3, -1
	v_cmp_lt_i64_e32 vcc, s[6:7], v[2:3]
	s_cselect_b64 s[4:5], -1, 0
	s_and_b64 s[4:5], s[4:5], vcc
	s_and_b64 vcc, exec, s[4:5]
	v_cmp_gt_i32_e64 s[4:5], s20, v0
	s_cbranch_vccnz .LBB264_5
; %bb.1:
	s_and_saveexec_b64 s[12:13], s[4:5]
	s_cbranch_execz .LBB264_4
; %bb.2:
	s_load_dword s3, s[0:1], 0x3c
	v_mov_b32_e32 v1, 0
	s_mov_b32 s5, 0
	v_lshlrev_b32_e32 v4, 1, v0
	s_mov_b64 s[14:15], 0
	s_waitcnt lgkmcnt(0)
	s_and_b32 s4, s3, 0xffff
	s_lshl_b32 s3, s4, 1
	s_mov_b32 s11, 0x20000
	v_mov_b64_e32 v[2:3], v[0:1]
.LBB264_3:                              ; =>This Inner Loop Header: Depth=1
	v_lshl_add_u64 v[2:3], v[2:3], 0, s[4:5]
	v_cmp_le_i64_e32 vcc, s[20:21], v[2:3]
	buffer_store_short v1, v4, s[8:11], 0 offen
	s_or_b64 s[14:15], vcc, s[14:15]
	v_add_u32_e32 v4, s3, v4
	s_andn2_b64 exec, exec, s[14:15]
	s_cbranch_execnz .LBB264_3
.LBB264_4:
	s_or_b64 exec, exec, s[12:13]
	s_mov_b64 s[12:13], 0
.LBB264_5:
	s_andn2_b64 vcc, exec, s[12:13]
	s_cbranch_vccnz .LBB264_9
; %bb.6:
	v_cmp_gt_i32_e32 vcc, s20, v0
	s_and_saveexec_b64 s[4:5], vcc
	s_cbranch_execz .LBB264_9
; %bb.7:
	s_load_dwordx2 s[12:13], s[0:1], 0x8
	s_load_dwordx2 s[4:5], s[0:1], 0x18
	s_mul_hi_i32 s7, s20, s6
	s_mul_i32 s6, s20, s6
	s_lshl_b64 s[6:7], s[6:7], 3
	s_load_dword s14, s[0:1], 0x3c
	s_waitcnt lgkmcnt(0)
	s_add_u32 s4, s4, s6
	s_addc_u32 s3, s5, s7
	s_lshl_b64 s[0:1], s[20:21], 2
	s_add_u32 s0, s4, s0
	s_addc_u32 s1, s3, s1
	s_and_b32 s5, s3, 0xffff
	s_mul_i32 s3, s2, s21
	s_mul_hi_u32 s15, s2, s20
	s_add_i32 s3, s15, s3
	s_mul_i32 s2, s2, s20
	s_lshl_b32 s6, s20, 2
	s_and_b32 s1, s1, 0xffff
	s_lshl_b64 s[2:3], s[2:3], 2
	s_add_u32 s12, s12, s2
	s_addc_u32 s13, s13, s3
	s_lshl_b64 s[2:3], s[20:21], 1
	s_add_u32 s16, s12, s2
	s_mov_b32 s11, 0x20000
	s_addc_u32 s2, s13, s3
	s_and_b32 s22, s14, 0xffff
	s_mov_b32 s23, 0
	s_mov_b32 s7, s11
	s_and_b32 s13, s13, 0xffff
	s_and_b32 s17, s2, 0xffff
	v_mov_b32_e32 v1, 0
	v_lshlrev_b32_e32 v2, 2, v0
	s_lshl_b32 s26, s22, 2
	v_lshlrev_b32_e32 v3, 1, v0
	s_lshl_b32 s27, s22, 1
	s_mov_b64 s[24:25], 0
	s_mov_b32 s28, 0x3fb8aa3b
	s_mov_b32 s29, 0xc2ce8ed0
	;; [unrolled: 1-line block ×3, first 2 shown]
	v_mov_b32_e32 v4, 0x7f800000
	s_mov_b32 s14, s10
	s_mov_b32 s15, s11
	;; [unrolled: 1-line block ×4, first 2 shown]
.LBB264_8:                              ; =>This Inner Loop Header: Depth=1
	buffer_load_ushort v5, v3, s[12:15], 0 offen
	buffer_load_ushort v6, v3, s[16:19], 0 offen
	buffer_load_dword v7, v2, s[4:7], 0 offen
	s_mov_b32 s2, s6
	s_mov_b32 s3, s7
	buffer_load_dword v8, v2, s[0:3], 0 offen
	v_lshl_add_u64 v[0:1], v[0:1], 0, s[22:23]
	v_cmp_le_i64_e32 vcc, s[20:21], v[0:1]
	s_or_b64 s[24:25], vcc, s[24:25]
	v_add_u32_e32 v2, s26, v2
	s_waitcnt vmcnt(3)
	v_cvt_f32_f16_e32 v5, v5
	s_waitcnt vmcnt(2)
	v_cvt_f32_f16_e32 v6, v6
	s_waitcnt vmcnt(1)
	v_add_f32_e32 v5, v5, v7
	v_min_f32_e32 v5, 0x40e00000, v5
	v_mul_f32_e32 v7, 0xbfd9db23, v5
	v_mul_f32_e32 v9, 0x3fb8aa3b, v7
	v_fma_f32 v10, v7, s28, -v9
	v_rndne_f32_e32 v11, v9
	v_fmac_f32_e32 v10, 0x32a5705f, v7
	v_sub_f32_e32 v9, v9, v11
	v_add_f32_e32 v9, v9, v10
	v_cvt_i32_f32_e32 v11, v11
	v_exp_f32_e32 v9, v9
	s_waitcnt vmcnt(0)
	v_add_f32_e32 v6, v6, v8
	v_cmp_ngt_f32_e32 vcc, s29, v7
	v_max_f32_e32 v6, 0xc0e00000, v6
	v_ldexp_f32 v8, v9, v11
	v_cndmask_b32_e32 v8, 0, v8, vcc
	v_cmp_nlt_f32_e32 vcc, s30, v7
	v_min_f32_e32 v6, 0x40e00000, v6
	v_add_f32_e32 v6, 1.0, v6
	v_cndmask_b32_e32 v7, v4, v8, vcc
	v_add_f32_e32 v7, 1.0, v7
	v_rcp_f32_e32 v7, v7
	s_nop 0
	v_mul_f32_e32 v5, v5, v7
	v_fma_mixlo_f16 v5, v6, v5, 0
	buffer_store_short v5, v3, s[8:11], 0 offen
	v_add_u32_e32 v3, s27, v3
	s_andn2_b64 exec, exec, s[24:25]
	s_cbranch_execnz .LBB264_8
.LBB264_9:
	s_endpgm
	.section	.rodata,"a",@progbits
	.p2align	6, 0x0
	.amdhsa_kernel _ZN5aiter30swiglu_act_and_mul_bias_kernelIDF16_DF16_afLi1EEEvPT0_PKT_PKT1_PKT2_il
		.amdhsa_group_segment_fixed_size 0
		.amdhsa_private_segment_fixed_size 0
		.amdhsa_kernarg_size 304
		.amdhsa_user_sgpr_count 2
		.amdhsa_user_sgpr_dispatch_ptr 0
		.amdhsa_user_sgpr_queue_ptr 0
		.amdhsa_user_sgpr_kernarg_segment_ptr 1
		.amdhsa_user_sgpr_dispatch_id 0
		.amdhsa_user_sgpr_kernarg_preload_length 0
		.amdhsa_user_sgpr_kernarg_preload_offset 0
		.amdhsa_user_sgpr_private_segment_size 0
		.amdhsa_uses_dynamic_stack 0
		.amdhsa_enable_private_segment 0
		.amdhsa_system_sgpr_workgroup_id_x 1
		.amdhsa_system_sgpr_workgroup_id_y 0
		.amdhsa_system_sgpr_workgroup_id_z 0
		.amdhsa_system_sgpr_workgroup_info 0
		.amdhsa_system_vgpr_workitem_id 0
		.amdhsa_next_free_vgpr 12
		.amdhsa_next_free_sgpr 31
		.amdhsa_accum_offset 12
		.amdhsa_reserve_vcc 1
		.amdhsa_float_round_mode_32 0
		.amdhsa_float_round_mode_16_64 0
		.amdhsa_float_denorm_mode_32 3
		.amdhsa_float_denorm_mode_16_64 3
		.amdhsa_dx10_clamp 1
		.amdhsa_ieee_mode 1
		.amdhsa_fp16_overflow 0
		.amdhsa_tg_split 0
		.amdhsa_exception_fp_ieee_invalid_op 0
		.amdhsa_exception_fp_denorm_src 0
		.amdhsa_exception_fp_ieee_div_zero 0
		.amdhsa_exception_fp_ieee_overflow 0
		.amdhsa_exception_fp_ieee_underflow 0
		.amdhsa_exception_fp_ieee_inexact 0
		.amdhsa_exception_int_div_zero 0
	.end_amdhsa_kernel
	.section	.text._ZN5aiter30swiglu_act_and_mul_bias_kernelIDF16_DF16_afLi1EEEvPT0_PKT_PKT1_PKT2_il,"axG",@progbits,_ZN5aiter30swiglu_act_and_mul_bias_kernelIDF16_DF16_afLi1EEEvPT0_PKT_PKT1_PKT2_il,comdat
.Lfunc_end264:
	.size	_ZN5aiter30swiglu_act_and_mul_bias_kernelIDF16_DF16_afLi1EEEvPT0_PKT_PKT1_PKT2_il, .Lfunc_end264-_ZN5aiter30swiglu_act_and_mul_bias_kernelIDF16_DF16_afLi1EEEvPT0_PKT_PKT1_PKT2_il
                                        ; -- End function
	.section	.AMDGPU.csdata,"",@progbits
; Kernel info:
; codeLenInByte = 788
; NumSgprs: 37
; NumVgprs: 12
; NumAgprs: 0
; TotalNumVgprs: 12
; ScratchSize: 0
; MemoryBound: 0
; FloatMode: 240
; IeeeMode: 1
; LDSByteSize: 0 bytes/workgroup (compile time only)
; SGPRBlocks: 4
; VGPRBlocks: 1
; NumSGPRsForWavesPerEU: 37
; NumVGPRsForWavesPerEU: 12
; AccumOffset: 12
; Occupancy: 8
; WaveLimiterHint : 0
; COMPUTE_PGM_RSRC2:SCRATCH_EN: 0
; COMPUTE_PGM_RSRC2:USER_SGPR: 2
; COMPUTE_PGM_RSRC2:TRAP_HANDLER: 0
; COMPUTE_PGM_RSRC2:TGID_X_EN: 1
; COMPUTE_PGM_RSRC2:TGID_Y_EN: 0
; COMPUTE_PGM_RSRC2:TGID_Z_EN: 0
; COMPUTE_PGM_RSRC2:TIDIG_COMP_CNT: 0
; COMPUTE_PGM_RSRC3_GFX90A:ACCUM_OFFSET: 2
; COMPUTE_PGM_RSRC3_GFX90A:TG_SPLIT: 0
	.section	.text._ZN5aiter30swiglu_act_and_mul_bias_kernelIttafLi32EEEvPT0_PKT_PKT1_PKT2_il,"axG",@progbits,_ZN5aiter30swiglu_act_and_mul_bias_kernelIttafLi32EEEvPT0_PKT_PKT1_PKT2_il,comdat
	.protected	_ZN5aiter30swiglu_act_and_mul_bias_kernelIttafLi32EEEvPT0_PKT_PKT1_PKT2_il ; -- Begin function _ZN5aiter30swiglu_act_and_mul_bias_kernelIttafLi32EEEvPT0_PKT_PKT1_PKT2_il
	.globl	_ZN5aiter30swiglu_act_and_mul_bias_kernelIttafLi32EEEvPT0_PKT_PKT1_PKT2_il
	.p2align	8
	.type	_ZN5aiter30swiglu_act_and_mul_bias_kernelIttafLi32EEEvPT0_PKT_PKT1_PKT2_il,@function
_ZN5aiter30swiglu_act_and_mul_bias_kernelIttafLi32EEEvPT0_PKT_PKT1_PKT2_il: ; @_ZN5aiter30swiglu_act_and_mul_bias_kernelIttafLi32EEEvPT0_PKT_PKT1_PKT2_il
; %bb.0:
	s_load_dwordx2 s[4:5], s[0:1], 0x10
	s_load_dword s6, s[0:1], 0x20
	s_load_dwordx2 s[8:9], s[0:1], 0x28
	v_mov_b32_e32 v1, s2
	s_load_dwordx2 s[14:15], s[0:1], 0x0
	s_waitcnt lgkmcnt(0)
	global_load_ubyte v1, v1, s[4:5]
	s_add_i32 s3, s6, 1
	s_ashr_i32 s7, s6, 31
	v_mov_b64_e32 v[2:3], s[8:9]
	s_lshr_b32 s8, s3, 31
	s_mul_hi_u32 s4, s6, s2
	s_mul_i32 s9, s7, s2
	s_add_i32 s3, s3, s8
	s_mul_i32 s10, s6, s2
	s_add_i32 s11, s4, s9
	s_lshl_b32 s3, s3, 1
	s_lshl_b64 s[8:9], s[10:11], 1
	s_and_b32 s10, s3, -4
	s_mov_b32 s5, 0
	s_mov_b64 s[12:13], -1
	v_lshlrev_b32_e32 v20, 5, v0
	s_waitcnt vmcnt(0)
	v_readfirstlane_b32 s3, v1
	s_nop 1
	v_mov_b32_e32 v4, s3
	s_sext_i32_i8 s3, s3
	v_readfirstlane_b32 s4, v4
	s_bfe_i64 s[4:5], s[4:5], 0x80000
	s_add_u32 s8, s14, s8
	v_cmp_lt_i64_e32 vcc, s[4:5], v[2:3]
	s_addc_u32 s5, s15, s9
	s_and_b32 s9, s5, 0xffff
	s_cmp_gt_i32 s3, -1
	s_cselect_b64 s[14:15], -1, 0
	s_and_b64 s[14:15], s[14:15], vcc
	s_and_b64 vcc, exec, s[14:15]
	s_cbranch_vccnz .LBB265_5
; %bb.1:
	v_cmp_gt_i32_e32 vcc, s6, v20
	s_and_saveexec_b64 s[12:13], vcc
	s_cbranch_execz .LBB265_4
; %bb.2:
	s_load_dword s3, s[0:1], 0x3c
	s_mov_b32 s15, 0
	s_mov_b32 s20, s15
	;; [unrolled: 1-line block ×3, first 2 shown]
	v_mov_b32_e32 v21, 0
	s_waitcnt lgkmcnt(0)
	s_and_b32 s3, s3, 0xffff
	s_mov_b32 s22, s15
	s_mov_b32 s23, s15
	v_mov_b64_e32 v[2:3], s[20:21]
	v_lshlrev_b32_e32 v1, 6, v0
	s_lshl_b32 s14, s3, 5
	s_lshl_b32 s3, s3, 6
	s_mov_b64 s[16:17], 0
	s_mov_b32 s11, 0x20000
	v_mov_b64_e32 v[4:5], s[22:23]
	v_mov_b64_e32 v[6:7], v[20:21]
.LBB265_3:                              ; =>This Inner Loop Header: Depth=1
	v_lshl_add_u64 v[6:7], s[14:15], 0, v[6:7]
	v_cmp_le_i64_e32 vcc, s[6:7], v[6:7]
	buffer_store_dwordx4 v[2:5], v1, s[8:11], 0 offen
	buffer_store_dwordx4 v[2:5], v1, s[8:11], 16 offen
	;; [unrolled: 1-line block ×4, first 2 shown]
	s_or_b64 s[16:17], vcc, s[16:17]
	v_add_u32_e32 v1, s3, v1
	s_andn2_b64 exec, exec, s[16:17]
	s_cbranch_execnz .LBB265_3
.LBB265_4:
	s_or_b64 exec, exec, s[12:13]
	s_mov_b64 s[12:13], 0
.LBB265_5:
	s_andn2_b64 vcc, exec, s[12:13]
	s_cbranch_vccnz .LBB265_9
; %bb.6:
	v_cmp_gt_i32_e32 vcc, s6, v20
	s_and_saveexec_b64 s[12:13], vcc
	s_cbranch_execz .LBB265_9
; %bb.7:
	s_load_dwordx2 s[18:19], s[0:1], 0x8
	s_load_dwordx2 s[12:13], s[0:1], 0x18
	s_mul_hi_i32 s5, s6, s4
	s_mul_i32 s4, s6, s4
	s_lshl_b64 s[4:5], s[4:5], 3
	s_load_dword s3, s[0:1], 0x3c
	s_waitcnt lgkmcnt(0)
	s_add_u32 s12, s12, s4
	s_addc_u32 s4, s13, s5
	s_lshl_b64 s[0:1], s[6:7], 2
	s_add_u32 s16, s12, s0
	s_addc_u32 s0, s4, s1
	s_and_b32 s17, s0, 0xffff
	s_mul_i32 s0, s2, s7
	s_mul_hi_u32 s1, s2, s6
	s_add_i32 s1, s1, s0
	s_mul_i32 s0, s2, s6
	s_lshl_b32 s14, s6, 2
	s_and_b32 s13, s4, 0xffff
	s_lshl_b64 s[0:1], s[0:1], 2
	s_add_u32 s20, s18, s0
	s_addc_u32 s2, s19, s1
	s_lshl_b64 s[0:1], s[6:7], 1
	s_add_u32 s24, s20, s0
	s_addc_u32 s0, s2, s1
	s_mov_b32 s11, 0x20000
	s_and_b32 s25, s0, 0xffff
	s_and_b32 s0, s3, 0xffff
	s_mov_b32 s29, 0
	s_mov_b32 s15, s11
	s_and_b32 s21, s2, 0xffff
	s_mov_b64 s[26:27], s[10:11]
	v_mov_b32_e32 v21, 0
	s_lshl_b32 s28, s0, 5
	v_lshlrev_b32_e32 v52, 7, v0
	s_lshl_b32 s33, s0, 7
	v_lshlrev_b32_e32 v53, 6, v0
	s_lshl_b32 s34, s0, 6
	s_mov_b64 s[30:31], 0
	s_movk_i32 s35, 0x50
	s_movk_i32 s36, 0x60
	;; [unrolled: 1-line block ×3, first 2 shown]
	s_mov_b32 s38, 0x3fb8aa3b
	s_mov_b32 s39, 0xc2ce8ed0
	;; [unrolled: 1-line block ×3, first 2 shown]
	v_mov_b32_e32 v54, 0x7f800000
	s_mov_b32 s41, 0xc0e00000
	v_mov_b32_e32 v55, 0x40e00000
	s_mov_b32 s42, 0x7060302
	s_mov_b32 s22, s10
	;; [unrolled: 1-line block ×3, first 2 shown]
.LBB265_8:                              ; =>This Inner Loop Header: Depth=1
	buffer_load_dwordx4 v[16:19], v53, s[20:23], 0 offen
	buffer_load_dwordx4 v[12:15], v53, s[20:23], 16 offen
	;; [unrolled: 1-line block ×5, first 2 shown]
	s_mov_b32 s18, s14
	s_mov_b32 s19, s15
	v_lshl_add_u64 v[20:21], s[28:29], 0, v[20:21]
	s_waitcnt vmcnt(4)
	v_and_b32_e32 v23, 0xffff0000, v16
	v_lshlrev_b32_e32 v22, 16, v16
	v_and_b32_e32 v25, 0xffff0000, v17
	v_lshlrev_b32_e32 v24, 16, v17
	s_waitcnt vmcnt(0)
	v_and_b32_e32 v45, 0xffff0000, v2
	v_lshlrev_b32_e32 v44, 16, v2
	v_and_b32_e32 v49, 0xffff0000, v0
	v_lshlrev_b32_e32 v48, 16, v0
	;; [unrolled: 2-line block ×4, first 2 shown]
	buffer_load_dwordx4 v[0:3], v52, s[12:15], 0 offen
	v_and_b32_e32 v17, 0xffff0000, v18
	v_lshlrev_b32_e32 v16, 16, v18
	v_and_b32_e32 v27, 0xffff0000, v19
	v_lshlrev_b32_e32 v26, 16, v19
	;; [unrolled: 2-line block ×14, first 2 shown]
	s_waitcnt vmcnt(0)
	v_pk_add_f32 v[58:59], v[0:1], v[22:23]
	v_pk_add_f32 v[42:43], v[2:3], v[24:25]
	buffer_load_dwordx4 v[0:3], v52, s[12:15], 16 offen
	s_waitcnt vmcnt(0)
	v_pk_add_f32 v[24:25], v[0:1], v[16:17]
	v_pk_add_f32 v[22:23], v[2:3], v[26:27]
	buffer_load_dwordx4 v[0:3], v52, s[12:15], 32 offen
	;; [unrolled: 4-line block ×4, first 2 shown]
	s_waitcnt vmcnt(0)
	v_pk_add_f32 v[38:39], v[26:27], v[14:15]
	buffer_load_dwordx4 v[14:17], v52, s[12:15], s35 offen
	v_pk_add_f32 v[32:33], v[28:29], v[32:33]
	buffer_load_dwordx4 v[26:29], v52, s[16:19], 0 offen
	s_waitcnt vmcnt(1)
	v_pk_add_f32 v[14:15], v[14:15], v[8:9]
	buffer_load_dwordx4 v[6:9], v52, s[12:15], s36 offen
	v_pk_add_f32 v[12:13], v[16:17], v[34:35]
	s_waitcnt vmcnt(1)
	v_pk_add_f32 v[34:35], v[28:29], v[56:57]
	s_waitcnt vmcnt(0)
	v_pk_add_f32 v[16:17], v[6:7], v[10:11]
	v_pk_add_f32 v[10:11], v[8:9], v[40:41]
	buffer_load_dwordx4 v[6:9], v52, s[12:15], s37 offen
	v_pk_add_f32 v[40:41], v[26:27], v[48:49]
	buffer_load_dwordx4 v[26:29], v52, s[16:19], 16 offen
	v_min_f32_e32 v10, 0x40e00000, v10
	v_min_f32_e32 v11, 0x40e00000, v11
	s_waitcnt vmcnt(1)
	v_pk_add_f32 v[6:7], v[6:7], v[4:5]
	v_pk_add_f32 v[4:5], v[8:9], v[46:47]
	s_waitcnt vmcnt(0)
	v_pk_add_f32 v[48:49], v[26:27], v[44:45]
	v_min_f32_e32 v44, 0x40e00000, v58
	v_mul_f32_e32 v8, 0xbfd9db23, v44
	v_min_f32_e32 v45, 0x40e00000, v59
	v_mul_f32_e32 v26, 0x3fb8aa3b, v8
	v_pk_add_f32 v[50:51], v[28:29], v[50:51]
	v_mul_f32_e32 v9, 0xbfd9db23, v45
	v_fma_f32 v28, v8, s38, -v26
	v_rndne_f32_e32 v29, v26
	v_mul_f32_e32 v27, 0x3fb8aa3b, v9
	v_fmac_f32_e32 v28, 0x32a5705f, v8
	v_sub_f32_e32 v26, v26, v29
	v_add_f32_e32 v26, v26, v28
	v_fma_f32 v28, v9, s38, -v27
	v_rndne_f32_e32 v30, v27
	v_fmac_f32_e32 v28, 0x32a5705f, v9
	v_sub_f32_e32 v27, v27, v30
	v_add_f32_e32 v27, v27, v28
	v_exp_f32_e32 v26, v26
	v_cvt_i32_f32_e32 v28, v29
	v_exp_f32_e32 v27, v27
	v_cvt_i32_f32_e32 v29, v30
	v_cmp_ngt_f32_e32 vcc, s39, v8
	v_ldexp_f32 v26, v26, v28
	v_min_f32_e32 v28, 0x40e00000, v42
	v_mul_f32_e32 v30, 0xbfd9db23, v28
	v_mul_f32_e32 v31, 0x3fb8aa3b, v30
	v_ldexp_f32 v27, v27, v29
	v_min_f32_e32 v29, 0x40e00000, v43
	v_fma_f32 v42, v30, s38, -v31
	v_rndne_f32_e32 v43, v31
	v_cndmask_b32_e32 v26, 0, v26, vcc
	v_cmp_nlt_f32_e32 vcc, s40, v8
	v_fmac_f32_e32 v42, 0x32a5705f, v30
	v_sub_f32_e32 v31, v31, v43
	v_cndmask_b32_e32 v8, v54, v26, vcc
	v_add_f32_e32 v31, v31, v42
	v_add_f32_e32 v8, 1.0, v8
	v_cmp_ngt_f32_e32 vcc, s39, v9
	v_rcp_f32_e32 v46, v8
	v_exp_f32_e32 v8, v31
	v_cndmask_b32_e32 v26, 0, v27, vcc
	v_cmp_nlt_f32_e32 vcc, s40, v9
	v_cvt_i32_f32_e32 v9, v43
	v_min_f32_e32 v6, 0x40e00000, v6
	v_cndmask_b32_e32 v26, v54, v26, vcc
	v_add_f32_e32 v26, 1.0, v26
	v_ldexp_f32 v8, v8, v9
	v_mul_f32_e32 v9, 0xbfd9db23, v29
	v_rcp_f32_e32 v47, v26
	v_mul_f32_e32 v26, 0x3fb8aa3b, v9
	v_fma_f32 v27, v9, s38, -v26
	v_rndne_f32_e32 v31, v26
	v_fmac_f32_e32 v27, 0x32a5705f, v9
	v_sub_f32_e32 v26, v26, v31
	v_add_f32_e32 v26, v26, v27
	v_exp_f32_e32 v26, v26
	v_cvt_i32_f32_e32 v27, v31
	v_cmp_ngt_f32_e32 vcc, s39, v30
	v_min_f32_e32 v31, 0x40e00000, v23
	v_min_f32_e32 v23, 0x40e00000, v1
	v_cndmask_b32_e32 v8, 0, v8, vcc
	v_cmp_nlt_f32_e32 vcc, s40, v30
	v_ldexp_f32 v26, v26, v27
	v_min_f32_e32 v30, 0x40e00000, v22
	v_cndmask_b32_e32 v8, v54, v8, vcc
	v_add_f32_e32 v8, 1.0, v8
	v_cmp_ngt_f32_e32 vcc, s39, v9
	v_rcp_f32_e32 v42, v8
	v_min_f32_e32 v22, 0x40e00000, v0
	v_cndmask_b32_e32 v8, 0, v26, vcc
	v_min_f32_e32 v26, 0x40e00000, v24
	v_mul_f32_e32 v56, 0xbfd9db23, v26
	v_min_f32_e32 v0, 0x40e00000, v32
	v_med3_f32 v32, v34, s41, v55
	v_med3_f32 v34, v40, s41, v55
	v_mul_f32_e32 v40, 0x3fb8aa3b, v56
	v_min_f32_e32 v24, 0x40e00000, v18
	v_min_f32_e32 v18, 0x40e00000, v36
	;; [unrolled: 1-line block ×3, first 2 shown]
	v_med3_f32 v33, v35, s41, v55
	v_med3_f32 v35, v41, s41, v55
	;; [unrolled: 1-line block ×3, first 2 shown]
	v_fma_f32 v41, v56, s38, -v40
	v_rndne_f32_e32 v48, v40
	v_min_f32_e32 v27, 0x40e00000, v25
	v_fmac_f32_e32 v41, 0x32a5705f, v56
	v_sub_f32_e32 v40, v40, v48
	v_min_f32_e32 v25, 0x40e00000, v19
	v_min_f32_e32 v19, 0x40e00000, v37
	v_med3_f32 v37, v49, s41, v55
	v_add_f32_e32 v49, v40, v41
	v_pk_mul_f32 v[40:41], v[44:45], v[46:47]
	v_mul_f32_e32 v44, 0xbfd9db23, v27
	v_mul_f32_e32 v45, 0x3fb8aa3b, v44
	v_fma_f32 v46, v44, s38, -v45
	v_rndne_f32_e32 v47, v45
	v_fmac_f32_e32 v46, 0x32a5705f, v44
	v_sub_f32_e32 v45, v45, v47
	v_add_f32_e32 v45, v45, v46
	v_exp_f32_e32 v45, v45
	v_cvt_i32_f32_e32 v47, v47
	v_exp_f32_e32 v46, v49
	v_cvt_i32_f32_e32 v48, v48
	v_cmp_nlt_f32_e32 vcc, s40, v9
	v_ldexp_f32 v45, v45, v47
	v_mul_f32_e32 v47, 0xbfd9db23, v30
	v_cndmask_b32_e32 v8, v54, v8, vcc
	v_add_f32_e32 v8, 1.0, v8
	v_ldexp_f32 v46, v46, v48
	v_mul_f32_e32 v48, 0x3fb8aa3b, v47
	v_cmp_ngt_f32_e32 vcc, s39, v56
	v_cmp_ngt_f32_e64 s[2:3], s39, v44
	v_rcp_f32_e32 v43, v8
	v_min_f32_e32 v8, 0x40e00000, v2
	v_min_f32_e32 v2, 0x40e00000, v38
	v_med3_f32 v38, v50, s41, v55
	v_fma_f32 v49, v47, s38, -v48
	v_rndne_f32_e32 v50, v48
	v_cmp_nlt_f32_e64 s[0:1], s40, v56
	v_cmp_nlt_f32_e64 s[4:5], s40, v44
	v_cndmask_b32_e32 v44, 0, v46, vcc
	v_cndmask_b32_e64 v45, 0, v45, s[2:3]
	v_fmac_f32_e32 v49, 0x32a5705f, v47
	v_sub_f32_e32 v48, v48, v50
	v_cndmask_b32_e64 v44, v54, v44, s[0:1]
	v_cndmask_b32_e64 v45, v54, v45, s[4:5]
	v_min_f32_e32 v9, 0x40e00000, v3
	v_min_f32_e32 v3, 0x40e00000, v39
	v_med3_f32 v39, v51, s41, v55
	v_add_f32_e32 v51, v48, v49
	v_add_f32_e32 v44, 1.0, v44
	v_add_f32_e32 v45, 1.0, v45
	v_rcp_f32_e32 v48, v44
	v_rcp_f32_e32 v49, v45
	v_exp_f32_e32 v44, v51
	v_cvt_i32_f32_e32 v45, v50
	v_cmp_ngt_f32_e32 vcc, s39, v47
	v_cmp_nlt_f32_e64 s[0:1], s40, v47
	v_pk_add_f32 v[32:33], v[32:33], 1.0 op_sel_hi:[1,0]
	v_ldexp_f32 v44, v44, v45
	v_mul_f32_e32 v45, 0xbfd9db23, v31
	v_mul_f32_e32 v46, 0x3fb8aa3b, v45
	v_fma_f32 v50, v45, s38, -v46
	v_rndne_f32_e32 v51, v46
	v_fmac_f32_e32 v50, 0x32a5705f, v45
	v_sub_f32_e32 v46, v46, v51
	v_add_f32_e32 v46, v46, v50
	v_exp_f32_e32 v46, v46
	v_cvt_i32_f32_e32 v47, v51
	v_cndmask_b32_e32 v44, 0, v44, vcc
	v_cndmask_b32_e64 v44, v54, v44, s[0:1]
	v_add_f32_e32 v44, 1.0, v44
	v_ldexp_f32 v47, v46, v47
	v_cmp_ngt_f32_e32 vcc, s39, v45
	v_cmp_nlt_f32_e64 s[0:1], s40, v45
	v_rcp_f32_e32 v46, v44
	v_cndmask_b32_e32 v44, 0, v47, vcc
	v_cndmask_b32_e64 v44, v54, v44, s[0:1]
	v_add_f32_e32 v44, 1.0, v44
	v_mul_f32_e32 v50, 0xbfd9db23, v24
	v_rcp_f32_e32 v47, v44
	v_pk_mul_f32 v[44:45], v[28:29], v[42:43]
	v_mul_f32_e32 v28, 0x3fb8aa3b, v50
	v_fma_f32 v29, v50, s38, -v28
	v_rndne_f32_e32 v42, v28
	v_fmac_f32_e32 v29, 0x32a5705f, v50
	v_sub_f32_e32 v28, v28, v42
	v_add_f32_e32 v28, v28, v29
	v_exp_f32_e32 v28, v28
	v_cvt_i32_f32_e32 v29, v42
	v_pk_mul_f32 v[46:47], v[30:31], v[46:47]
	v_pk_mul_f32 v[44:45], v[32:33], v[44:45]
	v_pk_add_f32 v[38:39], v[38:39], 1.0 op_sel_hi:[1,0]
	v_ldexp_f32 v28, v28, v29
	v_mul_f32_e32 v29, 0xbfd9db23, v25
	v_mul_f32_e32 v42, 0x3fb8aa3b, v29
	v_fma_f32 v43, v29, s38, -v42
	v_rndne_f32_e32 v51, v42
	v_fmac_f32_e32 v43, 0x32a5705f, v29
	v_sub_f32_e32 v42, v42, v51
	v_add_f32_e32 v42, v42, v43
	v_exp_f32_e32 v42, v42
	v_cvt_i32_f32_e32 v43, v51
	v_cmp_ngt_f32_e32 vcc, s39, v29
	v_cmp_nlt_f32_e64 s[0:1], s40, v29
	v_pk_mul_f32 v[38:39], v[38:39], v[46:47]
	v_ldexp_f32 v42, v42, v43
	v_cndmask_b32_e32 v29, 0, v42, vcc
	v_cmp_ngt_f32_e32 vcc, s39, v50
	v_pk_mul_f32 v[42:43], v[26:27], v[48:49]
	v_cndmask_b32_e64 v29, v54, v29, s[0:1]
	v_cndmask_b32_e32 v28, 0, v28, vcc
	v_cmp_nlt_f32_e32 vcc, s40, v50
	v_mul_f32_e32 v50, 0xbfd9db23, v22
	v_mul_f32_e32 v26, 0x3fb8aa3b, v50
	v_fma_f32 v27, v50, s38, -v26
	v_rndne_f32_e32 v48, v26
	v_fmac_f32_e32 v27, 0x32a5705f, v50
	v_sub_f32_e32 v26, v26, v48
	v_add_f32_e32 v26, v26, v27
	v_exp_f32_e32 v26, v26
	v_cvt_i32_f32_e32 v27, v48
	v_cndmask_b32_e32 v28, v54, v28, vcc
	v_pk_add_f32 v[36:37], v[36:37], 1.0 op_sel_hi:[1,0]
	v_pk_add_f32 v[34:35], v[34:35], 1.0 op_sel_hi:[1,0]
	v_ldexp_f32 v26, v26, v27
	v_mul_f32_e32 v27, 0xbfd9db23, v23
	v_mul_f32_e32 v48, 0x3fb8aa3b, v27
	v_fma_f32 v49, v27, s38, -v48
	v_rndne_f32_e32 v51, v48
	v_fmac_f32_e32 v49, 0x32a5705f, v27
	v_sub_f32_e32 v48, v48, v51
	v_add_f32_e32 v48, v48, v49
	v_exp_f32_e32 v48, v48
	v_cvt_i32_f32_e32 v49, v51
	v_cmp_ngt_f32_e32 vcc, s39, v27
	v_cmp_nlt_f32_e64 s[0:1], s40, v27
	v_pk_mul_f32 v[42:43], v[36:37], v[42:43]
	v_ldexp_f32 v48, v48, v49
	v_cndmask_b32_e32 v27, 0, v48, vcc
	v_mul_f32_e32 v48, 0xbfd9db23, v18
	v_mul_f32_e32 v30, 0x3fb8aa3b, v48
	v_fma_f32 v31, v48, s38, -v30
	v_rndne_f32_e32 v49, v30
	v_fmac_f32_e32 v31, 0x32a5705f, v48
	v_sub_f32_e32 v30, v30, v49
	v_add_f32_e32 v30, v30, v31
	v_exp_f32_e32 v30, v30
	v_cvt_i32_f32_e32 v31, v49
	v_cmp_ngt_f32_e32 vcc, s39, v50
	v_cndmask_b32_e64 v27, v54, v27, s[0:1]
	v_perm_b32 v37, v39, v38, s42
	v_ldexp_f32 v30, v30, v31
	v_mul_f32_e32 v31, 0xbfd9db23, v19
	v_mul_f32_e32 v49, 0x3fb8aa3b, v31
	v_cndmask_b32_e32 v26, 0, v26, vcc
	v_cmp_nlt_f32_e32 vcc, s40, v50
	v_fma_f32 v50, v31, s38, -v49
	v_rndne_f32_e32 v51, v49
	v_fmac_f32_e32 v50, 0x32a5705f, v31
	v_sub_f32_e32 v49, v49, v51
	v_add_f32_e32 v49, v49, v50
	v_exp_f32_e32 v49, v49
	v_cvt_i32_f32_e32 v50, v51
	v_cndmask_b32_e32 v26, v54, v26, vcc
	v_cmp_ngt_f32_e32 vcc, s39, v31
	v_cmp_nlt_f32_e64 s[0:1], s40, v31
	v_ldexp_f32 v49, v49, v50
	v_cndmask_b32_e32 v31, 0, v49, vcc
	v_cmp_ngt_f32_e32 vcc, s39, v48
	v_cndmask_b32_e64 v31, v54, v31, s[0:1]
	v_perm_b32 v36, v43, v42, s42
	v_cndmask_b32_e32 v30, 0, v30, vcc
	v_cmp_nlt_f32_e32 vcc, s40, v48
	v_mul_f32_e32 v48, 0xbfd9db23, v8
	v_mul_f32_e32 v32, 0x3fb8aa3b, v48
	v_fma_f32 v33, v48, s38, -v32
	v_rndne_f32_e32 v49, v32
	v_fmac_f32_e32 v33, 0x32a5705f, v48
	v_sub_f32_e32 v32, v32, v49
	v_add_f32_e32 v32, v32, v33
	v_exp_f32_e32 v32, v32
	v_cvt_i32_f32_e32 v33, v49
	v_cndmask_b32_e32 v30, v54, v30, vcc
	v_add_f32_e32 v28, 1.0, v28
	v_add_f32_e32 v29, 1.0, v29
	v_ldexp_f32 v32, v32, v33
	v_mul_f32_e32 v33, 0xbfd9db23, v9
	v_mul_f32_e32 v49, 0x3fb8aa3b, v33
	v_fma_f32 v50, v33, s38, -v49
	v_rndne_f32_e32 v51, v49
	v_fmac_f32_e32 v50, 0x32a5705f, v33
	v_sub_f32_e32 v49, v49, v51
	v_add_f32_e32 v49, v49, v50
	v_exp_f32_e32 v49, v49
	v_cvt_i32_f32_e32 v50, v51
	v_cmp_ngt_f32_e32 vcc, s39, v33
	v_cmp_nlt_f32_e64 s[0:1], s40, v33
	v_rcp_f32_e32 v28, v28
	v_ldexp_f32 v49, v49, v50
	v_cndmask_b32_e32 v33, 0, v49, vcc
	v_cmp_ngt_f32_e32 vcc, s39, v48
	v_cndmask_b32_e64 v33, v54, v33, s[0:1]
	v_rcp_f32_e32 v29, v29
	v_cndmask_b32_e32 v32, 0, v32, vcc
	v_cmp_nlt_f32_e32 vcc, s40, v48
	v_mul_f32_e32 v48, 0xbfd9db23, v2
	v_mul_f32_e32 v46, 0x3fb8aa3b, v48
	v_fma_f32 v47, v48, s38, -v46
	v_rndne_f32_e32 v49, v46
	v_fmac_f32_e32 v47, 0x32a5705f, v48
	v_sub_f32_e32 v46, v46, v49
	v_add_f32_e32 v46, v46, v47
	v_exp_f32_e32 v46, v46
	v_cvt_i32_f32_e32 v47, v49
	v_cndmask_b32_e32 v32, v54, v32, vcc
	v_pk_mul_f32 v[28:29], v[24:25], v[28:29]
	v_add_f32_e32 v26, 1.0, v26
	v_ldexp_f32 v49, v46, v47
	v_mul_f32_e32 v46, 0xbfd9db23, v3
	v_mul_f32_e32 v47, 0x3fb8aa3b, v46
	v_fma_f32 v50, v46, s38, -v47
	v_rndne_f32_e32 v51, v47
	v_fmac_f32_e32 v50, 0x32a5705f, v46
	v_sub_f32_e32 v47, v47, v51
	v_add_f32_e32 v47, v47, v50
	v_exp_f32_e32 v47, v47
	v_cvt_i32_f32_e32 v50, v51
	v_cmp_ngt_f32_e32 vcc, s39, v46
	v_cmp_nlt_f32_e64 s[0:1], s40, v46
	v_add_f32_e32 v27, 1.0, v27
	v_ldexp_f32 v50, v47, v50
	v_pk_mul_f32 v[46:47], v[34:35], v[40:41]
	v_perm_b32 v35, v45, v44, s42
	buffer_load_dwordx4 v[38:41], v53, s[24:27], 16 offen
	v_perm_b32 v34, v47, v46, s42
	buffer_store_dwordx4 v[34:37], v53, s[8:11], 0 offen
	buffer_load_dwordx4 v[34:37], v52, s[16:19], 32 offen
	v_rcp_f32_e32 v26, v26
	v_rcp_f32_e32 v27, v27
	v_add_f32_e32 v30, 1.0, v30
	v_add_f32_e32 v31, 1.0, v31
	v_rcp_f32_e32 v30, v30
	v_rcp_f32_e32 v31, v31
	v_pk_mul_f32 v[26:27], v[22:23], v[26:27]
	v_add_f32_e32 v32, 1.0, v32
	v_add_f32_e32 v33, 1.0, v33
	v_rcp_f32_e32 v32, v32
	v_rcp_f32_e32 v33, v33
	v_min_f32_e32 v7, 0x40e00000, v7
	v_min_f32_e32 v4, 0x40e00000, v4
	;; [unrolled: 1-line block ×3, first 2 shown]
	s_waitcnt vmcnt(2)
	v_and_b32_e32 v43, 0xffff0000, v40
	v_lshlrev_b32_e32 v42, 16, v40
	v_and_b32_e32 v45, 0xffff0000, v38
	v_lshlrev_b32_e32 v44, 16, v38
	;; [unrolled: 2-line block ×4, first 2 shown]
	s_waitcnt vmcnt(0)
	v_pk_add_f32 v[40:41], v[36:37], v[40:41]
	v_pk_add_f32 v[44:45], v[34:35], v[44:45]
	buffer_load_dwordx4 v[34:37], v52, s[16:19], 48 offen
	v_cndmask_b32_e32 v38, 0, v50, vcc
	v_cmp_ngt_f32_e32 vcc, s39, v48
	v_mul_f32_e32 v50, 0xbfd9db23, v0
	v_cndmask_b32_e64 v38, v54, v38, s[0:1]
	v_cndmask_b32_e32 v39, 0, v49, vcc
	v_cmp_nlt_f32_e32 vcc, s40, v48
	s_waitcnt vmcnt(0)
	v_pk_add_f32 v[48:49], v[34:35], v[42:43]
	v_mul_f32_e32 v34, 0x3fb8aa3b, v50
	v_pk_add_f32 v[46:47], v[36:37], v[46:47]
	v_fma_f32 v35, v50, s38, -v34
	v_rndne_f32_e32 v36, v34
	v_fmac_f32_e32 v35, 0x32a5705f, v50
	v_sub_f32_e32 v34, v34, v36
	v_add_f32_e32 v34, v34, v35
	v_exp_f32_e32 v37, v34
	v_cvt_i32_f32_e32 v36, v36
	v_cndmask_b32_e32 v39, v54, v39, vcc
	v_add_f32_e32 v39, 1.0, v39
	v_add_f32_e32 v35, 1.0, v38
	v_ldexp_f32 v36, v37, v36
	v_mul_f32_e32 v37, 0xbfd9db23, v1
	v_mul_f32_e32 v38, 0x3fb8aa3b, v37
	v_rcp_f32_e32 v34, v39
	v_fma_f32 v39, v37, s38, -v38
	v_rndne_f32_e32 v42, v38
	v_fmac_f32_e32 v39, 0x32a5705f, v37
	v_sub_f32_e32 v38, v38, v42
	v_add_f32_e32 v38, v38, v39
	v_exp_f32_e32 v38, v38
	v_cvt_i32_f32_e32 v39, v42
	v_cmp_ngt_f32_e32 vcc, s39, v50
	v_med3_f32 v42, v40, s41, v55
	v_med3_f32 v40, v44, s41, v55
	v_cndmask_b32_e32 v36, 0, v36, vcc
	v_cmp_nlt_f32_e32 vcc, s40, v50
	v_ldexp_f32 v38, v38, v39
	v_min_f32_e32 v39, 0x40e00000, v15
	v_cndmask_b32_e32 v36, v54, v36, vcc
	v_cmp_ngt_f32_e32 vcc, s39, v37
	v_min_f32_e32 v15, 0x40e00000, v13
	v_min_f32_e32 v13, 0x40e00000, v17
	v_cndmask_b32_e32 v38, 0, v38, vcc
	v_cmp_nlt_f32_e32 vcc, s40, v37
	v_med3_f32 v44, v48, s41, v55
	v_med3_f32 v43, v41, s41, v55
	v_cndmask_b32_e32 v37, v54, v38, vcc
	v_min_f32_e32 v38, 0x40e00000, v14
	v_mul_f32_e32 v50, 0xbfd9db23, v38
	v_min_f32_e32 v14, 0x40e00000, v12
	v_min_f32_e32 v12, 0x40e00000, v16
	v_mul_f32_e32 v16, 0x3fb8aa3b, v50
	v_fma_f32 v17, v50, s38, -v16
	v_rndne_f32_e32 v48, v16
	v_fmac_f32_e32 v17, 0x32a5705f, v50
	v_sub_f32_e32 v16, v16, v48
	v_add_f32_e32 v16, v16, v17
	v_mul_f32_e32 v17, 0xbfd9db23, v39
	v_mul_f32_e32 v24, 0x3fb8aa3b, v17
	v_med3_f32 v41, v45, s41, v55
	v_med3_f32 v45, v49, s41, v55
	v_fma_f32 v25, v17, s38, -v24
	v_rndne_f32_e32 v49, v24
	v_fmac_f32_e32 v25, 0x32a5705f, v17
	v_sub_f32_e32 v24, v24, v49
	v_add_f32_e32 v24, v24, v25
	v_exp_f32_e32 v16, v16
	v_cvt_i32_f32_e32 v25, v48
	v_exp_f32_e32 v24, v24
	v_cmp_ngt_f32_e64 s[2:3], s39, v17
	v_cmp_nlt_f32_e64 s[4:5], s40, v17
	v_ldexp_f32 v16, v16, v25
	v_cvt_i32_f32_e32 v25, v49
	v_cmp_ngt_f32_e32 vcc, s39, v50
	v_cmp_nlt_f32_e64 s[0:1], s40, v50
	v_med3_f32 v47, v47, s41, v55
	v_ldexp_f32 v24, v24, v25
	v_mul_f32_e32 v25, 0xbfd9db23, v14
	v_mul_f32_e32 v48, 0x3fb8aa3b, v25
	v_fma_f32 v49, v25, s38, -v48
	v_rndne_f32_e32 v51, v48
	v_fmac_f32_e32 v49, 0x32a5705f, v25
	v_sub_f32_e32 v48, v48, v51
	v_add_f32_e32 v48, v48, v49
	v_cndmask_b32_e64 v17, 0, v24, s[2:3]
	v_exp_f32_e32 v24, v48
	v_cvt_i32_f32_e32 v48, v51
	v_cndmask_b32_e32 v16, 0, v16, vcc
	v_cndmask_b32_e64 v16, v54, v16, s[0:1]
	v_cmp_ngt_f32_e32 vcc, s39, v25
	v_ldexp_f32 v24, v24, v48
	v_mul_f32_e32 v48, 0xbfd9db23, v15
	v_mul_f32_e32 v49, 0x3fb8aa3b, v48
	v_fma_f32 v50, v48, s38, -v49
	v_rndne_f32_e32 v51, v49
	v_fmac_f32_e32 v50, 0x32a5705f, v48
	v_sub_f32_e32 v49, v49, v51
	v_add_f32_e32 v49, v49, v50
	v_cmp_nlt_f32_e64 s[0:1], s40, v25
	v_exp_f32_e32 v25, v49
	v_cvt_i32_f32_e32 v49, v51
	v_mul_f32_e32 v50, 0xbfd9db23, v12
	v_cndmask_b32_e32 v24, 0, v24, vcc
	v_mul_f32_e32 v22, 0x3fb8aa3b, v50
	v_ldexp_f32 v25, v25, v49
	v_cndmask_b32_e64 v24, v54, v24, s[0:1]
	v_cmp_ngt_f32_e32 vcc, s39, v48
	v_cmp_nlt_f32_e64 s[0:1], s40, v48
	v_fma_f32 v23, v50, s38, -v22
	v_rndne_f32_e32 v51, v22
	v_pk_mul_f32 v[48:49], v[18:19], v[30:31]
	v_mul_f32_e32 v18, 0xbfd9db23, v13
	v_fmac_f32_e32 v23, 0x32a5705f, v50
	v_sub_f32_e32 v22, v22, v51
	v_mul_f32_e32 v19, 0x3fb8aa3b, v18
	v_add_f32_e32 v22, v22, v23
	v_fma_f32 v23, v18, s38, -v19
	v_rndne_f32_e32 v30, v19
	v_fmac_f32_e32 v23, 0x32a5705f, v18
	v_sub_f32_e32 v19, v19, v30
	v_add_f32_e32 v19, v19, v23
	v_exp_f32_e32 v22, v22
	v_cvt_i32_f32_e32 v23, v51
	v_exp_f32_e32 v19, v19
	v_cndmask_b32_e32 v25, 0, v25, vcc
	v_cmp_ngt_f32_e32 vcc, s39, v50
	v_ldexp_f32 v22, v22, v23
	v_cvt_i32_f32_e32 v23, v30
	v_cndmask_b32_e64 v17, v54, v17, s[4:5]
	v_cmp_ngt_f32_e64 s[2:3], s39, v18
	v_cmp_nlt_f32_e64 s[4:5], s40, v18
	v_ldexp_f32 v19, v19, v23
	v_mul_f32_e32 v23, 0xbfd9db23, v10
	v_mul_f32_e32 v30, 0x3fb8aa3b, v23
	v_fma_f32 v31, v23, s38, -v30
	v_rndne_f32_e32 v51, v30
	v_fmac_f32_e32 v31, 0x32a5705f, v23
	v_sub_f32_e32 v30, v30, v51
	v_add_f32_e32 v30, v30, v31
	v_cndmask_b32_e32 v18, 0, v22, vcc
	v_exp_f32_e32 v22, v30
	v_cvt_i32_f32_e32 v30, v51
	v_cndmask_b32_e64 v25, v54, v25, s[0:1]
	v_cmp_nlt_f32_e64 s[0:1], s40, v50
	v_cmp_ngt_f32_e32 vcc, s39, v23
	v_ldexp_f32 v22, v22, v30
	v_mul_f32_e32 v30, 0xbfd9db23, v11
	v_mul_f32_e32 v31, 0x3fb8aa3b, v30
	v_fma_f32 v50, v30, s38, -v31
	v_rndne_f32_e32 v51, v31
	v_fmac_f32_e32 v50, 0x32a5705f, v30
	v_sub_f32_e32 v31, v31, v51
	v_add_f32_e32 v31, v31, v50
	v_cndmask_b32_e64 v18, v54, v18, s[0:1]
	v_cmp_nlt_f32_e64 s[0:1], s40, v23
	v_exp_f32_e32 v23, v31
	v_cvt_i32_f32_e32 v31, v51
	v_cndmask_b32_e32 v22, 0, v22, vcc
	v_mul_f32_e32 v50, 0xbfd9db23, v6
	v_cndmask_b32_e64 v22, v54, v22, s[0:1]
	v_ldexp_f32 v23, v23, v31
	v_cmp_ngt_f32_e32 vcc, s39, v30
	v_cmp_nlt_f32_e64 s[0:1], s40, v30
	v_pk_mul_f32 v[30:31], v[8:9], v[32:33]
	v_mul_f32_e32 v8, 0x3fb8aa3b, v50
	v_fma_f32 v9, v50, s38, -v8
	v_rndne_f32_e32 v32, v8
	v_fmac_f32_e32 v9, 0x32a5705f, v50
	v_sub_f32_e32 v8, v8, v32
	v_add_f32_e32 v8, v8, v9
	v_exp_f32_e32 v8, v8
	v_cvt_i32_f32_e32 v9, v32
	v_cndmask_b32_e32 v23, 0, v23, vcc
	v_cndmask_b32_e64 v23, v54, v23, s[0:1]
	v_med3_f32 v46, v46, s41, v55
	v_ldexp_f32 v8, v8, v9
	v_mul_f32_e32 v9, 0xbfd9db23, v7
	v_mul_f32_e32 v32, 0x3fb8aa3b, v9
	v_fma_f32 v33, v9, s38, -v32
	v_rndne_f32_e32 v51, v32
	v_fmac_f32_e32 v33, 0x32a5705f, v9
	v_sub_f32_e32 v32, v32, v51
	v_add_f32_e32 v32, v32, v33
	v_exp_f32_e32 v32, v32
	v_cvt_i32_f32_e32 v33, v51
	v_cmp_ngt_f32_e32 vcc, s39, v9
	v_cmp_nlt_f32_e64 s[0:1], s40, v9
	v_pk_add_f32 v[42:43], v[42:43], 1.0 op_sel_hi:[1,0]
	v_ldexp_f32 v32, v32, v33
	v_cndmask_b32_e32 v9, 0, v32, vcc
	v_mul_f32_e32 v32, 0xbfd9db23, v4
	v_cmp_ngt_f32_e32 vcc, s39, v50
	v_mul_f32_e32 v33, 0x3fb8aa3b, v32
	v_rndne_f32_e32 v51, v33
	v_cndmask_b32_e32 v8, 0, v8, vcc
	v_cmp_nlt_f32_e32 vcc, s40, v50
	v_fma_f32 v50, v32, s38, -v33
	v_fmac_f32_e32 v50, 0x32a5705f, v32
	v_sub_f32_e32 v33, v33, v51
	v_add_f32_e32 v33, v33, v50
	v_exp_f32_e32 v33, v33
	v_cvt_i32_f32_e32 v50, v51
	v_cndmask_b32_e32 v8, v54, v8, vcc
	v_cndmask_b32_e64 v9, v54, v9, s[0:1]
	v_cmp_ngt_f32_e32 vcc, s39, v32
	v_ldexp_f32 v50, v33, v50
	v_cmp_nlt_f32_e64 s[0:1], s40, v32
	v_pk_add_f32 v[32:33], v[46:47], 1.0 op_sel_hi:[1,0]
	v_pk_add_f32 v[44:45], v[44:45], 1.0 op_sel_hi:[1,0]
	v_pk_add_f32 v[40:41], v[40:41], 1.0 op_sel_hi:[1,0]
	v_pk_mul_f32 v[26:27], v[42:43], v[26:27]
	v_pk_mul_f32 v[42:43], v[32:33], v[30:31]
	buffer_load_dwordx4 v[30:33], v53, s[24:27], 32 offen
	v_pk_mul_f32 v[46:47], v[40:41], v[28:29]
	v_pk_mul_f32 v[40:41], v[44:45], v[48:49]
	v_perm_b32 v29, v43, v42, s42
	v_perm_b32 v28, v41, v40, s42
	buffer_load_dwordx4 v[40:43], v52, s[16:19], 64 offen
	v_perm_b32 v27, v27, v26, s42
	v_perm_b32 v26, v47, v46, s42
	buffer_store_dwordx4 v[26:29], v53, s[8:11], 16 offen
	buffer_load_dwordx4 v[26:29], v52, s[16:19], s35 offen
	v_mul_f32_e32 v51, 0xbfd9db23, v5
	v_add_f32_e32 v36, 1.0, v36
	v_add_f32_e32 v37, 1.0, v37
	v_rcp_f32_e32 v35, v35
	v_rcp_f32_e32 v36, v36
	;; [unrolled: 1-line block ×3, first 2 shown]
	v_add_f32_e32 v16, 1.0, v16
	v_pk_mul_f32 v[34:35], v[2:3], v[34:35]
	v_add_f32_e32 v17, 1.0, v17
	v_pk_mul_f32 v[36:37], v[0:1], v[36:37]
	buffer_load_dwordx4 v[0:3], v52, s[16:19], s37 offen
	v_rcp_f32_e32 v16, v16
	v_rcp_f32_e32 v17, v17
	v_add_f32_e32 v24, 1.0, v24
	v_add_f32_e32 v25, 1.0, v25
	v_rcp_f32_e32 v24, v24
	v_rcp_f32_e32 v25, v25
	v_pk_mul_f32 v[16:17], v[38:39], v[16:17]
	v_cndmask_b32_e32 v38, 0, v50, vcc
	v_cmp_ngt_f32_e32 vcc, s39, v51
	v_cndmask_b32_e64 v19, 0, v19, s[2:3]
	v_cndmask_b32_e64 v38, v54, v38, s[0:1]
	v_cmp_nlt_f32_e64 s[0:1], s40, v51
	v_cndmask_b32_e64 v19, v54, v19, s[4:5]
	v_pk_mul_f32 v[14:15], v[14:15], v[24:25]
	v_add_f32_e32 v18, 1.0, v18
	v_add_f32_e32 v19, 1.0, v19
	;; [unrolled: 1-line block ×7, first 2 shown]
	v_rcp_f32_e32 v18, v18
	v_rcp_f32_e32 v19, v19
	;; [unrolled: 1-line block ×7, first 2 shown]
	v_pk_mul_f32 v[12:13], v[12:13], v[18:19]
	v_pk_mul_f32 v[10:11], v[10:11], v[22:23]
	;; [unrolled: 1-line block ×3, first 2 shown]
	s_waitcnt vmcnt(4)
	v_and_b32_e32 v45, 0xffff0000, v32
	v_lshlrev_b32_e32 v44, 16, v32
	v_and_b32_e32 v47, 0xffff0000, v30
	v_lshlrev_b32_e32 v46, 16, v30
	v_and_b32_e32 v49, 0xffff0000, v33
	v_lshlrev_b32_e32 v48, 16, v33
	v_and_b32_e32 v33, 0xffff0000, v31
	v_lshlrev_b32_e32 v32, 16, v31
	s_waitcnt vmcnt(3)
	v_pk_add_f32 v[30:31], v[42:43], v[32:33]
	v_pk_add_f32 v[32:33], v[40:41], v[46:47]
	v_mul_f32_e32 v40, 0x3fb8aa3b, v51
	v_fma_f32 v41, v51, s38, -v40
	v_rndne_f32_e32 v42, v40
	v_fmac_f32_e32 v41, 0x32a5705f, v51
	v_sub_f32_e32 v40, v40, v42
	v_add_f32_e32 v40, v40, v41
	v_exp_f32_e32 v46, v40
	v_cvt_i32_f32_e32 v47, v42
	s_waitcnt vmcnt(1)
	v_pk_add_f32 v[40:41], v[28:29], v[48:49]
	v_pk_add_f32 v[42:43], v[26:27], v[44:45]
	buffer_load_dwordx4 v[26:29], v53, s[24:27], 48 offen
	v_ldexp_f32 v48, v46, v47
	v_med3_f32 v45, v31, s41, v55
	v_med3_f32 v44, v30, s41, v55
	;; [unrolled: 1-line block ×4, first 2 shown]
	buffer_load_dwordx4 v[30:33], v52, s[16:19], s36 offen
	v_med3_f32 v41, v41, s41, v55
	v_med3_f32 v40, v40, s41, v55
	;; [unrolled: 1-line block ×4, first 2 shown]
	v_cndmask_b32_e32 v39, 0, v48, vcc
	v_cndmask_b32_e64 v39, v54, v39, s[0:1]
	v_pk_add_f32 v[40:41], v[40:41], 1.0 op_sel_hi:[1,0]
	v_pk_add_f32 v[44:45], v[44:45], 1.0 op_sel_hi:[1,0]
	v_pk_add_f32 v[42:43], v[42:43], 1.0 op_sel_hi:[1,0]
	v_pk_add_f32 v[46:47], v[46:47], 1.0 op_sel_hi:[1,0]
	v_add_f32_e32 v39, 1.0, v39
	v_pk_mul_f32 v[24:25], v[44:45], v[36:37]
	v_pk_mul_f32 v[14:15], v[40:41], v[14:15]
	;; [unrolled: 1-line block ×4, first 2 shown]
	v_rcp_f32_e32 v39, v39
	v_perm_b32 v17, v15, v14, s42
	v_perm_b32 v15, v25, v24, s42
	;; [unrolled: 1-line block ×4, first 2 shown]
	buffer_store_dwordx4 v[14:17], v53, s[8:11], 32 offen
	v_pk_mul_f32 v[4:5], v[4:5], v[38:39]
	v_cmp_le_i64_e32 vcc, s[6:7], v[20:21]
	v_add_u32_e32 v52, s33, v52
	s_or_b64 s[30:31], vcc, s[30:31]
	s_waitcnt vmcnt(2)
	v_and_b32_e32 v15, 0xffff0000, v28
	v_lshlrev_b32_e32 v14, 16, v28
	v_and_b32_e32 v17, 0xffff0000, v26
	v_lshlrev_b32_e32 v16, 16, v26
	;; [unrolled: 2-line block ×4, first 2 shown]
	s_waitcnt vmcnt(1)
	v_pk_add_f32 v[26:27], v[32:33], v[28:29]
	v_pk_add_f32 v[2:3], v[2:3], v[24:25]
	;; [unrolled: 1-line block ×4, first 2 shown]
	v_med3_f32 v15, v27, s41, v55
	v_med3_f32 v14, v26, s41, v55
	;; [unrolled: 1-line block ×8, first 2 shown]
	v_pk_add_f32 v[2:3], v[2:3], 1.0 op_sel_hi:[1,0]
	v_pk_add_f32 v[14:15], v[14:15], 1.0 op_sel_hi:[1,0]
	;; [unrolled: 1-line block ×4, first 2 shown]
	v_pk_mul_f32 v[8:9], v[14:15], v[10:11]
	v_pk_mul_f32 v[2:3], v[2:3], v[4:5]
	v_pk_mul_f32 v[4:5], v[16:17], v[12:13]
	v_pk_mul_f32 v[6:7], v[0:1], v[6:7]
	v_perm_b32 v3, v3, v2, s42
	v_perm_b32 v1, v9, v8, s42
	;; [unrolled: 1-line block ×4, first 2 shown]
	buffer_store_dwordx4 v[0:3], v53, s[8:11], 48 offen
	v_add_u32_e32 v53, s34, v53
	s_andn2_b64 exec, exec, s[30:31]
	s_cbranch_execnz .LBB265_8
.LBB265_9:
	s_endpgm
	.section	.rodata,"a",@progbits
	.p2align	6, 0x0
	.amdhsa_kernel _ZN5aiter30swiglu_act_and_mul_bias_kernelIttafLi32EEEvPT0_PKT_PKT1_PKT2_il
		.amdhsa_group_segment_fixed_size 0
		.amdhsa_private_segment_fixed_size 0
		.amdhsa_kernarg_size 304
		.amdhsa_user_sgpr_count 2
		.amdhsa_user_sgpr_dispatch_ptr 0
		.amdhsa_user_sgpr_queue_ptr 0
		.amdhsa_user_sgpr_kernarg_segment_ptr 1
		.amdhsa_user_sgpr_dispatch_id 0
		.amdhsa_user_sgpr_kernarg_preload_length 0
		.amdhsa_user_sgpr_kernarg_preload_offset 0
		.amdhsa_user_sgpr_private_segment_size 0
		.amdhsa_uses_dynamic_stack 0
		.amdhsa_enable_private_segment 0
		.amdhsa_system_sgpr_workgroup_id_x 1
		.amdhsa_system_sgpr_workgroup_id_y 0
		.amdhsa_system_sgpr_workgroup_id_z 0
		.amdhsa_system_sgpr_workgroup_info 0
		.amdhsa_system_vgpr_workitem_id 0
		.amdhsa_next_free_vgpr 60
		.amdhsa_next_free_sgpr 43
		.amdhsa_accum_offset 60
		.amdhsa_reserve_vcc 1
		.amdhsa_float_round_mode_32 0
		.amdhsa_float_round_mode_16_64 0
		.amdhsa_float_denorm_mode_32 3
		.amdhsa_float_denorm_mode_16_64 3
		.amdhsa_dx10_clamp 1
		.amdhsa_ieee_mode 1
		.amdhsa_fp16_overflow 0
		.amdhsa_tg_split 0
		.amdhsa_exception_fp_ieee_invalid_op 0
		.amdhsa_exception_fp_denorm_src 0
		.amdhsa_exception_fp_ieee_div_zero 0
		.amdhsa_exception_fp_ieee_overflow 0
		.amdhsa_exception_fp_ieee_underflow 0
		.amdhsa_exception_fp_ieee_inexact 0
		.amdhsa_exception_int_div_zero 0
	.end_amdhsa_kernel
	.section	.text._ZN5aiter30swiglu_act_and_mul_bias_kernelIttafLi32EEEvPT0_PKT_PKT1_PKT2_il,"axG",@progbits,_ZN5aiter30swiglu_act_and_mul_bias_kernelIttafLi32EEEvPT0_PKT_PKT1_PKT2_il,comdat
.Lfunc_end265:
	.size	_ZN5aiter30swiglu_act_and_mul_bias_kernelIttafLi32EEEvPT0_PKT_PKT1_PKT2_il, .Lfunc_end265-_ZN5aiter30swiglu_act_and_mul_bias_kernelIttafLi32EEEvPT0_PKT_PKT1_PKT2_il
                                        ; -- End function
	.section	.AMDGPU.csdata,"",@progbits
; Kernel info:
; codeLenInByte = 5512
; NumSgprs: 49
; NumVgprs: 60
; NumAgprs: 0
; TotalNumVgprs: 60
; ScratchSize: 0
; MemoryBound: 0
; FloatMode: 240
; IeeeMode: 1
; LDSByteSize: 0 bytes/workgroup (compile time only)
; SGPRBlocks: 6
; VGPRBlocks: 7
; NumSGPRsForWavesPerEU: 49
; NumVGPRsForWavesPerEU: 60
; AccumOffset: 60
; Occupancy: 8
; WaveLimiterHint : 0
; COMPUTE_PGM_RSRC2:SCRATCH_EN: 0
; COMPUTE_PGM_RSRC2:USER_SGPR: 2
; COMPUTE_PGM_RSRC2:TRAP_HANDLER: 0
; COMPUTE_PGM_RSRC2:TGID_X_EN: 1
; COMPUTE_PGM_RSRC2:TGID_Y_EN: 0
; COMPUTE_PGM_RSRC2:TGID_Z_EN: 0
; COMPUTE_PGM_RSRC2:TIDIG_COMP_CNT: 0
; COMPUTE_PGM_RSRC3_GFX90A:ACCUM_OFFSET: 14
; COMPUTE_PGM_RSRC3_GFX90A:TG_SPLIT: 0
	.section	.text._ZN5aiter30swiglu_act_and_mul_bias_kernelIttafLi16EEEvPT0_PKT_PKT1_PKT2_il,"axG",@progbits,_ZN5aiter30swiglu_act_and_mul_bias_kernelIttafLi16EEEvPT0_PKT_PKT1_PKT2_il,comdat
	.protected	_ZN5aiter30swiglu_act_and_mul_bias_kernelIttafLi16EEEvPT0_PKT_PKT1_PKT2_il ; -- Begin function _ZN5aiter30swiglu_act_and_mul_bias_kernelIttafLi16EEEvPT0_PKT_PKT1_PKT2_il
	.globl	_ZN5aiter30swiglu_act_and_mul_bias_kernelIttafLi16EEEvPT0_PKT_PKT1_PKT2_il
	.p2align	8
	.type	_ZN5aiter30swiglu_act_and_mul_bias_kernelIttafLi16EEEvPT0_PKT_PKT1_PKT2_il,@function
_ZN5aiter30swiglu_act_and_mul_bias_kernelIttafLi16EEEvPT0_PKT_PKT1_PKT2_il: ; @_ZN5aiter30swiglu_act_and_mul_bias_kernelIttafLi16EEEvPT0_PKT_PKT1_PKT2_il
; %bb.0:
	s_load_dwordx2 s[4:5], s[0:1], 0x10
	s_load_dword s20, s[0:1], 0x20
	s_load_dwordx2 s[6:7], s[0:1], 0x28
	v_mov_b32_e32 v1, s2
	s_mov_b32 s9, 0
	s_waitcnt lgkmcnt(0)
	global_load_ubyte v1, v1, s[4:5]
	s_add_i32 s3, s20, 1
	v_mov_b64_e32 v[2:3], s[6:7]
	s_lshr_b32 s6, s3, 31
	s_add_i32 s3, s3, s6
	s_load_dwordx2 s[4:5], s[0:1], 0x0
	s_lshl_b32 s3, s3, 1
	s_ashr_i32 s21, s20, 31
	s_and_b32 s6, s3, -4
	s_mul_hi_u32 s8, s20, s2
	s_mul_i32 s7, s21, s2
	s_mul_i32 s12, s20, s2
	s_add_i32 s13, s8, s7
	s_lshl_b64 s[12:13], s[12:13], 1
	s_mov_b64 s[10:11], -1
	v_lshlrev_b32_e32 v32, 4, v0
	s_waitcnt vmcnt(0)
	v_readfirstlane_b32 s3, v1
	s_nop 1
	v_mov_b32_e32 v4, s3
	s_sext_i32_i8 s3, s3
	v_readfirstlane_b32 s8, v4
	s_bfe_i64 s[8:9], s[8:9], 0x80000
	s_waitcnt lgkmcnt(0)
	s_add_u32 s4, s4, s12
	s_addc_u32 s5, s5, s13
	s_and_b32 s5, s5, 0xffff
	s_cmp_gt_i32 s3, -1
	v_cmp_lt_i64_e32 vcc, s[8:9], v[2:3]
	s_cselect_b64 s[12:13], -1, 0
	s_and_b64 s[12:13], s[12:13], vcc
	s_and_b64 vcc, exec, s[12:13]
	s_cbranch_vccnz .LBB266_5
; %bb.1:
	v_cmp_gt_i32_e32 vcc, s20, v32
	s_and_saveexec_b64 s[10:11], vcc
	s_cbranch_execz .LBB266_4
; %bb.2:
	s_load_dword s3, s[0:1], 0x3c
	s_mov_b32 s13, 0
	s_mov_b32 s16, s13
	;; [unrolled: 1-line block ×3, first 2 shown]
	v_mov_b32_e32 v33, 0
	s_waitcnt lgkmcnt(0)
	s_and_b32 s3, s3, 0xffff
	s_mov_b32 s18, s13
	s_mov_b32 s19, s13
	v_mov_b64_e32 v[2:3], s[16:17]
	v_lshlrev_b32_e32 v1, 5, v0
	s_lshl_b32 s12, s3, 4
	s_lshl_b32 s3, s3, 5
	s_mov_b64 s[14:15], 0
	s_mov_b32 s7, 0x20000
	v_mov_b64_e32 v[4:5], s[18:19]
	v_mov_b64_e32 v[6:7], v[32:33]
.LBB266_3:                              ; =>This Inner Loop Header: Depth=1
	v_lshl_add_u64 v[6:7], s[12:13], 0, v[6:7]
	v_cmp_le_i64_e32 vcc, s[20:21], v[6:7]
	buffer_store_dwordx4 v[2:5], v1, s[4:7], 0 offen
	buffer_store_dwordx4 v[2:5], v1, s[4:7], 16 offen
	s_or_b64 s[14:15], vcc, s[14:15]
	v_add_u32_e32 v1, s3, v1
	s_andn2_b64 exec, exec, s[14:15]
	s_cbranch_execnz .LBB266_3
.LBB266_4:
	s_or_b64 exec, exec, s[10:11]
	s_mov_b64 s[10:11], 0
.LBB266_5:
	s_andn2_b64 vcc, exec, s[10:11]
	s_cbranch_vccnz .LBB266_9
; %bb.6:
	v_cmp_gt_i32_e32 vcc, s20, v32
	s_and_saveexec_b64 s[10:11], vcc
	s_cbranch_execz .LBB266_9
; %bb.7:
	s_load_dwordx2 s[12:13], s[0:1], 0x8
	s_load_dwordx2 s[10:11], s[0:1], 0x18
	s_mul_hi_i32 s9, s20, s8
	s_mul_i32 s8, s20, s8
	s_lshl_b64 s[8:9], s[8:9], 3
	s_load_dword s14, s[0:1], 0x3c
	s_waitcnt lgkmcnt(0)
	s_add_u32 s8, s10, s8
	s_addc_u32 s3, s11, s9
	s_lshl_b64 s[0:1], s[20:21], 2
	s_add_u32 s0, s8, s0
	s_addc_u32 s1, s3, s1
	s_and_b32 s9, s3, 0xffff
	s_mul_i32 s3, s2, s21
	s_mul_hi_u32 s15, s2, s20
	s_add_i32 s3, s15, s3
	s_mul_i32 s2, s2, s20
	s_lshl_b32 s10, s20, 2
	s_and_b32 s1, s1, 0xffff
	s_lshl_b64 s[2:3], s[2:3], 2
	s_add_u32 s12, s12, s2
	s_addc_u32 s13, s13, s3
	s_lshl_b64 s[2:3], s[20:21], 1
	s_add_u32 s16, s12, s2
	s_addc_u32 s2, s13, s3
	s_mov_b32 s7, 0x20000
	s_and_b32 s17, s2, 0xffff
	s_and_b32 s2, s14, 0xffff
	s_mov_b32 s23, 0
	s_mov_b32 s11, s7
	s_and_b32 s13, s13, 0xffff
	v_mov_b32_e32 v33, 0
	s_lshl_b32 s22, s2, 4
	v_lshlrev_b32_e32 v40, 6, v0
	s_lshl_b32 s26, s2, 6
	v_lshlrev_b32_e32 v41, 5, v0
	s_lshl_b32 s27, s2, 5
	s_mov_b64 s[24:25], 0
	s_mov_b32 s28, 0x3fb8aa3b
	s_mov_b32 s29, 0xc2ce8ed0
	;; [unrolled: 1-line block ×3, first 2 shown]
	v_mov_b32_e32 v42, 0x7f800000
	s_mov_b32 s31, 0xc0e00000
	v_mov_b32_e32 v43, 0x40e00000
	s_mov_b32 s33, 0x7060302
	s_mov_b32 s14, s6
	;; [unrolled: 1-line block ×5, first 2 shown]
.LBB266_8:                              ; =>This Inner Loop Header: Depth=1
	buffer_load_dwordx4 v[20:23], v41, s[12:15], 0 offen
	buffer_load_dwordx4 v[28:31], v40, s[8:11], 0 offen
	;; [unrolled: 1-line block ×8, first 2 shown]
	s_mov_b32 s2, s10
	s_mov_b32 s3, s11
	v_lshl_add_u64 v[32:33], s[22:23], 0, v[32:33]
	s_waitcnt vmcnt(7)
	v_and_b32_e32 v35, 0xffff0000, v20
	v_lshlrev_b32_e32 v34, 16, v20
	v_and_b32_e32 v37, 0xffff0000, v21
	v_lshlrev_b32_e32 v36, 16, v21
	;; [unrolled: 2-line block ×3, first 2 shown]
	s_waitcnt vmcnt(6)
	v_pk_add_f32 v[28:29], v[28:29], v[34:35]
	v_pk_add_f32 v[30:31], v[30:31], v[36:37]
	s_waitcnt vmcnt(5)
	v_pk_add_f32 v[36:37], v[24:25], v[20:21]
	v_min_f32_e32 v20, 0x40e00000, v28
	v_min_f32_e32 v21, 0x40e00000, v29
	v_mul_f32_e32 v22, 0xbfd9db23, v20
	v_min_f32_e32 v24, 0x40e00000, v30
	v_mul_f32_e32 v29, 0xbfd9db23, v21
	v_mul_f32_e32 v34, 0x3fb8aa3b, v22
	v_min_f32_e32 v25, 0x40e00000, v31
	v_mul_f32_e32 v30, 0xbfd9db23, v24
	v_mul_f32_e32 v35, 0x3fb8aa3b, v29
	v_fma_f32 v45, v22, s28, -v34
	v_rndne_f32_e32 v46, v34
	v_mul_f32_e32 v31, 0xbfd9db23, v25
	v_mul_f32_e32 v38, 0x3fb8aa3b, v30
	v_fma_f32 v47, v29, s28, -v35
	v_rndne_f32_e32 v48, v35
	v_fmac_f32_e32 v45, 0x32a5705f, v22
	v_sub_f32_e32 v34, v34, v46
	v_mul_f32_e32 v39, 0x3fb8aa3b, v31
	v_fma_f32 v49, v30, s28, -v38
	v_rndne_f32_e32 v50, v38
	v_add_f32_e32 v34, v34, v45
	v_fmac_f32_e32 v47, 0x32a5705f, v29
	v_sub_f32_e32 v35, v35, v48
	v_fma_f32 v51, v31, s28, -v39
	v_rndne_f32_e32 v52, v39
	v_add_f32_e32 v35, v35, v47
	v_cvt_i32_f32_e32 v46, v46
	v_fmac_f32_e32 v49, 0x32a5705f, v30
	v_sub_f32_e32 v38, v38, v50
	v_exp_f32_e32 v34, v34
	v_cvt_i32_f32_e32 v48, v48
	v_fmac_f32_e32 v51, 0x32a5705f, v31
	v_sub_f32_e32 v39, v39, v52
	v_add_f32_e32 v38, v38, v49
	v_exp_f32_e32 v35, v35
	v_cvt_i32_f32_e32 v50, v50
	v_add_f32_e32 v39, v39, v51
	v_exp_f32_e32 v38, v38
	v_cvt_i32_f32_e32 v52, v52
	v_exp_f32_e32 v39, v39
	v_ldexp_f32 v34, v34, v46
	v_cmp_ngt_f32_e32 vcc, s29, v22
	v_ldexp_f32 v35, v35, v48
	v_min_f32_e32 v28, 0x40e00000, v36
	v_cndmask_b32_e32 v34, 0, v34, vcc
	v_cmp_ngt_f32_e32 vcc, s29, v29
	v_ldexp_f32 v38, v38, v50
	v_mul_f32_e32 v36, 0xbfd9db23, v28
	v_cndmask_b32_e32 v35, 0, v35, vcc
	v_cmp_ngt_f32_e32 vcc, s29, v30
	v_ldexp_f32 v39, v39, v52
	v_mul_f32_e32 v44, 0x3fb8aa3b, v36
	v_cndmask_b32_e32 v38, 0, v38, vcc
	v_cmp_ngt_f32_e32 vcc, s29, v31
	v_fma_f32 v45, v36, s28, -v44
	v_rndne_f32_e32 v47, v44
	v_cndmask_b32_e32 v39, 0, v39, vcc
	v_cmp_nlt_f32_e32 vcc, s30, v22
	v_fmac_f32_e32 v45, 0x32a5705f, v36
	v_sub_f32_e32 v44, v44, v47
	v_cndmask_b32_e32 v22, v42, v34, vcc
	v_cmp_nlt_f32_e32 vcc, s30, v29
	v_add_f32_e32 v44, v44, v45
	v_cvt_i32_f32_e32 v47, v47
	v_cndmask_b32_e32 v29, v42, v35, vcc
	v_cmp_nlt_f32_e32 vcc, s30, v30
	v_exp_f32_e32 v44, v44
	v_add_f32_e32 v29, 1.0, v29
	v_cndmask_b32_e32 v30, v42, v38, vcc
	v_cmp_nlt_f32_e32 vcc, s30, v31
	v_add_f32_e32 v22, 1.0, v22
	v_add_f32_e32 v34, 1.0, v30
	v_cndmask_b32_e32 v31, v42, v39, vcc
	v_add_f32_e32 v35, 1.0, v31
	v_rcp_f32_e32 v31, v29
	v_min_f32_e32 v29, 0x40e00000, v37
	v_mul_f32_e32 v37, 0xbfd9db23, v29
	v_mul_f32_e32 v38, 0x3fb8aa3b, v37
	v_rcp_f32_e32 v30, v22
	v_ldexp_f32 v22, v44, v47
	v_fma_f32 v39, v37, s28, -v38
	v_rndne_f32_e32 v44, v38
	v_fmac_f32_e32 v39, 0x32a5705f, v37
	v_sub_f32_e32 v38, v38, v44
	v_add_f32_e32 v38, v38, v39
	v_exp_f32_e32 v38, v38
	v_cvt_i32_f32_e32 v39, v44
	v_cmp_ngt_f32_e32 vcc, s29, v36
	s_waitcnt vmcnt(3)
	v_and_b32_e32 v49, 0xffff0000, v6
	v_and_b32_e32 v51, 0xffff0000, v4
	v_cndmask_b32_e32 v22, 0, v22, vcc
	v_cmp_nlt_f32_e32 vcc, s30, v36
	v_ldexp_f32 v36, v38, v39
	v_lshlrev_b32_e32 v50, 16, v4
	v_cndmask_b32_e32 v22, v42, v22, vcc
	v_cmp_ngt_f32_e32 vcc, s29, v37
	v_and_b32_e32 v53, 0xffff0000, v7
	v_lshlrev_b32_e32 v52, 16, v7
	v_cndmask_b32_e32 v36, 0, v36, vcc
	v_cmp_nlt_f32_e32 vcc, s30, v37
	v_and_b32_e32 v37, 0xffff0000, v23
	v_and_b32_e32 v55, 0xffff0000, v5
	v_cndmask_b32_e32 v38, v42, v36, vcc
	v_lshlrev_b32_e32 v36, 16, v23
	v_pk_add_f32 v[26:27], v[26:27], v[36:37]
	v_lshlrev_b32_e32 v54, 16, v5
	v_min_f32_e32 v26, 0x40e00000, v26
	v_mul_f32_e32 v36, 0xbfd9db23, v26
	v_mul_f32_e32 v23, 0x3fb8aa3b, v36
	v_fma_f32 v37, v36, s28, -v23
	v_rndne_f32_e32 v39, v23
	v_fmac_f32_e32 v37, 0x32a5705f, v36
	v_sub_f32_e32 v23, v23, v39
	v_add_f32_e32 v23, v23, v37
	v_exp_f32_e32 v37, v23
	v_cvt_i32_f32_e32 v39, v39
	v_min_f32_e32 v27, 0x40e00000, v27
	v_add_f32_e32 v23, 1.0, v38
	v_mul_f32_e32 v38, 0xbfd9db23, v27
	v_ldexp_f32 v37, v37, v39
	v_mul_f32_e32 v39, 0x3fb8aa3b, v38
	v_fma_f32 v44, v38, s28, -v39
	v_rndne_f32_e32 v45, v39
	v_fmac_f32_e32 v44, 0x32a5705f, v38
	v_sub_f32_e32 v39, v39, v45
	v_add_f32_e32 v39, v39, v44
	v_exp_f32_e32 v39, v39
	v_cvt_i32_f32_e32 v44, v45
	v_cmp_ngt_f32_e32 vcc, s29, v36
	v_add_f32_e32 v22, 1.0, v22
	v_rcp_f32_e32 v34, v34
	v_cndmask_b32_e32 v37, 0, v37, vcc
	v_cmp_nlt_f32_e32 vcc, s30, v36
	v_rcp_f32_e32 v35, v35
	v_rcp_f32_e32 v22, v22
	v_cndmask_b32_e32 v36, v42, v37, vcc
	v_ldexp_f32 v37, v39, v44
	v_cmp_ngt_f32_e32 vcc, s29, v38
	v_and_b32_e32 v39, 0xffff0000, v8
	v_add_f32_e32 v36, 1.0, v36
	v_cndmask_b32_e32 v37, 0, v37, vcc
	v_cmp_nlt_f32_e32 vcc, s30, v38
	v_lshlrev_b32_e32 v38, 16, v8
	s_waitcnt vmcnt(1)
	v_pk_add_f32 v[16:17], v[16:17], v[38:39]
	v_cndmask_b32_e32 v37, v42, v37, vcc
	v_min_f32_e32 v16, 0x40e00000, v16
	v_mul_f32_e32 v8, 0xbfd9db23, v16
	v_mul_f32_e32 v38, 0x3fb8aa3b, v8
	v_fma_f32 v39, v8, s28, -v38
	v_rndne_f32_e32 v44, v38
	v_fmac_f32_e32 v39, 0x32a5705f, v8
	v_sub_f32_e32 v38, v38, v44
	v_add_f32_e32 v38, v38, v39
	v_exp_f32_e32 v38, v38
	v_cvt_i32_f32_e32 v39, v44
	v_min_f32_e32 v17, 0x40e00000, v17
	v_cmp_ngt_f32_e32 vcc, s29, v8
	v_add_f32_e32 v37, 1.0, v37
	v_ldexp_f32 v38, v38, v39
	v_mul_f32_e32 v39, 0xbfd9db23, v17
	v_mul_f32_e32 v44, 0x3fb8aa3b, v39
	v_fma_f32 v45, v39, s28, -v44
	v_rndne_f32_e32 v46, v44
	v_fmac_f32_e32 v45, 0x32a5705f, v39
	v_sub_f32_e32 v44, v44, v46
	v_add_f32_e32 v44, v44, v45
	v_exp_f32_e32 v44, v44
	v_cvt_i32_f32_e32 v45, v46
	v_cndmask_b32_e32 v38, 0, v38, vcc
	v_cmp_nlt_f32_e32 vcc, s30, v8
	v_rcp_f32_e32 v23, v23
	v_rcp_f32_e32 v36, v36
	v_cndmask_b32_e32 v8, v42, v38, vcc
	v_ldexp_f32 v38, v44, v45
	v_cmp_ngt_f32_e32 vcc, s29, v39
	v_rcp_f32_e32 v37, v37
	v_pk_mul_f32 v[20:21], v[20:21], v[30:31]
	v_cndmask_b32_e32 v38, 0, v38, vcc
	v_cmp_nlt_f32_e32 vcc, s30, v39
	v_and_b32_e32 v39, 0xffff0000, v9
	v_pk_mul_f32 v[24:25], v[24:25], v[34:35]
	v_cndmask_b32_e32 v44, v42, v38, vcc
	v_lshlrev_b32_e32 v38, 16, v9
	v_pk_add_f32 v[18:19], v[18:19], v[38:39]
	v_pk_mul_f32 v[22:23], v[28:29], v[22:23]
	v_min_f32_e32 v18, 0x40e00000, v18
	v_mul_f32_e32 v38, 0xbfd9db23, v18
	v_mul_f32_e32 v9, 0x3fb8aa3b, v38
	v_fma_f32 v39, v38, s28, -v9
	v_rndne_f32_e32 v45, v9
	v_fmac_f32_e32 v39, 0x32a5705f, v38
	v_sub_f32_e32 v9, v9, v45
	v_add_f32_e32 v9, v9, v39
	v_exp_f32_e32 v39, v9
	v_cvt_i32_f32_e32 v45, v45
	v_min_f32_e32 v19, 0x40e00000, v19
	v_add_f32_e32 v9, 1.0, v44
	v_mul_f32_e32 v44, 0xbfd9db23, v19
	v_ldexp_f32 v39, v39, v45
	v_mul_f32_e32 v45, 0x3fb8aa3b, v44
	v_fma_f32 v46, v44, s28, -v45
	v_rndne_f32_e32 v47, v45
	v_fmac_f32_e32 v46, 0x32a5705f, v44
	v_sub_f32_e32 v45, v45, v47
	v_add_f32_e32 v45, v45, v46
	v_exp_f32_e32 v45, v45
	v_cvt_i32_f32_e32 v46, v47
	v_cmp_ngt_f32_e32 vcc, s29, v38
	v_pk_mul_f32 v[26:27], v[26:27], v[36:37]
	v_add_f32_e32 v8, 1.0, v8
	v_cndmask_b32_e32 v39, 0, v39, vcc
	v_cmp_nlt_f32_e32 vcc, s30, v38
	v_rcp_f32_e32 v8, v8
	v_rcp_f32_e32 v9, v9
	v_cndmask_b32_e32 v38, v42, v39, vcc
	v_ldexp_f32 v39, v45, v46
	v_cmp_ngt_f32_e32 vcc, s29, v44
	v_and_b32_e32 v45, 0xffff0000, v10
	v_add_f32_e32 v38, 1.0, v38
	v_cndmask_b32_e32 v39, 0, v39, vcc
	v_cmp_nlt_f32_e32 vcc, s30, v44
	v_lshlrev_b32_e32 v44, 16, v10
	s_waitcnt vmcnt(0)
	v_pk_add_f32 v[12:13], v[12:13], v[44:45]
	v_cndmask_b32_e32 v39, v42, v39, vcc
	v_min_f32_e32 v12, 0x40e00000, v12
	v_mul_f32_e32 v10, 0xbfd9db23, v12
	v_mul_f32_e32 v44, 0x3fb8aa3b, v10
	v_fma_f32 v45, v10, s28, -v44
	v_rndne_f32_e32 v46, v44
	v_fmac_f32_e32 v45, 0x32a5705f, v10
	v_sub_f32_e32 v44, v44, v46
	v_add_f32_e32 v44, v44, v45
	v_exp_f32_e32 v44, v44
	v_cvt_i32_f32_e32 v45, v46
	v_min_f32_e32 v13, 0x40e00000, v13
	v_cmp_ngt_f32_e32 vcc, s29, v10
	v_add_f32_e32 v39, 1.0, v39
	v_ldexp_f32 v44, v44, v45
	v_mul_f32_e32 v45, 0xbfd9db23, v13
	v_mul_f32_e32 v46, 0x3fb8aa3b, v45
	v_fma_f32 v47, v45, s28, -v46
	v_rndne_f32_e32 v48, v46
	v_fmac_f32_e32 v47, 0x32a5705f, v45
	v_sub_f32_e32 v46, v46, v48
	v_add_f32_e32 v46, v46, v47
	v_exp_f32_e32 v46, v46
	v_cvt_i32_f32_e32 v47, v48
	v_cndmask_b32_e32 v44, 0, v44, vcc
	v_cmp_nlt_f32_e32 vcc, s30, v10
	v_lshlrev_b32_e32 v48, 16, v6
	v_rcp_f32_e32 v38, v38
	v_cndmask_b32_e32 v10, v42, v44, vcc
	v_ldexp_f32 v44, v46, v47
	v_cmp_ngt_f32_e32 vcc, s29, v45
	v_add_f32_e32 v10, 1.0, v10
	v_rcp_f32_e32 v39, v39
	v_cndmask_b32_e32 v44, 0, v44, vcc
	v_cmp_nlt_f32_e32 vcc, s30, v45
	v_and_b32_e32 v45, 0xffff0000, v11
	v_rcp_f32_e32 v10, v10
	v_cndmask_b32_e32 v46, v42, v44, vcc
	v_lshlrev_b32_e32 v44, 16, v11
	v_pk_add_f32 v[14:15], v[14:15], v[44:45]
	v_pk_mul_f32 v[8:9], v[16:17], v[8:9]
	v_min_f32_e32 v14, 0x40e00000, v14
	v_mul_f32_e32 v44, 0xbfd9db23, v14
	v_mul_f32_e32 v11, 0x3fb8aa3b, v44
	v_fma_f32 v45, v44, s28, -v11
	v_rndne_f32_e32 v47, v11
	v_fmac_f32_e32 v45, 0x32a5705f, v44
	v_sub_f32_e32 v11, v11, v47
	v_add_f32_e32 v11, v11, v45
	v_exp_f32_e32 v45, v11
	v_cvt_i32_f32_e32 v47, v47
	v_min_f32_e32 v15, 0x40e00000, v15
	v_cmp_ngt_f32_e32 vcc, s29, v44
	v_mul_f32_e32 v57, 0xbfd9db23, v15
	v_ldexp_f32 v45, v45, v47
	v_cndmask_b32_e32 v56, 0, v45, vcc
	v_cmp_nlt_f32_e32 vcc, s30, v44
	v_mul_f32_e32 v44, 0x3fb8aa3b, v57
	v_fma_f32 v45, v57, s28, -v44
	v_rndne_f32_e32 v58, v44
	v_fmac_f32_e32 v45, 0x32a5705f, v57
	v_sub_f32_e32 v44, v44, v58
	v_add_f32_e32 v11, 1.0, v46
	v_add_f32_e32 v59, v44, v45
	buffer_load_dwordx4 v[4:7], v40, s[0:3], 0 offen
	buffer_load_dwordx4 v[44:47], v40, s[0:3], 16 offen
	v_exp_f32_e32 v59, v59
	v_cvt_i32_f32_e32 v58, v58
	v_cndmask_b32_e32 v56, v42, v56, vcc
	v_cmp_ngt_f32_e32 vcc, s29, v57
	v_add_f32_e32 v56, 1.0, v56
	v_ldexp_f32 v58, v59, v58
	v_cndmask_b32_e32 v58, 0, v58, vcc
	v_cmp_nlt_f32_e32 vcc, s30, v57
	v_rcp_f32_e32 v11, v11
	v_rcp_f32_e32 v56, v56
	v_cndmask_b32_e32 v57, v42, v58, vcc
	v_add_f32_e32 v57, 1.0, v57
	v_rcp_f32_e32 v57, v57
	v_pk_mul_f32 v[16:17], v[18:19], v[38:39]
	v_pk_mul_f32 v[10:11], v[12:13], v[10:11]
	v_cmp_le_i64_e32 vcc, s[20:21], v[32:33]
	v_pk_mul_f32 v[12:13], v[14:15], v[56:57]
	s_or_b64 s[24:25], vcc, s[24:25]
	s_waitcnt vmcnt(1)
	v_pk_add_f32 v[54:55], v[6:7], v[54:55]
	s_waitcnt vmcnt(0)
	v_pk_add_f32 v[52:53], v[46:47], v[52:53]
	v_pk_add_f32 v[50:51], v[4:5], v[50:51]
	;; [unrolled: 1-line block ×3, first 2 shown]
	buffer_load_dwordx4 v[4:7], v40, s[0:3], 32 offen
	buffer_load_dwordx4 v[44:47], v40, s[0:3], 48 offen
	v_med3_f32 v55, v55, s31, v43
	v_med3_f32 v54, v54, s31, v43
	;; [unrolled: 1-line block ×8, first 2 shown]
	v_pk_add_f32 v[52:53], v[52:53], 1.0 op_sel_hi:[1,0]
	v_pk_add_f32 v[54:55], v[54:55], 1.0 op_sel_hi:[1,0]
	v_pk_add_f32 v[48:49], v[48:49], 1.0 op_sel_hi:[1,0]
	v_pk_add_f32 v[50:51], v[50:51], 1.0 op_sel_hi:[1,0]
	v_pk_mul_f32 v[24:25], v[54:55], v[24:25]
	v_pk_mul_f32 v[26:27], v[52:53], v[26:27]
	;; [unrolled: 1-line block ×4, first 2 shown]
	v_perm_b32 v23, v27, v26, s33
	v_perm_b32 v21, v25, v24, s33
	;; [unrolled: 1-line block ×4, first 2 shown]
	buffer_store_dwordx4 v[20:23], v41, s[4:7], 0 offen
	v_and_b32_e32 v25, 0xffff0000, v3
	v_lshlrev_b32_e32 v24, 16, v3
	v_and_b32_e32 v21, 0xffff0000, v2
	v_lshlrev_b32_e32 v20, 16, v2
	;; [unrolled: 2-line block ×4, first 2 shown]
	v_add_u32_e32 v40, s26, v40
	s_waitcnt vmcnt(2)
	v_pk_add_f32 v[0:1], v[6:7], v[2:3]
	s_waitcnt vmcnt(1)
	v_pk_add_f32 v[2:3], v[46:47], v[24:25]
	v_pk_add_f32 v[4:5], v[4:5], v[22:23]
	;; [unrolled: 1-line block ×3, first 2 shown]
	v_med3_f32 v1, v1, s31, v43
	v_med3_f32 v0, v0, s31, v43
	;; [unrolled: 1-line block ×8, first 2 shown]
	v_pk_add_f32 v[2:3], v[2:3], 1.0 op_sel_hi:[1,0]
	v_pk_add_f32 v[0:1], v[0:1], 1.0 op_sel_hi:[1,0]
	;; [unrolled: 1-line block ×4, first 2 shown]
	v_pk_mul_f32 v[0:1], v[0:1], v[16:17]
	v_pk_mul_f32 v[2:3], v[2:3], v[12:13]
	;; [unrolled: 1-line block ×4, first 2 shown]
	v_perm_b32 v3, v3, v2, s33
	v_perm_b32 v1, v1, v0, s33
	;; [unrolled: 1-line block ×4, first 2 shown]
	buffer_store_dwordx4 v[0:3], v41, s[4:7], 16 offen
	v_add_u32_e32 v41, s27, v41
	s_andn2_b64 exec, exec, s[24:25]
	s_cbranch_execnz .LBB266_8
.LBB266_9:
	s_endpgm
	.section	.rodata,"a",@progbits
	.p2align	6, 0x0
	.amdhsa_kernel _ZN5aiter30swiglu_act_and_mul_bias_kernelIttafLi16EEEvPT0_PKT_PKT1_PKT2_il
		.amdhsa_group_segment_fixed_size 0
		.amdhsa_private_segment_fixed_size 0
		.amdhsa_kernarg_size 304
		.amdhsa_user_sgpr_count 2
		.amdhsa_user_sgpr_dispatch_ptr 0
		.amdhsa_user_sgpr_queue_ptr 0
		.amdhsa_user_sgpr_kernarg_segment_ptr 1
		.amdhsa_user_sgpr_dispatch_id 0
		.amdhsa_user_sgpr_kernarg_preload_length 0
		.amdhsa_user_sgpr_kernarg_preload_offset 0
		.amdhsa_user_sgpr_private_segment_size 0
		.amdhsa_uses_dynamic_stack 0
		.amdhsa_enable_private_segment 0
		.amdhsa_system_sgpr_workgroup_id_x 1
		.amdhsa_system_sgpr_workgroup_id_y 0
		.amdhsa_system_sgpr_workgroup_id_z 0
		.amdhsa_system_sgpr_workgroup_info 0
		.amdhsa_system_vgpr_workitem_id 0
		.amdhsa_next_free_vgpr 60
		.amdhsa_next_free_sgpr 34
		.amdhsa_accum_offset 60
		.amdhsa_reserve_vcc 1
		.amdhsa_float_round_mode_32 0
		.amdhsa_float_round_mode_16_64 0
		.amdhsa_float_denorm_mode_32 3
		.amdhsa_float_denorm_mode_16_64 3
		.amdhsa_dx10_clamp 1
		.amdhsa_ieee_mode 1
		.amdhsa_fp16_overflow 0
		.amdhsa_tg_split 0
		.amdhsa_exception_fp_ieee_invalid_op 0
		.amdhsa_exception_fp_denorm_src 0
		.amdhsa_exception_fp_ieee_div_zero 0
		.amdhsa_exception_fp_ieee_overflow 0
		.amdhsa_exception_fp_ieee_underflow 0
		.amdhsa_exception_fp_ieee_inexact 0
		.amdhsa_exception_int_div_zero 0
	.end_amdhsa_kernel
	.section	.text._ZN5aiter30swiglu_act_and_mul_bias_kernelIttafLi16EEEvPT0_PKT_PKT1_PKT2_il,"axG",@progbits,_ZN5aiter30swiglu_act_and_mul_bias_kernelIttafLi16EEEvPT0_PKT_PKT1_PKT2_il,comdat
.Lfunc_end266:
	.size	_ZN5aiter30swiglu_act_and_mul_bias_kernelIttafLi16EEEvPT0_PKT_PKT1_PKT2_il, .Lfunc_end266-_ZN5aiter30swiglu_act_and_mul_bias_kernelIttafLi16EEEvPT0_PKT_PKT1_PKT2_il
                                        ; -- End function
	.section	.AMDGPU.csdata,"",@progbits
; Kernel info:
; codeLenInByte = 2980
; NumSgprs: 40
; NumVgprs: 60
; NumAgprs: 0
; TotalNumVgprs: 60
; ScratchSize: 0
; MemoryBound: 0
; FloatMode: 240
; IeeeMode: 1
; LDSByteSize: 0 bytes/workgroup (compile time only)
; SGPRBlocks: 4
; VGPRBlocks: 7
; NumSGPRsForWavesPerEU: 40
; NumVGPRsForWavesPerEU: 60
; AccumOffset: 60
; Occupancy: 8
; WaveLimiterHint : 0
; COMPUTE_PGM_RSRC2:SCRATCH_EN: 0
; COMPUTE_PGM_RSRC2:USER_SGPR: 2
; COMPUTE_PGM_RSRC2:TRAP_HANDLER: 0
; COMPUTE_PGM_RSRC2:TGID_X_EN: 1
; COMPUTE_PGM_RSRC2:TGID_Y_EN: 0
; COMPUTE_PGM_RSRC2:TGID_Z_EN: 0
; COMPUTE_PGM_RSRC2:TIDIG_COMP_CNT: 0
; COMPUTE_PGM_RSRC3_GFX90A:ACCUM_OFFSET: 14
; COMPUTE_PGM_RSRC3_GFX90A:TG_SPLIT: 0
	.section	.text._ZN5aiter30swiglu_act_and_mul_bias_kernelIttafLi8EEEvPT0_PKT_PKT1_PKT2_il,"axG",@progbits,_ZN5aiter30swiglu_act_and_mul_bias_kernelIttafLi8EEEvPT0_PKT_PKT1_PKT2_il,comdat
	.protected	_ZN5aiter30swiglu_act_and_mul_bias_kernelIttafLi8EEEvPT0_PKT_PKT1_PKT2_il ; -- Begin function _ZN5aiter30swiglu_act_and_mul_bias_kernelIttafLi8EEEvPT0_PKT_PKT1_PKT2_il
	.globl	_ZN5aiter30swiglu_act_and_mul_bias_kernelIttafLi8EEEvPT0_PKT_PKT1_PKT2_il
	.p2align	8
	.type	_ZN5aiter30swiglu_act_and_mul_bias_kernelIttafLi8EEEvPT0_PKT_PKT1_PKT2_il,@function
_ZN5aiter30swiglu_act_and_mul_bias_kernelIttafLi8EEEvPT0_PKT_PKT1_PKT2_il: ; @_ZN5aiter30swiglu_act_and_mul_bias_kernelIttafLi8EEEvPT0_PKT_PKT1_PKT2_il
; %bb.0:
	s_load_dwordx2 s[4:5], s[0:1], 0x10
	s_load_dword s20, s[0:1], 0x20
	s_load_dwordx2 s[6:7], s[0:1], 0x28
	v_mov_b32_e32 v1, s2
	s_mov_b32 s9, 0
	s_waitcnt lgkmcnt(0)
	global_load_ubyte v1, v1, s[4:5]
	s_add_i32 s3, s20, 1
	v_mov_b64_e32 v[2:3], s[6:7]
	s_lshr_b32 s6, s3, 31
	s_add_i32 s3, s3, s6
	s_load_dwordx2 s[4:5], s[0:1], 0x0
	s_lshl_b32 s3, s3, 1
	s_ashr_i32 s21, s20, 31
	s_and_b32 s6, s3, -4
	s_mul_hi_u32 s8, s20, s2
	s_mul_i32 s7, s21, s2
	s_mul_i32 s12, s20, s2
	s_add_i32 s13, s8, s7
	s_lshl_b64 s[12:13], s[12:13], 1
	s_mov_b64 s[10:11], -1
	v_lshlrev_b32_e32 v20, 3, v0
	s_waitcnt vmcnt(0)
	v_readfirstlane_b32 s3, v1
	s_nop 1
	v_mov_b32_e32 v4, s3
	s_sext_i32_i8 s3, s3
	v_readfirstlane_b32 s8, v4
	s_bfe_i64 s[8:9], s[8:9], 0x80000
	s_waitcnt lgkmcnt(0)
	s_add_u32 s4, s4, s12
	s_addc_u32 s5, s5, s13
	s_and_b32 s5, s5, 0xffff
	s_cmp_gt_i32 s3, -1
	v_cmp_lt_i64_e32 vcc, s[8:9], v[2:3]
	s_cselect_b64 s[12:13], -1, 0
	s_and_b64 s[12:13], s[12:13], vcc
	s_and_b64 vcc, exec, s[12:13]
	s_cbranch_vccnz .LBB267_5
; %bb.1:
	v_cmp_gt_i32_e32 vcc, s20, v20
	s_and_saveexec_b64 s[10:11], vcc
	s_cbranch_execz .LBB267_4
; %bb.2:
	s_load_dword s3, s[0:1], 0x3c
	v_mov_b32_e32 v21, 0
	s_mov_b32 s13, 0
	v_lshlrev_b32_e32 v1, 4, v0
	s_mov_b64 s[14:15], 0
	s_waitcnt lgkmcnt(0)
	s_and_b32 s3, s3, 0xffff
	s_lshl_b32 s12, s3, 3
	s_lshl_b32 s3, s3, 4
	s_mov_b32 s7, 0x20000
	v_mov_b32_e32 v2, v21
	v_mov_b32_e32 v3, v21
	;; [unrolled: 1-line block ×4, first 2 shown]
	v_mov_b64_e32 v[6:7], v[20:21]
.LBB267_3:                              ; =>This Inner Loop Header: Depth=1
	v_lshl_add_u64 v[6:7], s[12:13], 0, v[6:7]
	v_cmp_le_i64_e32 vcc, s[20:21], v[6:7]
	buffer_store_dwordx4 v[2:5], v1, s[4:7], 0 offen
	s_or_b64 s[14:15], vcc, s[14:15]
	v_add_u32_e32 v1, s3, v1
	s_andn2_b64 exec, exec, s[14:15]
	s_cbranch_execnz .LBB267_3
.LBB267_4:
	s_or_b64 exec, exec, s[10:11]
	s_mov_b64 s[10:11], 0
.LBB267_5:
	s_andn2_b64 vcc, exec, s[10:11]
	s_cbranch_vccnz .LBB267_9
; %bb.6:
	v_cmp_gt_i32_e32 vcc, s20, v20
	s_and_saveexec_b64 s[10:11], vcc
	s_cbranch_execz .LBB267_9
; %bb.7:
	s_load_dwordx2 s[12:13], s[0:1], 0x8
	s_load_dwordx2 s[10:11], s[0:1], 0x18
	s_mul_hi_i32 s9, s20, s8
	s_mul_i32 s8, s20, s8
	s_lshl_b64 s[8:9], s[8:9], 3
	s_load_dword s14, s[0:1], 0x3c
	s_waitcnt lgkmcnt(0)
	s_add_u32 s8, s10, s8
	s_addc_u32 s3, s11, s9
	s_lshl_b64 s[0:1], s[20:21], 2
	s_add_u32 s0, s8, s0
	s_addc_u32 s1, s3, s1
	s_and_b32 s9, s3, 0xffff
	s_mul_i32 s3, s2, s21
	s_mul_hi_u32 s15, s2, s20
	s_add_i32 s3, s15, s3
	s_mul_i32 s2, s2, s20
	s_lshl_b32 s10, s20, 2
	s_and_b32 s1, s1, 0xffff
	s_lshl_b64 s[2:3], s[2:3], 2
	s_add_u32 s12, s12, s2
	s_addc_u32 s13, s13, s3
	s_lshl_b64 s[2:3], s[20:21], 1
	s_add_u32 s16, s12, s2
	s_addc_u32 s2, s13, s3
	s_mov_b32 s7, 0x20000
	s_and_b32 s17, s2, 0xffff
	s_and_b32 s2, s14, 0xffff
	s_mov_b32 s23, 0
	s_mov_b32 s11, s7
	s_and_b32 s13, s13, 0xffff
	v_mov_b32_e32 v21, 0
	s_lshl_b32 s22, s2, 3
	v_lshlrev_b32_e32 v28, 5, v0
	s_lshl_b32 s26, s2, 5
	v_lshlrev_b32_e32 v29, 4, v0
	s_lshl_b32 s27, s2, 4
	s_mov_b64 s[24:25], 0
	s_mov_b32 s28, 0x3fb8aa3b
	s_mov_b32 s29, 0xc2ce8ed0
	;; [unrolled: 1-line block ×3, first 2 shown]
	v_mov_b32_e32 v30, 0x7f800000
	s_mov_b32 s31, 0xc0e00000
	v_mov_b32_e32 v31, 0x40e00000
	s_mov_b32 s33, 0x7060302
	s_mov_b32 s14, s6
	;; [unrolled: 1-line block ×5, first 2 shown]
.LBB267_8:                              ; =>This Inner Loop Header: Depth=1
	buffer_load_dwordx4 v[12:15], v29, s[12:15], 0 offen
	buffer_load_dwordx4 v[22:25], v28, s[8:11], 0 offen
	;; [unrolled: 1-line block ×4, first 2 shown]
	s_mov_b32 s2, s10
	s_mov_b32 s3, s11
	buffer_load_dwordx4 v[0:3], v28, s[0:3], 0 offen
	buffer_load_dwordx4 v[4:7], v28, s[0:3], 16 offen
	v_lshl_add_u64 v[20:21], s[22:23], 0, v[20:21]
	v_add_u32_e32 v28, s26, v28
	s_waitcnt vmcnt(5)
	v_and_b32_e32 v27, 0xffff0000, v12
	v_lshlrev_b32_e32 v26, 16, v12
	v_and_b32_e32 v33, 0xffff0000, v13
	v_lshlrev_b32_e32 v32, 16, v13
	;; [unrolled: 2-line block ×3, first 2 shown]
	s_waitcnt vmcnt(4)
	v_pk_add_f32 v[22:23], v[22:23], v[26:27]
	s_waitcnt vmcnt(3)
	v_pk_add_f32 v[26:27], v[16:17], v[12:13]
	v_min_f32_e32 v12, 0x40e00000, v22
	v_pk_add_f32 v[24:25], v[24:25], v[32:33]
	v_min_f32_e32 v13, 0x40e00000, v23
	v_mul_f32_e32 v14, 0xbfd9db23, v12
	v_min_f32_e32 v16, 0x40e00000, v24
	v_min_f32_e32 v23, 0x40e00000, v27
	v_mul_f32_e32 v24, 0xbfd9db23, v13
	v_mul_f32_e32 v27, 0x3fb8aa3b, v14
	v_min_f32_e32 v17, 0x40e00000, v25
	v_mul_f32_e32 v25, 0xbfd9db23, v16
	v_mul_f32_e32 v33, 0x3fb8aa3b, v24
	v_fma_f32 v37, v14, s28, -v27
	v_rndne_f32_e32 v38, v27
	v_min_f32_e32 v22, 0x40e00000, v26
	v_mul_f32_e32 v26, 0xbfd9db23, v17
	v_mul_f32_e32 v34, 0x3fb8aa3b, v25
	v_fma_f32 v39, v24, s28, -v33
	v_rndne_f32_e32 v40, v33
	v_fmac_f32_e32 v37, 0x32a5705f, v14
	v_sub_f32_e32 v27, v27, v38
	v_mul_f32_e32 v35, 0x3fb8aa3b, v26
	v_fma_f32 v41, v25, s28, -v34
	v_rndne_f32_e32 v42, v34
	v_fmac_f32_e32 v39, 0x32a5705f, v24
	v_sub_f32_e32 v33, v33, v40
	v_add_f32_e32 v27, v27, v37
	v_fma_f32 v43, v26, s28, -v35
	v_rndne_f32_e32 v44, v35
	v_cvt_i32_f32_e32 v38, v38
	v_fmac_f32_e32 v41, 0x32a5705f, v25
	v_sub_f32_e32 v34, v34, v42
	v_add_f32_e32 v33, v33, v39
	v_exp_f32_e32 v27, v27
	v_cvt_i32_f32_e32 v40, v40
	v_fmac_f32_e32 v43, 0x32a5705f, v26
	v_sub_f32_e32 v35, v35, v44
	v_add_f32_e32 v34, v34, v41
	v_exp_f32_e32 v33, v33
	v_cvt_i32_f32_e32 v42, v42
	v_add_f32_e32 v35, v35, v43
	v_exp_f32_e32 v34, v34
	v_cvt_i32_f32_e32 v44, v44
	v_exp_f32_e32 v35, v35
	v_ldexp_f32 v27, v27, v38
	v_cmp_ngt_f32_e32 vcc, s29, v14
	v_mul_f32_e32 v32, 0xbfd9db23, v22
	v_ldexp_f32 v33, v33, v40
	v_cndmask_b32_e32 v27, 0, v27, vcc
	v_cmp_ngt_f32_e32 vcc, s29, v24
	v_mul_f32_e32 v36, 0x3fb8aa3b, v32
	v_ldexp_f32 v34, v34, v42
	v_cndmask_b32_e32 v33, 0, v33, vcc
	v_cmp_ngt_f32_e32 vcc, s29, v25
	v_fma_f32 v45, v32, s28, -v36
	v_rndne_f32_e32 v46, v36
	v_ldexp_f32 v35, v35, v44
	v_cndmask_b32_e32 v34, 0, v34, vcc
	v_cmp_ngt_f32_e32 vcc, s29, v26
	v_fmac_f32_e32 v45, 0x32a5705f, v32
	v_sub_f32_e32 v36, v36, v46
	v_cndmask_b32_e32 v35, 0, v35, vcc
	v_cmp_nlt_f32_e32 vcc, s30, v14
	v_add_f32_e32 v36, v36, v45
	v_cvt_i32_f32_e32 v46, v46
	v_cndmask_b32_e32 v14, v30, v27, vcc
	v_cmp_nlt_f32_e32 vcc, s30, v24
	v_exp_f32_e32 v36, v36
	v_add_f32_e32 v14, 1.0, v14
	v_cndmask_b32_e32 v24, v30, v33, vcc
	v_cmp_nlt_f32_e32 vcc, s30, v25
	v_add_f32_e32 v27, 1.0, v24
	v_ldexp_f32 v36, v36, v46
	v_cndmask_b32_e32 v25, v30, v34, vcc
	v_cmp_nlt_f32_e32 vcc, s30, v26
	v_add_f32_e32 v33, 1.0, v25
	v_rcp_f32_e32 v25, v27
	v_cndmask_b32_e32 v26, v30, v35, vcc
	v_add_f32_e32 v34, 1.0, v26
	v_rcp_f32_e32 v26, v33
	v_mul_f32_e32 v33, 0xbfd9db23, v23
	v_rcp_f32_e32 v27, v34
	v_cmp_ngt_f32_e32 vcc, s29, v32
	v_mul_f32_e32 v34, 0x3fb8aa3b, v33
	v_rcp_f32_e32 v24, v14
	v_cndmask_b32_e32 v14, 0, v36, vcc
	v_fma_f32 v35, v33, s28, -v34
	v_rndne_f32_e32 v36, v34
	v_fmac_f32_e32 v35, 0x32a5705f, v33
	v_sub_f32_e32 v34, v34, v36
	v_add_f32_e32 v34, v34, v35
	v_exp_f32_e32 v34, v34
	v_cvt_i32_f32_e32 v35, v36
	v_cmp_nlt_f32_e32 vcc, s30, v32
	s_waitcnt vmcnt(2)
	v_and_b32_e32 v39, 0xffff0000, v11
	v_lshlrev_b32_e32 v38, 16, v11
	v_cndmask_b32_e32 v14, v30, v14, vcc
	v_ldexp_f32 v32, v34, v35
	v_cmp_ngt_f32_e32 vcc, s29, v33
	v_add_f32_e32 v14, 1.0, v14
	v_rcp_f32_e32 v14, v14
	v_cndmask_b32_e32 v32, 0, v32, vcc
	v_cmp_nlt_f32_e32 vcc, s30, v33
	v_and_b32_e32 v33, 0xffff0000, v15
	v_and_b32_e32 v11, 0xffff0000, v9
	v_cndmask_b32_e32 v34, v30, v32, vcc
	v_lshlrev_b32_e32 v32, 16, v15
	v_pk_add_f32 v[18:19], v[18:19], v[32:33]
	s_waitcnt vmcnt(0)
	v_pk_add_f32 v[6:7], v[6:7], v[38:39]
	v_min_f32_e32 v18, 0x40e00000, v18
	v_mul_f32_e32 v32, 0xbfd9db23, v18
	v_mul_f32_e32 v15, 0x3fb8aa3b, v32
	v_fma_f32 v33, v32, s28, -v15
	v_rndne_f32_e32 v35, v15
	v_fmac_f32_e32 v33, 0x32a5705f, v32
	v_sub_f32_e32 v15, v15, v35
	v_add_f32_e32 v15, v15, v33
	v_exp_f32_e32 v33, v15
	v_cvt_i32_f32_e32 v35, v35
	v_min_f32_e32 v19, 0x40e00000, v19
	v_add_f32_e32 v15, 1.0, v34
	v_mul_f32_e32 v34, 0xbfd9db23, v19
	v_ldexp_f32 v33, v33, v35
	v_mul_f32_e32 v35, 0x3fb8aa3b, v34
	v_fma_f32 v36, v34, s28, -v35
	v_rndne_f32_e32 v37, v35
	v_fmac_f32_e32 v36, 0x32a5705f, v34
	v_sub_f32_e32 v35, v35, v37
	v_add_f32_e32 v35, v35, v36
	v_exp_f32_e32 v35, v35
	v_cvt_i32_f32_e32 v36, v37
	v_cmp_ngt_f32_e32 vcc, s29, v32
	v_rcp_f32_e32 v15, v15
	v_and_b32_e32 v37, 0xffff0000, v8
	v_cndmask_b32_e32 v33, 0, v33, vcc
	v_cmp_nlt_f32_e32 vcc, s30, v32
	v_med3_f32 v7, v7, s31, v31
	v_med3_f32 v6, v6, s31, v31
	v_cndmask_b32_e32 v32, v30, v33, vcc
	v_ldexp_f32 v33, v35, v36
	v_cmp_ngt_f32_e32 vcc, s29, v34
	v_add_f32_e32 v32, 1.0, v32
	v_rcp_f32_e32 v32, v32
	v_cndmask_b32_e32 v33, 0, v33, vcc
	v_cmp_nlt_f32_e32 vcc, s30, v34
	v_and_b32_e32 v35, 0xffff0000, v10
	v_lshlrev_b32_e32 v34, 16, v10
	v_cndmask_b32_e32 v33, v30, v33, vcc
	v_add_f32_e32 v33, 1.0, v33
	v_rcp_f32_e32 v33, v33
	v_lshlrev_b32_e32 v36, 16, v8
	v_lshlrev_b32_e32 v10, 16, v9
	v_pk_add_f32 v[2:3], v[2:3], v[10:11]
	v_pk_add_f32 v[0:1], v[0:1], v[36:37]
	;; [unrolled: 1-line block ×3, first 2 shown]
	v_med3_f32 v3, v3, s31, v31
	v_med3_f32 v2, v2, s31, v31
	;; [unrolled: 1-line block ×6, first 2 shown]
	v_pk_add_f32 v[6:7], v[6:7], 1.0 op_sel_hi:[1,0]
	v_pk_add_f32 v[2:3], v[2:3], 1.0 op_sel_hi:[1,0]
	;; [unrolled: 1-line block ×4, first 2 shown]
	v_pk_mul_f32 v[8:9], v[12:13], v[24:25]
	v_pk_mul_f32 v[10:11], v[16:17], v[26:27]
	;; [unrolled: 1-line block ×8, first 2 shown]
	v_perm_b32 v3, v3, v2, s33
	v_perm_b32 v1, v11, v10, s33
	;; [unrolled: 1-line block ×4, first 2 shown]
	v_cmp_le_i64_e32 vcc, s[20:21], v[20:21]
	buffer_store_dwordx4 v[0:3], v29, s[4:7], 0 offen
	s_or_b64 s[24:25], vcc, s[24:25]
	v_add_u32_e32 v29, s27, v29
	s_andn2_b64 exec, exec, s[24:25]
	s_cbranch_execnz .LBB267_8
.LBB267_9:
	s_endpgm
	.section	.rodata,"a",@progbits
	.p2align	6, 0x0
	.amdhsa_kernel _ZN5aiter30swiglu_act_and_mul_bias_kernelIttafLi8EEEvPT0_PKT_PKT1_PKT2_il
		.amdhsa_group_segment_fixed_size 0
		.amdhsa_private_segment_fixed_size 0
		.amdhsa_kernarg_size 304
		.amdhsa_user_sgpr_count 2
		.amdhsa_user_sgpr_dispatch_ptr 0
		.amdhsa_user_sgpr_queue_ptr 0
		.amdhsa_user_sgpr_kernarg_segment_ptr 1
		.amdhsa_user_sgpr_dispatch_id 0
		.amdhsa_user_sgpr_kernarg_preload_length 0
		.amdhsa_user_sgpr_kernarg_preload_offset 0
		.amdhsa_user_sgpr_private_segment_size 0
		.amdhsa_uses_dynamic_stack 0
		.amdhsa_enable_private_segment 0
		.amdhsa_system_sgpr_workgroup_id_x 1
		.amdhsa_system_sgpr_workgroup_id_y 0
		.amdhsa_system_sgpr_workgroup_id_z 0
		.amdhsa_system_sgpr_workgroup_info 0
		.amdhsa_system_vgpr_workitem_id 0
		.amdhsa_next_free_vgpr 47
		.amdhsa_next_free_sgpr 34
		.amdhsa_accum_offset 48
		.amdhsa_reserve_vcc 1
		.amdhsa_float_round_mode_32 0
		.amdhsa_float_round_mode_16_64 0
		.amdhsa_float_denorm_mode_32 3
		.amdhsa_float_denorm_mode_16_64 3
		.amdhsa_dx10_clamp 1
		.amdhsa_ieee_mode 1
		.amdhsa_fp16_overflow 0
		.amdhsa_tg_split 0
		.amdhsa_exception_fp_ieee_invalid_op 0
		.amdhsa_exception_fp_denorm_src 0
		.amdhsa_exception_fp_ieee_div_zero 0
		.amdhsa_exception_fp_ieee_overflow 0
		.amdhsa_exception_fp_ieee_underflow 0
		.amdhsa_exception_fp_ieee_inexact 0
		.amdhsa_exception_int_div_zero 0
	.end_amdhsa_kernel
	.section	.text._ZN5aiter30swiglu_act_and_mul_bias_kernelIttafLi8EEEvPT0_PKT_PKT1_PKT2_il,"axG",@progbits,_ZN5aiter30swiglu_act_and_mul_bias_kernelIttafLi8EEEvPT0_PKT_PKT1_PKT2_il,comdat
.Lfunc_end267:
	.size	_ZN5aiter30swiglu_act_and_mul_bias_kernelIttafLi8EEEvPT0_PKT_PKT1_PKT2_il, .Lfunc_end267-_ZN5aiter30swiglu_act_and_mul_bias_kernelIttafLi8EEEvPT0_PKT_PKT1_PKT2_il
                                        ; -- End function
	.section	.AMDGPU.csdata,"",@progbits
; Kernel info:
; codeLenInByte = 1800
; NumSgprs: 40
; NumVgprs: 47
; NumAgprs: 0
; TotalNumVgprs: 47
; ScratchSize: 0
; MemoryBound: 0
; FloatMode: 240
; IeeeMode: 1
; LDSByteSize: 0 bytes/workgroup (compile time only)
; SGPRBlocks: 4
; VGPRBlocks: 5
; NumSGPRsForWavesPerEU: 40
; NumVGPRsForWavesPerEU: 47
; AccumOffset: 48
; Occupancy: 8
; WaveLimiterHint : 0
; COMPUTE_PGM_RSRC2:SCRATCH_EN: 0
; COMPUTE_PGM_RSRC2:USER_SGPR: 2
; COMPUTE_PGM_RSRC2:TRAP_HANDLER: 0
; COMPUTE_PGM_RSRC2:TGID_X_EN: 1
; COMPUTE_PGM_RSRC2:TGID_Y_EN: 0
; COMPUTE_PGM_RSRC2:TGID_Z_EN: 0
; COMPUTE_PGM_RSRC2:TIDIG_COMP_CNT: 0
; COMPUTE_PGM_RSRC3_GFX90A:ACCUM_OFFSET: 11
; COMPUTE_PGM_RSRC3_GFX90A:TG_SPLIT: 0
	.section	.text._ZN5aiter30swiglu_act_and_mul_bias_kernelIttafLi4EEEvPT0_PKT_PKT1_PKT2_il,"axG",@progbits,_ZN5aiter30swiglu_act_and_mul_bias_kernelIttafLi4EEEvPT0_PKT_PKT1_PKT2_il,comdat
	.protected	_ZN5aiter30swiglu_act_and_mul_bias_kernelIttafLi4EEEvPT0_PKT_PKT1_PKT2_il ; -- Begin function _ZN5aiter30swiglu_act_and_mul_bias_kernelIttafLi4EEEvPT0_PKT_PKT1_PKT2_il
	.globl	_ZN5aiter30swiglu_act_and_mul_bias_kernelIttafLi4EEEvPT0_PKT_PKT1_PKT2_il
	.p2align	8
	.type	_ZN5aiter30swiglu_act_and_mul_bias_kernelIttafLi4EEEvPT0_PKT_PKT1_PKT2_il,@function
_ZN5aiter30swiglu_act_and_mul_bias_kernelIttafLi4EEEvPT0_PKT_PKT1_PKT2_il: ; @_ZN5aiter30swiglu_act_and_mul_bias_kernelIttafLi4EEEvPT0_PKT_PKT1_PKT2_il
; %bb.0:
	s_load_dwordx2 s[4:5], s[0:1], 0x10
	s_load_dword s20, s[0:1], 0x20
	s_load_dwordx2 s[6:7], s[0:1], 0x28
	v_mov_b32_e32 v1, s2
	s_mov_b32 s9, 0
	s_waitcnt lgkmcnt(0)
	global_load_ubyte v1, v1, s[4:5]
	s_add_i32 s3, s20, 1
	v_mov_b64_e32 v[2:3], s[6:7]
	s_lshr_b32 s6, s3, 31
	s_add_i32 s3, s3, s6
	s_load_dwordx2 s[4:5], s[0:1], 0x0
	s_lshl_b32 s3, s3, 1
	s_ashr_i32 s21, s20, 31
	s_and_b32 s6, s3, -4
	s_mul_hi_u32 s8, s20, s2
	s_mul_i32 s7, s21, s2
	s_mul_i32 s12, s20, s2
	s_add_i32 s13, s8, s7
	s_lshl_b64 s[12:13], s[12:13], 1
	s_mov_b64 s[10:11], -1
	v_lshlrev_b32_e32 v8, 2, v0
	s_waitcnt vmcnt(0)
	v_readfirstlane_b32 s3, v1
	s_nop 1
	v_mov_b32_e32 v4, s3
	s_sext_i32_i8 s3, s3
	v_readfirstlane_b32 s8, v4
	s_bfe_i64 s[8:9], s[8:9], 0x80000
	s_waitcnt lgkmcnt(0)
	s_add_u32 s4, s4, s12
	s_addc_u32 s5, s5, s13
	s_and_b32 s5, s5, 0xffff
	s_cmp_gt_i32 s3, -1
	v_cmp_lt_i64_e32 vcc, s[8:9], v[2:3]
	s_cselect_b64 s[12:13], -1, 0
	s_and_b64 s[12:13], s[12:13], vcc
	s_and_b64 vcc, exec, s[12:13]
	s_cbranch_vccnz .LBB268_5
; %bb.1:
	v_cmp_gt_i32_e32 vcc, s20, v8
	s_and_saveexec_b64 s[10:11], vcc
	s_cbranch_execz .LBB268_4
; %bb.2:
	s_load_dword s3, s[0:1], 0x3c
	v_mov_b32_e32 v9, 0
	s_mov_b32 s13, 0
	v_lshlrev_b32_e32 v1, 3, v0
	s_mov_b64 s[14:15], 0
	s_waitcnt lgkmcnt(0)
	s_and_b32 s3, s3, 0xffff
	s_lshl_b32 s12, s3, 2
	s_lshl_b32 s3, s3, 3
	s_mov_b32 s7, 0x20000
	v_mov_b32_e32 v2, v9
	v_mov_b32_e32 v3, v9
	v_mov_b64_e32 v[4:5], v[8:9]
.LBB268_3:                              ; =>This Inner Loop Header: Depth=1
	v_lshl_add_u64 v[4:5], s[12:13], 0, v[4:5]
	v_cmp_le_i64_e32 vcc, s[20:21], v[4:5]
	buffer_store_dwordx2 v[2:3], v1, s[4:7], 0 offen
	s_or_b64 s[14:15], vcc, s[14:15]
	v_add_u32_e32 v1, s3, v1
	s_andn2_b64 exec, exec, s[14:15]
	s_cbranch_execnz .LBB268_3
.LBB268_4:
	s_or_b64 exec, exec, s[10:11]
	s_mov_b64 s[10:11], 0
.LBB268_5:
	s_andn2_b64 vcc, exec, s[10:11]
	s_cbranch_vccnz .LBB268_9
; %bb.6:
	v_cmp_gt_i32_e32 vcc, s20, v8
	s_and_saveexec_b64 s[10:11], vcc
	s_cbranch_execz .LBB268_9
; %bb.7:
	s_load_dwordx2 s[12:13], s[0:1], 0x8
	s_load_dwordx2 s[10:11], s[0:1], 0x18
	s_mul_hi_i32 s9, s20, s8
	s_mul_i32 s8, s20, s8
	s_lshl_b64 s[8:9], s[8:9], 3
	s_load_dword s14, s[0:1], 0x3c
	s_waitcnt lgkmcnt(0)
	s_add_u32 s8, s10, s8
	s_addc_u32 s3, s11, s9
	s_lshl_b64 s[0:1], s[20:21], 2
	s_add_u32 s0, s8, s0
	s_addc_u32 s1, s3, s1
	s_and_b32 s9, s3, 0xffff
	s_mul_i32 s3, s2, s21
	s_mul_hi_u32 s15, s2, s20
	s_add_i32 s3, s15, s3
	s_mul_i32 s2, s2, s20
	s_lshl_b32 s10, s20, 2
	s_and_b32 s1, s1, 0xffff
	s_lshl_b64 s[2:3], s[2:3], 2
	s_add_u32 s12, s12, s2
	s_addc_u32 s13, s13, s3
	s_lshl_b64 s[2:3], s[20:21], 1
	s_add_u32 s16, s12, s2
	s_addc_u32 s2, s13, s3
	s_mov_b32 s7, 0x20000
	s_and_b32 s17, s2, 0xffff
	s_and_b32 s2, s14, 0xffff
	s_mov_b32 s23, 0
	s_mov_b32 s11, s7
	s_and_b32 s13, s13, 0xffff
	v_mov_b32_e32 v9, 0
	s_lshl_b32 s22, s2, 2
	v_lshlrev_b32_e32 v14, 4, v0
	s_lshl_b32 s26, s2, 4
	v_lshlrev_b32_e32 v15, 3, v0
	s_lshl_b32 s27, s2, 3
	s_mov_b64 s[24:25], 0
	s_mov_b32 s28, 0x3fb8aa3b
	s_mov_b32 s29, 0xc2ce8ed0
	;; [unrolled: 1-line block ×3, first 2 shown]
	v_mov_b32_e32 v16, 0x7f800000
	s_mov_b32 s31, 0xc0e00000
	v_mov_b32_e32 v17, 0x40e00000
	s_mov_b32 s33, 0x7060302
	s_mov_b32 s14, s6
	;; [unrolled: 1-line block ×5, first 2 shown]
.LBB268_8:                              ; =>This Inner Loop Header: Depth=1
	buffer_load_dwordx2 v[12:13], v15, s[12:15], 0 offen
	buffer_load_dwordx2 v[10:11], v15, s[16:19], 0 offen
	buffer_load_dwordx4 v[0:3], v14, s[8:11], 0 offen
	s_mov_b32 s2, s10
	s_mov_b32 s3, s11
	buffer_load_dwordx4 v[4:7], v14, s[0:3], 0 offen
	v_lshl_add_u64 v[8:9], s[22:23], 0, v[8:9]
	v_cmp_le_i64_e32 vcc, s[20:21], v[8:9]
	s_or_b64 s[24:25], vcc, s[24:25]
	v_add_u32_e32 v14, s26, v14
	s_waitcnt vmcnt(3)
	v_and_b32_e32 v19, 0xffff0000, v12
	v_lshlrev_b32_e32 v18, 16, v12
	s_waitcnt vmcnt(1)
	v_pk_add_f32 v[0:1], v[0:1], v[18:19]
	v_and_b32_e32 v21, 0xffff0000, v13
	v_lshlrev_b32_e32 v20, 16, v13
	v_min_f32_e32 v0, 0x40e00000, v0
	v_and_b32_e32 v13, 0xffff0000, v10
	v_lshlrev_b32_e32 v12, 16, v10
	v_pk_add_f32 v[2:3], v[2:3], v[20:21]
	v_min_f32_e32 v1, 0x40e00000, v1
	v_mul_f32_e32 v10, 0xbfd9db23, v0
	v_and_b32_e32 v23, 0xffff0000, v11
	v_lshlrev_b32_e32 v22, 16, v11
	v_min_f32_e32 v2, 0x40e00000, v2
	v_mul_f32_e32 v11, 0xbfd9db23, v1
	v_mul_f32_e32 v18, 0x3fb8aa3b, v10
	s_waitcnt vmcnt(0)
	v_pk_add_f32 v[6:7], v[6:7], v[22:23]
	v_pk_add_f32 v[4:5], v[4:5], v[12:13]
	v_min_f32_e32 v3, 0x40e00000, v3
	v_mul_f32_e32 v12, 0xbfd9db23, v2
	v_mul_f32_e32 v19, 0x3fb8aa3b, v11
	v_fma_f32 v22, v10, s28, -v18
	v_rndne_f32_e32 v23, v18
	v_mul_f32_e32 v13, 0xbfd9db23, v3
	v_mul_f32_e32 v20, 0x3fb8aa3b, v12
	v_fma_f32 v24, v11, s28, -v19
	v_rndne_f32_e32 v25, v19
	v_fmac_f32_e32 v22, 0x32a5705f, v10
	v_sub_f32_e32 v18, v18, v23
	v_mul_f32_e32 v21, 0x3fb8aa3b, v13
	v_fma_f32 v26, v12, s28, -v20
	v_rndne_f32_e32 v27, v20
	v_fmac_f32_e32 v24, 0x32a5705f, v11
	v_sub_f32_e32 v19, v19, v25
	v_add_f32_e32 v18, v18, v22
	v_fma_f32 v28, v13, s28, -v21
	v_rndne_f32_e32 v29, v21
	v_cvt_i32_f32_e32 v23, v23
	v_fmac_f32_e32 v26, 0x32a5705f, v12
	v_sub_f32_e32 v20, v20, v27
	v_add_f32_e32 v19, v19, v24
	v_exp_f32_e32 v18, v18
	v_cvt_i32_f32_e32 v25, v25
	v_fmac_f32_e32 v28, 0x32a5705f, v13
	v_sub_f32_e32 v21, v21, v29
	v_add_f32_e32 v20, v20, v26
	v_exp_f32_e32 v19, v19
	v_cvt_i32_f32_e32 v27, v27
	v_add_f32_e32 v21, v21, v28
	v_exp_f32_e32 v20, v20
	v_cvt_i32_f32_e32 v29, v29
	v_exp_f32_e32 v21, v21
	v_ldexp_f32 v18, v18, v23
	v_cmp_ngt_f32_e32 vcc, s29, v10
	v_ldexp_f32 v19, v19, v25
	v_ldexp_f32 v20, v20, v27
	v_cndmask_b32_e32 v18, 0, v18, vcc
	v_cmp_ngt_f32_e32 vcc, s29, v11
	v_ldexp_f32 v21, v21, v29
	v_med3_f32 v7, v7, s31, v17
	v_cndmask_b32_e32 v19, 0, v19, vcc
	v_cmp_ngt_f32_e32 vcc, s29, v12
	v_med3_f32 v6, v6, s31, v17
	v_med3_f32 v5, v5, s31, v17
	v_cndmask_b32_e32 v20, 0, v20, vcc
	v_cmp_ngt_f32_e32 vcc, s29, v13
	v_med3_f32 v4, v4, s31, v17
	v_pk_add_f32 v[6:7], v[6:7], 1.0 op_sel_hi:[1,0]
	v_cndmask_b32_e32 v21, 0, v21, vcc
	v_cmp_nlt_f32_e32 vcc, s30, v10
	v_pk_add_f32 v[4:5], v[4:5], 1.0 op_sel_hi:[1,0]
	s_nop 0
	v_cndmask_b32_e32 v10, v16, v18, vcc
	v_cmp_nlt_f32_e32 vcc, s30, v11
	v_add_f32_e32 v10, 1.0, v10
	v_rcp_f32_e32 v10, v10
	v_cndmask_b32_e32 v11, v16, v19, vcc
	v_cmp_nlt_f32_e32 vcc, s30, v12
	v_add_f32_e32 v11, 1.0, v11
	v_rcp_f32_e32 v11, v11
	v_cndmask_b32_e32 v12, v16, v20, vcc
	v_cmp_nlt_f32_e32 vcc, s30, v13
	v_add_f32_e32 v12, 1.0, v12
	v_rcp_f32_e32 v12, v12
	v_cndmask_b32_e32 v13, v16, v21, vcc
	v_add_f32_e32 v13, 1.0, v13
	v_rcp_f32_e32 v13, v13
	v_pk_mul_f32 v[0:1], v[0:1], v[10:11]
	v_pk_mul_f32 v[2:3], v[2:3], v[12:13]
	s_nop 0
	v_pk_mul_f32 v[2:3], v[6:7], v[2:3]
	v_pk_mul_f32 v[0:1], v[4:5], v[0:1]
	v_perm_b32 v3, v3, v2, s33
	v_perm_b32 v2, v1, v0, s33
	buffer_store_dwordx2 v[2:3], v15, s[4:7], 0 offen
	v_add_u32_e32 v15, s27, v15
	s_andn2_b64 exec, exec, s[24:25]
	s_cbranch_execnz .LBB268_8
.LBB268_9:
	s_endpgm
	.section	.rodata,"a",@progbits
	.p2align	6, 0x0
	.amdhsa_kernel _ZN5aiter30swiglu_act_and_mul_bias_kernelIttafLi4EEEvPT0_PKT_PKT1_PKT2_il
		.amdhsa_group_segment_fixed_size 0
		.amdhsa_private_segment_fixed_size 0
		.amdhsa_kernarg_size 304
		.amdhsa_user_sgpr_count 2
		.amdhsa_user_sgpr_dispatch_ptr 0
		.amdhsa_user_sgpr_queue_ptr 0
		.amdhsa_user_sgpr_kernarg_segment_ptr 1
		.amdhsa_user_sgpr_dispatch_id 0
		.amdhsa_user_sgpr_kernarg_preload_length 0
		.amdhsa_user_sgpr_kernarg_preload_offset 0
		.amdhsa_user_sgpr_private_segment_size 0
		.amdhsa_uses_dynamic_stack 0
		.amdhsa_enable_private_segment 0
		.amdhsa_system_sgpr_workgroup_id_x 1
		.amdhsa_system_sgpr_workgroup_id_y 0
		.amdhsa_system_sgpr_workgroup_id_z 0
		.amdhsa_system_sgpr_workgroup_info 0
		.amdhsa_system_vgpr_workitem_id 0
		.amdhsa_next_free_vgpr 30
		.amdhsa_next_free_sgpr 34
		.amdhsa_accum_offset 32
		.amdhsa_reserve_vcc 1
		.amdhsa_float_round_mode_32 0
		.amdhsa_float_round_mode_16_64 0
		.amdhsa_float_denorm_mode_32 3
		.amdhsa_float_denorm_mode_16_64 3
		.amdhsa_dx10_clamp 1
		.amdhsa_ieee_mode 1
		.amdhsa_fp16_overflow 0
		.amdhsa_tg_split 0
		.amdhsa_exception_fp_ieee_invalid_op 0
		.amdhsa_exception_fp_denorm_src 0
		.amdhsa_exception_fp_ieee_div_zero 0
		.amdhsa_exception_fp_ieee_overflow 0
		.amdhsa_exception_fp_ieee_underflow 0
		.amdhsa_exception_fp_ieee_inexact 0
		.amdhsa_exception_int_div_zero 0
	.end_amdhsa_kernel
	.section	.text._ZN5aiter30swiglu_act_and_mul_bias_kernelIttafLi4EEEvPT0_PKT_PKT1_PKT2_il,"axG",@progbits,_ZN5aiter30swiglu_act_and_mul_bias_kernelIttafLi4EEEvPT0_PKT_PKT1_PKT2_il,comdat
.Lfunc_end268:
	.size	_ZN5aiter30swiglu_act_and_mul_bias_kernelIttafLi4EEEvPT0_PKT_PKT1_PKT2_il, .Lfunc_end268-_ZN5aiter30swiglu_act_and_mul_bias_kernelIttafLi4EEEvPT0_PKT_PKT1_PKT2_il
                                        ; -- End function
	.section	.AMDGPU.csdata,"",@progbits
; Kernel info:
; codeLenInByte = 1232
; NumSgprs: 40
; NumVgprs: 30
; NumAgprs: 0
; TotalNumVgprs: 30
; ScratchSize: 0
; MemoryBound: 0
; FloatMode: 240
; IeeeMode: 1
; LDSByteSize: 0 bytes/workgroup (compile time only)
; SGPRBlocks: 4
; VGPRBlocks: 3
; NumSGPRsForWavesPerEU: 40
; NumVGPRsForWavesPerEU: 30
; AccumOffset: 32
; Occupancy: 8
; WaveLimiterHint : 0
; COMPUTE_PGM_RSRC2:SCRATCH_EN: 0
; COMPUTE_PGM_RSRC2:USER_SGPR: 2
; COMPUTE_PGM_RSRC2:TRAP_HANDLER: 0
; COMPUTE_PGM_RSRC2:TGID_X_EN: 1
; COMPUTE_PGM_RSRC2:TGID_Y_EN: 0
; COMPUTE_PGM_RSRC2:TGID_Z_EN: 0
; COMPUTE_PGM_RSRC2:TIDIG_COMP_CNT: 0
; COMPUTE_PGM_RSRC3_GFX90A:ACCUM_OFFSET: 7
; COMPUTE_PGM_RSRC3_GFX90A:TG_SPLIT: 0
	.section	.text._ZN5aiter30swiglu_act_and_mul_bias_kernelIttafLi2EEEvPT0_PKT_PKT1_PKT2_il,"axG",@progbits,_ZN5aiter30swiglu_act_and_mul_bias_kernelIttafLi2EEEvPT0_PKT_PKT1_PKT2_il,comdat
	.protected	_ZN5aiter30swiglu_act_and_mul_bias_kernelIttafLi2EEEvPT0_PKT_PKT1_PKT2_il ; -- Begin function _ZN5aiter30swiglu_act_and_mul_bias_kernelIttafLi2EEEvPT0_PKT_PKT1_PKT2_il
	.globl	_ZN5aiter30swiglu_act_and_mul_bias_kernelIttafLi2EEEvPT0_PKT_PKT1_PKT2_il
	.p2align	8
	.type	_ZN5aiter30swiglu_act_and_mul_bias_kernelIttafLi2EEEvPT0_PKT_PKT1_PKT2_il,@function
_ZN5aiter30swiglu_act_and_mul_bias_kernelIttafLi2EEEvPT0_PKT_PKT1_PKT2_il: ; @_ZN5aiter30swiglu_act_and_mul_bias_kernelIttafLi2EEEvPT0_PKT_PKT1_PKT2_il
; %bb.0:
	s_load_dwordx2 s[4:5], s[0:1], 0x10
	s_load_dword s20, s[0:1], 0x20
	s_load_dwordx2 s[6:7], s[0:1], 0x28
	v_mov_b32_e32 v1, s2
	s_mov_b32 s9, 0
	s_waitcnt lgkmcnt(0)
	global_load_ubyte v1, v1, s[4:5]
	s_add_i32 s3, s20, 1
	v_mov_b64_e32 v[2:3], s[6:7]
	s_lshr_b32 s6, s3, 31
	s_add_i32 s3, s3, s6
	s_load_dwordx2 s[4:5], s[0:1], 0x0
	s_lshl_b32 s3, s3, 1
	s_ashr_i32 s21, s20, 31
	s_and_b32 s6, s3, -4
	s_mul_hi_u32 s8, s20, s2
	s_mul_i32 s7, s21, s2
	s_mul_i32 s12, s20, s2
	s_add_i32 s13, s8, s7
	s_lshl_b64 s[12:13], s[12:13], 1
	s_mov_b64 s[10:11], -1
	s_waitcnt vmcnt(0)
	v_readfirstlane_b32 s3, v1
	s_nop 1
	v_mov_b32_e32 v4, s3
	s_sext_i32_i8 s3, s3
	v_readfirstlane_b32 s8, v4
	s_bfe_i64 s[8:9], s[8:9], 0x80000
	s_waitcnt lgkmcnt(0)
	s_add_u32 s4, s4, s12
	s_addc_u32 s5, s5, s13
	s_and_b32 s5, s5, 0xffff
	s_cmp_gt_i32 s3, -1
	v_cmp_lt_i64_e32 vcc, s[8:9], v[2:3]
	s_cselect_b64 s[12:13], -1, 0
	s_and_b64 s[12:13], s[12:13], vcc
	s_and_b64 vcc, exec, s[12:13]
	v_lshlrev_b32_e32 v2, 1, v0
	s_cbranch_vccnz .LBB269_5
; %bb.1:
	v_cmp_gt_i32_e32 vcc, s20, v2
	s_and_saveexec_b64 s[10:11], vcc
	s_cbranch_execz .LBB269_4
; %bb.2:
	s_load_dword s3, s[0:1], 0x3c
	v_mov_b32_e32 v3, 0
	s_mov_b32 s13, 0
	v_lshlrev_b32_e32 v1, 2, v0
	s_mov_b64 s[14:15], 0
	s_waitcnt lgkmcnt(0)
	s_and_b32 s3, s3, 0xffff
	s_lshl_b32 s12, s3, 1
	s_lshl_b32 s3, s3, 2
	s_mov_b32 s7, 0x20000
	v_mov_b64_e32 v[4:5], v[2:3]
.LBB269_3:                              ; =>This Inner Loop Header: Depth=1
	v_lshl_add_u64 v[4:5], s[12:13], 0, v[4:5]
	v_cmp_le_i64_e32 vcc, s[20:21], v[4:5]
	buffer_store_dword v3, v1, s[4:7], 0 offen
	s_or_b64 s[14:15], vcc, s[14:15]
	v_add_u32_e32 v1, s3, v1
	s_andn2_b64 exec, exec, s[14:15]
	s_cbranch_execnz .LBB269_3
.LBB269_4:
	s_or_b64 exec, exec, s[10:11]
	s_mov_b64 s[10:11], 0
.LBB269_5:
	s_andn2_b64 vcc, exec, s[10:11]
	s_cbranch_vccnz .LBB269_9
; %bb.6:
	v_cmp_gt_i32_e32 vcc, s20, v2
	s_and_saveexec_b64 s[10:11], vcc
	s_cbranch_execz .LBB269_9
; %bb.7:
	s_load_dwordx2 s[12:13], s[0:1], 0x8
	s_load_dwordx2 s[10:11], s[0:1], 0x18
	s_mul_hi_i32 s9, s20, s8
	s_mul_i32 s8, s20, s8
	s_lshl_b64 s[8:9], s[8:9], 3
	s_load_dword s14, s[0:1], 0x3c
	s_waitcnt lgkmcnt(0)
	s_add_u32 s8, s10, s8
	s_addc_u32 s3, s11, s9
	s_lshl_b64 s[0:1], s[20:21], 2
	s_add_u32 s0, s8, s0
	s_addc_u32 s1, s3, s1
	s_and_b32 s9, s3, 0xffff
	s_mul_i32 s3, s2, s21
	s_mul_hi_u32 s15, s2, s20
	s_add_i32 s3, s15, s3
	s_mul_i32 s2, s2, s20
	s_lshl_b32 s10, s20, 2
	s_and_b32 s1, s1, 0xffff
	s_lshl_b64 s[2:3], s[2:3], 2
	s_add_u32 s12, s12, s2
	s_addc_u32 s13, s13, s3
	s_lshl_b64 s[2:3], s[20:21], 1
	s_add_u32 s16, s12, s2
	s_addc_u32 s2, s13, s3
	s_mov_b32 s7, 0x20000
	s_and_b32 s17, s2, 0xffff
	s_and_b32 s2, s14, 0xffff
	s_mov_b32 s23, 0
	s_mov_b32 s11, s7
	s_and_b32 s13, s13, 0xffff
	v_mov_b32_e32 v3, 0
	s_lshl_b32 s22, s2, 1
	v_lshlrev_b32_e32 v1, 3, v0
	s_lshl_b32 s26, s2, 3
	v_lshlrev_b32_e32 v0, 2, v0
	s_lshl_b32 s27, s2, 2
	s_mov_b64 s[24:25], 0
	s_mov_b32 s28, 0x3fb8aa3b
	s_mov_b32 s29, 0xc2ce8ed0
	;; [unrolled: 1-line block ×3, first 2 shown]
	v_mov_b32_e32 v4, 0x7f800000
	s_mov_b32 s31, 0xc0e00000
	v_mov_b32_e32 v5, 0x40e00000
	s_mov_b32 s33, 0x7060302
	s_mov_b32 s14, s6
	;; [unrolled: 1-line block ×5, first 2 shown]
.LBB269_8:                              ; =>This Inner Loop Header: Depth=1
	buffer_load_dword v11, v0, s[12:15], 0 offen
	buffer_load_dword v13, v0, s[16:19], 0 offen
	buffer_load_dwordx2 v[6:7], v1, s[8:11], 0 offen
	s_mov_b32 s2, s10
	s_mov_b32 s3, s11
	buffer_load_dwordx2 v[8:9], v1, s[0:3], 0 offen
	v_lshl_add_u64 v[2:3], s[22:23], 0, v[2:3]
	v_cmp_le_i64_e32 vcc, s[20:21], v[2:3]
	s_or_b64 s[24:25], vcc, s[24:25]
	v_add_u32_e32 v1, s26, v1
	s_waitcnt vmcnt(3)
	v_lshlrev_b32_e32 v10, 16, v11
	v_and_b32_e32 v11, 0xffff0000, v11
	s_waitcnt vmcnt(1)
	v_pk_add_f32 v[6:7], v[6:7], v[10:11]
	v_lshlrev_b32_e32 v12, 16, v13
	v_min_f32_e32 v6, 0x40e00000, v6
	v_min_f32_e32 v7, 0x40e00000, v7
	v_mul_f32_e32 v10, 0xbfd9db23, v6
	v_mul_f32_e32 v11, 0xbfd9db23, v7
	;; [unrolled: 1-line block ×4, first 2 shown]
	v_fma_f32 v16, v10, s28, -v14
	v_rndne_f32_e32 v17, v14
	v_fma_f32 v18, v11, s28, -v15
	v_rndne_f32_e32 v19, v15
	v_fmac_f32_e32 v16, 0x32a5705f, v10
	v_sub_f32_e32 v14, v14, v17
	v_fmac_f32_e32 v18, 0x32a5705f, v11
	v_sub_f32_e32 v15, v15, v19
	v_add_f32_e32 v14, v14, v16
	v_cvt_i32_f32_e32 v17, v17
	v_add_f32_e32 v15, v15, v18
	v_exp_f32_e32 v14, v14
	v_cvt_i32_f32_e32 v19, v19
	v_exp_f32_e32 v15, v15
	v_and_b32_e32 v13, 0xffff0000, v13
	s_waitcnt vmcnt(0)
	v_pk_add_f32 v[8:9], v[8:9], v[12:13]
	v_ldexp_f32 v12, v14, v17
	v_cmp_ngt_f32_e32 vcc, s29, v10
	v_ldexp_f32 v13, v15, v19
	v_med3_f32 v9, v9, s31, v5
	v_cndmask_b32_e32 v12, 0, v12, vcc
	v_cmp_ngt_f32_e32 vcc, s29, v11
	v_med3_f32 v8, v8, s31, v5
	v_pk_add_f32 v[8:9], v[8:9], 1.0 op_sel_hi:[1,0]
	v_cndmask_b32_e32 v13, 0, v13, vcc
	v_cmp_nlt_f32_e32 vcc, s30, v10
	s_nop 1
	v_cndmask_b32_e32 v10, v4, v12, vcc
	v_cmp_nlt_f32_e32 vcc, s30, v11
	v_add_f32_e32 v10, 1.0, v10
	v_rcp_f32_e32 v10, v10
	v_cndmask_b32_e32 v11, v4, v13, vcc
	v_add_f32_e32 v11, 1.0, v11
	v_rcp_f32_e32 v11, v11
	s_nop 0
	v_pk_mul_f32 v[6:7], v[6:7], v[10:11]
	s_nop 0
	v_pk_mul_f32 v[6:7], v[8:9], v[6:7]
	s_nop 0
	v_perm_b32 v6, v7, v6, s33
	buffer_store_dword v6, v0, s[4:7], 0 offen
	v_add_u32_e32 v0, s27, v0
	s_andn2_b64 exec, exec, s[24:25]
	s_cbranch_execnz .LBB269_8
.LBB269_9:
	s_endpgm
	.section	.rodata,"a",@progbits
	.p2align	6, 0x0
	.amdhsa_kernel _ZN5aiter30swiglu_act_and_mul_bias_kernelIttafLi2EEEvPT0_PKT_PKT1_PKT2_il
		.amdhsa_group_segment_fixed_size 0
		.amdhsa_private_segment_fixed_size 0
		.amdhsa_kernarg_size 304
		.amdhsa_user_sgpr_count 2
		.amdhsa_user_sgpr_dispatch_ptr 0
		.amdhsa_user_sgpr_queue_ptr 0
		.amdhsa_user_sgpr_kernarg_segment_ptr 1
		.amdhsa_user_sgpr_dispatch_id 0
		.amdhsa_user_sgpr_kernarg_preload_length 0
		.amdhsa_user_sgpr_kernarg_preload_offset 0
		.amdhsa_user_sgpr_private_segment_size 0
		.amdhsa_uses_dynamic_stack 0
		.amdhsa_enable_private_segment 0
		.amdhsa_system_sgpr_workgroup_id_x 1
		.amdhsa_system_sgpr_workgroup_id_y 0
		.amdhsa_system_sgpr_workgroup_id_z 0
		.amdhsa_system_sgpr_workgroup_info 0
		.amdhsa_system_vgpr_workitem_id 0
		.amdhsa_next_free_vgpr 20
		.amdhsa_next_free_sgpr 34
		.amdhsa_accum_offset 20
		.amdhsa_reserve_vcc 1
		.amdhsa_float_round_mode_32 0
		.amdhsa_float_round_mode_16_64 0
		.amdhsa_float_denorm_mode_32 3
		.amdhsa_float_denorm_mode_16_64 3
		.amdhsa_dx10_clamp 1
		.amdhsa_ieee_mode 1
		.amdhsa_fp16_overflow 0
		.amdhsa_tg_split 0
		.amdhsa_exception_fp_ieee_invalid_op 0
		.amdhsa_exception_fp_denorm_src 0
		.amdhsa_exception_fp_ieee_div_zero 0
		.amdhsa_exception_fp_ieee_overflow 0
		.amdhsa_exception_fp_ieee_underflow 0
		.amdhsa_exception_fp_ieee_inexact 0
		.amdhsa_exception_int_div_zero 0
	.end_amdhsa_kernel
	.section	.text._ZN5aiter30swiglu_act_and_mul_bias_kernelIttafLi2EEEvPT0_PKT_PKT1_PKT2_il,"axG",@progbits,_ZN5aiter30swiglu_act_and_mul_bias_kernelIttafLi2EEEvPT0_PKT_PKT1_PKT2_il,comdat
.Lfunc_end269:
	.size	_ZN5aiter30swiglu_act_and_mul_bias_kernelIttafLi2EEEvPT0_PKT_PKT1_PKT2_il, .Lfunc_end269-_ZN5aiter30swiglu_act_and_mul_bias_kernelIttafLi2EEEvPT0_PKT_PKT1_PKT2_il
                                        ; -- End function
	.section	.AMDGPU.csdata,"",@progbits
; Kernel info:
; codeLenInByte = 960
; NumSgprs: 40
; NumVgprs: 20
; NumAgprs: 0
; TotalNumVgprs: 20
; ScratchSize: 0
; MemoryBound: 0
; FloatMode: 240
; IeeeMode: 1
; LDSByteSize: 0 bytes/workgroup (compile time only)
; SGPRBlocks: 4
; VGPRBlocks: 2
; NumSGPRsForWavesPerEU: 40
; NumVGPRsForWavesPerEU: 20
; AccumOffset: 20
; Occupancy: 8
; WaveLimiterHint : 0
; COMPUTE_PGM_RSRC2:SCRATCH_EN: 0
; COMPUTE_PGM_RSRC2:USER_SGPR: 2
; COMPUTE_PGM_RSRC2:TRAP_HANDLER: 0
; COMPUTE_PGM_RSRC2:TGID_X_EN: 1
; COMPUTE_PGM_RSRC2:TGID_Y_EN: 0
; COMPUTE_PGM_RSRC2:TGID_Z_EN: 0
; COMPUTE_PGM_RSRC2:TIDIG_COMP_CNT: 0
; COMPUTE_PGM_RSRC3_GFX90A:ACCUM_OFFSET: 4
; COMPUTE_PGM_RSRC3_GFX90A:TG_SPLIT: 0
	.section	.text._ZN5aiter30swiglu_act_and_mul_bias_kernelIttafLi1EEEvPT0_PKT_PKT1_PKT2_il,"axG",@progbits,_ZN5aiter30swiglu_act_and_mul_bias_kernelIttafLi1EEEvPT0_PKT_PKT1_PKT2_il,comdat
	.protected	_ZN5aiter30swiglu_act_and_mul_bias_kernelIttafLi1EEEvPT0_PKT_PKT1_PKT2_il ; -- Begin function _ZN5aiter30swiglu_act_and_mul_bias_kernelIttafLi1EEEvPT0_PKT_PKT1_PKT2_il
	.globl	_ZN5aiter30swiglu_act_and_mul_bias_kernelIttafLi1EEEvPT0_PKT_PKT1_PKT2_il
	.p2align	8
	.type	_ZN5aiter30swiglu_act_and_mul_bias_kernelIttafLi1EEEvPT0_PKT_PKT1_PKT2_il,@function
_ZN5aiter30swiglu_act_and_mul_bias_kernelIttafLi1EEEvPT0_PKT_PKT1_PKT2_il: ; @_ZN5aiter30swiglu_act_and_mul_bias_kernelIttafLi1EEEvPT0_PKT_PKT1_PKT2_il
; %bb.0:
	s_load_dwordx2 s[4:5], s[0:1], 0x10
	s_load_dword s20, s[0:1], 0x20
	s_load_dwordx2 s[6:7], s[0:1], 0x28
	v_mov_b32_e32 v1, s2
	s_mov_b32 s9, 0
	s_waitcnt lgkmcnt(0)
	global_load_ubyte v1, v1, s[4:5]
	s_add_i32 s3, s20, 1
	s_ashr_i32 s21, s20, 31
	v_mov_b64_e32 v[2:3], s[6:7]
	s_lshr_b32 s6, s3, 31
	s_mul_hi_u32 s8, s20, s2
	s_mul_i32 s7, s21, s2
	s_add_i32 s3, s3, s6
	s_load_dwordx2 s[4:5], s[0:1], 0x0
	s_mul_i32 s10, s20, s2
	s_add_i32 s11, s8, s7
	s_lshl_b32 s3, s3, 1
	s_lshl_b64 s[14:15], s[10:11], 1
	s_and_b32 s10, s3, -4
	s_mov_b64 s[12:13], -1
	s_waitcnt vmcnt(0)
	v_readfirstlane_b32 s3, v1
	s_nop 1
	v_mov_b32_e32 v4, s3
	s_sext_i32_i8 s3, s3
	v_readfirstlane_b32 s8, v4
	s_bfe_i64 s[6:7], s[8:9], 0x80000
	s_waitcnt lgkmcnt(0)
	s_add_u32 s8, s4, s14
	s_addc_u32 s4, s5, s15
	s_and_b32 s9, s4, 0xffff
	s_cmp_gt_i32 s3, -1
	v_cmp_lt_i64_e32 vcc, s[6:7], v[2:3]
	s_cselect_b64 s[4:5], -1, 0
	s_and_b64 s[4:5], s[4:5], vcc
	s_and_b64 vcc, exec, s[4:5]
	v_cmp_gt_i32_e64 s[4:5], s20, v0
	s_cbranch_vccnz .LBB270_5
; %bb.1:
	s_and_saveexec_b64 s[12:13], s[4:5]
	s_cbranch_execz .LBB270_4
; %bb.2:
	s_load_dword s3, s[0:1], 0x3c
	v_mov_b32_e32 v1, 0
	s_mov_b32 s5, 0
	v_lshlrev_b32_e32 v4, 1, v0
	s_mov_b64 s[14:15], 0
	s_waitcnt lgkmcnt(0)
	s_and_b32 s4, s3, 0xffff
	s_lshl_b32 s3, s4, 1
	s_mov_b32 s11, 0x20000
	v_mov_b64_e32 v[2:3], v[0:1]
.LBB270_3:                              ; =>This Inner Loop Header: Depth=1
	v_lshl_add_u64 v[2:3], v[2:3], 0, s[4:5]
	v_cmp_le_i64_e32 vcc, s[20:21], v[2:3]
	buffer_store_short v1, v4, s[8:11], 0 offen
	s_or_b64 s[14:15], vcc, s[14:15]
	v_add_u32_e32 v4, s3, v4
	s_andn2_b64 exec, exec, s[14:15]
	s_cbranch_execnz .LBB270_3
.LBB270_4:
	s_or_b64 exec, exec, s[12:13]
	s_mov_b64 s[12:13], 0
.LBB270_5:
	s_andn2_b64 vcc, exec, s[12:13]
	s_cbranch_vccnz .LBB270_9
; %bb.6:
	v_cmp_gt_i32_e32 vcc, s20, v0
	s_and_saveexec_b64 s[4:5], vcc
	s_cbranch_execz .LBB270_9
; %bb.7:
	s_load_dwordx2 s[12:13], s[0:1], 0x8
	s_load_dwordx2 s[4:5], s[0:1], 0x18
	s_mul_hi_i32 s7, s20, s6
	s_mul_i32 s6, s20, s6
	s_lshl_b64 s[6:7], s[6:7], 3
	s_load_dword s14, s[0:1], 0x3c
	s_waitcnt lgkmcnt(0)
	s_add_u32 s4, s4, s6
	s_addc_u32 s3, s5, s7
	s_lshl_b64 s[0:1], s[20:21], 2
	s_add_u32 s0, s4, s0
	s_addc_u32 s1, s3, s1
	s_and_b32 s5, s3, 0xffff
	s_mul_i32 s3, s2, s21
	s_mul_hi_u32 s15, s2, s20
	s_add_i32 s3, s15, s3
	s_mul_i32 s2, s2, s20
	s_lshl_b32 s6, s20, 2
	s_and_b32 s1, s1, 0xffff
	s_lshl_b64 s[2:3], s[2:3], 2
	s_add_u32 s12, s12, s2
	s_addc_u32 s13, s13, s3
	s_lshl_b64 s[2:3], s[20:21], 1
	s_add_u32 s16, s12, s2
	s_mov_b32 s11, 0x20000
	s_addc_u32 s2, s13, s3
	s_and_b32 s22, s14, 0xffff
	s_mov_b32 s23, 0
	s_mov_b32 s7, s11
	s_and_b32 s13, s13, 0xffff
	s_and_b32 s17, s2, 0xffff
	v_mov_b32_e32 v1, 0
	v_lshlrev_b32_e32 v2, 2, v0
	s_lshl_b32 s26, s22, 2
	v_lshlrev_b32_e32 v3, 1, v0
	s_lshl_b32 s27, s22, 1
	s_mov_b64 s[24:25], 0
	s_mov_b32 s28, 0x3fb8aa3b
	s_mov_b32 s29, 0xc2ce8ed0
	;; [unrolled: 1-line block ×3, first 2 shown]
	v_mov_b32_e32 v4, 0x7f800000
	s_mov_b32 s14, s10
	s_mov_b32 s15, s11
	s_mov_b32 s18, s10
	s_mov_b32 s19, s11
.LBB270_8:                              ; =>This Inner Loop Header: Depth=1
	buffer_load_ushort v5, v3, s[12:15], 0 offen
	buffer_load_dword v6, v2, s[4:7], 0 offen
	buffer_load_ushort v7, v3, s[16:19], 0 offen
	s_mov_b32 s2, s6
	s_mov_b32 s3, s7
	buffer_load_dword v8, v2, s[0:3], 0 offen
	v_lshl_add_u64 v[0:1], v[0:1], 0, s[22:23]
	v_cmp_le_i64_e32 vcc, s[20:21], v[0:1]
	s_or_b64 s[24:25], vcc, s[24:25]
	v_add_u32_e32 v2, s26, v2
	s_waitcnt vmcnt(3)
	v_lshlrev_b32_e32 v5, 16, v5
	s_waitcnt vmcnt(2)
	v_add_f32_e32 v5, v5, v6
	v_min_f32_e32 v5, 0x40e00000, v5
	v_mul_f32_e32 v6, 0xbfd9db23, v5
	v_mul_f32_e32 v9, 0x3fb8aa3b, v6
	v_fma_f32 v10, v6, s28, -v9
	v_rndne_f32_e32 v11, v9
	v_fmac_f32_e32 v10, 0x32a5705f, v6
	v_sub_f32_e32 v9, v9, v11
	v_add_f32_e32 v9, v9, v10
	v_cvt_i32_f32_e32 v11, v11
	v_exp_f32_e32 v9, v9
	s_waitcnt vmcnt(1)
	v_lshlrev_b32_e32 v7, 16, v7
	s_waitcnt vmcnt(0)
	v_add_f32_e32 v7, v7, v8
	v_cmp_ngt_f32_e32 vcc, s29, v6
	v_ldexp_f32 v8, v9, v11
	v_max_f32_e32 v7, 0xc0e00000, v7
	v_cndmask_b32_e32 v8, 0, v8, vcc
	v_cmp_nlt_f32_e32 vcc, s30, v6
	v_min_f32_e32 v7, 0x40e00000, v7
	v_add_f32_e32 v7, 1.0, v7
	v_cndmask_b32_e32 v6, v4, v8, vcc
	v_add_f32_e32 v6, 1.0, v6
	v_rcp_f32_e32 v6, v6
	s_nop 0
	v_mul_f32_e32 v5, v5, v6
	v_mul_f32_e32 v5, v7, v5
	v_lshrrev_b32_e32 v5, 16, v5
	buffer_store_short v5, v3, s[8:11], 0 offen
	v_add_u32_e32 v3, s27, v3
	s_andn2_b64 exec, exec, s[24:25]
	s_cbranch_execnz .LBB270_8
.LBB270_9:
	s_endpgm
	.section	.rodata,"a",@progbits
	.p2align	6, 0x0
	.amdhsa_kernel _ZN5aiter30swiglu_act_and_mul_bias_kernelIttafLi1EEEvPT0_PKT_PKT1_PKT2_il
		.amdhsa_group_segment_fixed_size 0
		.amdhsa_private_segment_fixed_size 0
		.amdhsa_kernarg_size 304
		.amdhsa_user_sgpr_count 2
		.amdhsa_user_sgpr_dispatch_ptr 0
		.amdhsa_user_sgpr_queue_ptr 0
		.amdhsa_user_sgpr_kernarg_segment_ptr 1
		.amdhsa_user_sgpr_dispatch_id 0
		.amdhsa_user_sgpr_kernarg_preload_length 0
		.amdhsa_user_sgpr_kernarg_preload_offset 0
		.amdhsa_user_sgpr_private_segment_size 0
		.amdhsa_uses_dynamic_stack 0
		.amdhsa_enable_private_segment 0
		.amdhsa_system_sgpr_workgroup_id_x 1
		.amdhsa_system_sgpr_workgroup_id_y 0
		.amdhsa_system_sgpr_workgroup_id_z 0
		.amdhsa_system_sgpr_workgroup_info 0
		.amdhsa_system_vgpr_workitem_id 0
		.amdhsa_next_free_vgpr 12
		.amdhsa_next_free_sgpr 31
		.amdhsa_accum_offset 12
		.amdhsa_reserve_vcc 1
		.amdhsa_float_round_mode_32 0
		.amdhsa_float_round_mode_16_64 0
		.amdhsa_float_denorm_mode_32 3
		.amdhsa_float_denorm_mode_16_64 3
		.amdhsa_dx10_clamp 1
		.amdhsa_ieee_mode 1
		.amdhsa_fp16_overflow 0
		.amdhsa_tg_split 0
		.amdhsa_exception_fp_ieee_invalid_op 0
		.amdhsa_exception_fp_denorm_src 0
		.amdhsa_exception_fp_ieee_div_zero 0
		.amdhsa_exception_fp_ieee_overflow 0
		.amdhsa_exception_fp_ieee_underflow 0
		.amdhsa_exception_fp_ieee_inexact 0
		.amdhsa_exception_int_div_zero 0
	.end_amdhsa_kernel
	.section	.text._ZN5aiter30swiglu_act_and_mul_bias_kernelIttafLi1EEEvPT0_PKT_PKT1_PKT2_il,"axG",@progbits,_ZN5aiter30swiglu_act_and_mul_bias_kernelIttafLi1EEEvPT0_PKT_PKT1_PKT2_il,comdat
.Lfunc_end270:
	.size	_ZN5aiter30swiglu_act_and_mul_bias_kernelIttafLi1EEEvPT0_PKT_PKT1_PKT2_il, .Lfunc_end270-_ZN5aiter30swiglu_act_and_mul_bias_kernelIttafLi1EEEvPT0_PKT_PKT1_PKT2_il
                                        ; -- End function
	.section	.AMDGPU.csdata,"",@progbits
; Kernel info:
; codeLenInByte = 788
; NumSgprs: 37
; NumVgprs: 12
; NumAgprs: 0
; TotalNumVgprs: 12
; ScratchSize: 0
; MemoryBound: 0
; FloatMode: 240
; IeeeMode: 1
; LDSByteSize: 0 bytes/workgroup (compile time only)
; SGPRBlocks: 4
; VGPRBlocks: 1
; NumSGPRsForWavesPerEU: 37
; NumVGPRsForWavesPerEU: 12
; AccumOffset: 12
; Occupancy: 8
; WaveLimiterHint : 0
; COMPUTE_PGM_RSRC2:SCRATCH_EN: 0
; COMPUTE_PGM_RSRC2:USER_SGPR: 2
; COMPUTE_PGM_RSRC2:TRAP_HANDLER: 0
; COMPUTE_PGM_RSRC2:TGID_X_EN: 1
; COMPUTE_PGM_RSRC2:TGID_Y_EN: 0
; COMPUTE_PGM_RSRC2:TGID_Z_EN: 0
; COMPUTE_PGM_RSRC2:TIDIG_COMP_CNT: 0
; COMPUTE_PGM_RSRC3_GFX90A:ACCUM_OFFSET: 2
; COMPUTE_PGM_RSRC3_GFX90A:TG_SPLIT: 0
	.section	.text._ZN5aiter30swiglu_act_and_mul_bias_kernelIftsfLi16EEEvPT0_PKT_PKT1_PKT2_il,"axG",@progbits,_ZN5aiter30swiglu_act_and_mul_bias_kernelIftsfLi16EEEvPT0_PKT_PKT1_PKT2_il,comdat
	.protected	_ZN5aiter30swiglu_act_and_mul_bias_kernelIftsfLi16EEEvPT0_PKT_PKT1_PKT2_il ; -- Begin function _ZN5aiter30swiglu_act_and_mul_bias_kernelIftsfLi16EEEvPT0_PKT_PKT1_PKT2_il
	.globl	_ZN5aiter30swiglu_act_and_mul_bias_kernelIftsfLi16EEEvPT0_PKT_PKT1_PKT2_il
	.p2align	8
	.type	_ZN5aiter30swiglu_act_and_mul_bias_kernelIftsfLi16EEEvPT0_PKT_PKT1_PKT2_il,@function
_ZN5aiter30swiglu_act_and_mul_bias_kernelIftsfLi16EEEvPT0_PKT_PKT1_PKT2_il: ; @_ZN5aiter30swiglu_act_and_mul_bias_kernelIftsfLi16EEEvPT0_PKT_PKT1_PKT2_il
; %bb.0:
	s_load_dwordx2 s[4:5], s[0:1], 0x10
	s_load_dword s58, s[0:1], 0x20
	s_load_dwordx2 s[8:9], s[0:1], 0x28
	s_mov_b32 s3, 0
	s_lshl_b64 s[6:7], s[2:3], 1
	s_waitcnt lgkmcnt(0)
	s_add_u32 s4, s4, s6
	s_addc_u32 s5, s5, s7
	v_mov_b32_e32 v1, 0
	global_load_ushort v1, v1, s[4:5]
	s_load_dwordx2 s[10:11], s[0:1], 0x0
	s_ashr_i32 s59, s58, 31
	s_mul_hi_u32 s3, s58, s2
	s_mul_i32 s5, s59, s2
	s_mul_i32 s4, s58, s2
	s_add_i32 s5, s3, s5
	v_mov_b64_e32 v[2:3], s[8:9]
	s_lshl_b64 s[8:9], s[4:5], 1
	s_mov_b64 s[6:7], -1
	v_lshlrev_b32_e32 v44, 4, v0
	s_waitcnt vmcnt(0)
	v_readfirstlane_b32 s3, v1
	s_sext_i32_i16 s4, s3
	s_ashr_i32 s5, s4, 31
	s_waitcnt lgkmcnt(0)
	s_add_u32 s60, s10, s8
	v_cmp_lt_i64_e32 vcc, s[4:5], v[2:3]
	s_addc_u32 s3, s11, s9
	s_add_i32 s5, s58, 1
	s_lshr_b32 s8, s5, 31
	s_add_i32 s5, s5, s8
	s_and_b32 s61, s3, 0xffff
	s_lshl_b32 s3, s5, 1
	s_and_b32 s62, s3, -4
	s_cmp_gt_i32 s4, -1
	s_cselect_b64 s[8:9], -1, 0
	s_and_b64 s[8:9], s[8:9], vcc
	s_and_b64 vcc, exec, s[8:9]
	s_cbranch_vccnz .LBB271_5
; %bb.1:
	v_cmp_gt_i32_e32 vcc, s58, v44
	s_and_saveexec_b64 s[6:7], vcc
	s_cbranch_execz .LBB271_4
; %bb.2:
	s_load_dword s3, s[0:1], 0x3c
	s_mov_b32 s9, 0
	s_mov_b32 s12, s9
	;; [unrolled: 1-line block ×3, first 2 shown]
	v_mov_b32_e32 v45, 0
	s_waitcnt lgkmcnt(0)
	s_and_b32 s3, s3, 0xffff
	s_mov_b32 s14, s9
	s_mov_b32 s15, s9
	v_mov_b64_e32 v[2:3], s[12:13]
	v_lshlrev_b32_e32 v1, 5, v0
	s_lshl_b32 s8, s3, 4
	s_lshl_b32 s3, s3, 5
	s_mov_b64 s[10:11], 0
	s_mov_b32 s63, 0x20000
	v_mov_b64_e32 v[4:5], s[14:15]
	v_mov_b64_e32 v[6:7], v[44:45]
.LBB271_3:                              ; =>This Inner Loop Header: Depth=1
	v_lshl_add_u64 v[6:7], s[8:9], 0, v[6:7]
	v_cmp_le_i64_e32 vcc, s[58:59], v[6:7]
	buffer_store_dwordx4 v[2:5], v1, s[60:63], 0 offen
	buffer_store_dwordx4 v[2:5], v1, s[60:63], 16 offen
	s_or_b64 s[10:11], vcc, s[10:11]
	v_add_u32_e32 v1, s3, v1
	s_andn2_b64 exec, exec, s[10:11]
	s_cbranch_execnz .LBB271_3
.LBB271_4:
	s_or_b64 exec, exec, s[6:7]
	s_mov_b64 s[6:7], 0
.LBB271_5:
	s_andn2_b64 vcc, exec, s[6:7]
	s_cbranch_vccnz .LBB271_9
; %bb.6:
	v_cmp_gt_i32_e32 vcc, s58, v44
	s_and_saveexec_b64 s[6:7], vcc
	s_cbranch_execz .LBB271_9
; %bb.7:
	s_load_dwordx2 s[6:7], s[0:1], 0x8
	s_load_dwordx2 s[8:9], s[0:1], 0x18
	s_mul_hi_i32 s5, s58, s4
	s_mul_i32 s4, s58, s4
	s_lshl_b32 s66, s58, 2
	s_lshl_b64 s[4:5], s[4:5], 3
	s_waitcnt lgkmcnt(0)
	s_add_u32 s64, s8, s4
	s_load_dword s10, s[0:1], 0x3c
	s_addc_u32 s3, s9, s5
	s_lshl_b64 s[0:1], s[58:59], 2
	s_add_u32 s68, s64, s0
	s_addc_u32 s4, s3, s1
	s_and_b32 s65, s3, 0xffff
	s_and_b32 s69, s4, 0xffff
	s_mul_i32 s3, s2, s59
	s_mul_hi_u32 s4, s2, s58
	s_add_i32 s3, s4, s3
	s_mul_i32 s2, s2, s58
	s_lshl_b64 s[2:3], s[2:3], 3
	s_add_u32 s72, s6, s2
	s_addc_u32 s2, s7, s3
	s_add_u32 s76, s72, s0
	s_addc_u32 s0, s2, s1
	s_mov_b32 s63, 0x20000
	s_and_b32 s77, s0, 0xffff
	s_waitcnt lgkmcnt(0)
	s_and_b32 s0, s10, 0xffff
	s_mov_b32 s67, s63
	s_and_b32 s73, s2, 0xffff
	s_mov_b32 s81, 0
	v_mov_b32_e32 v45, 0
	s_lshl_b32 s80, s0, 4
	v_lshlrev_b32_e32 v54, 5, v0
	s_lshl_b32 s33, s0, 5
	v_lshlrev_b32_e32 v55, 6, v0
	s_lshl_b32 s84, s0, 6
	s_mov_b64 s[82:83], 0
	s_mov_b32 s74, s66
	s_mov_b32 s75, s63
	;; [unrolled: 1-line block ×5, first 2 shown]
	v_mov_b32_e32 v56, 0x7f800000
	s_mov_b32 s88, 0xc0e00000
	v_mov_b32_e32 v57, 0x40e00000
	s_mov_b32 s89, 0x7060302
	s_mov_b32 s78, s66
	;; [unrolled: 1-line block ×3, first 2 shown]
.LBB271_8:                              ; =>This Inner Loop Header: Depth=1
	buffer_load_dwordx4 v[20:23], v55, s[72:75], 0 offen
	buffer_load_dwordx4 v[24:27], v55, s[64:67], 0 offen
	;; [unrolled: 1-line block ×12, first 2 shown]
	s_mov_b32 s70, s66
	s_mov_b32 s71, s67
	buffer_load_dwordx4 v[16:19], v55, s[68:71], 0 offen
	v_lshl_add_u64 v[44:45], s[80:81], 0, v[44:45]
	v_cmp_le_i64_e64 s[52:53], s[58:59], v[44:45]
	s_or_b64 s[82:83], s[52:53], s[82:83]
	s_waitcnt vmcnt(11)
	v_pk_add_f32 v[46:47], v[22:23], v[26:27]
	v_pk_add_f32 v[48:49], v[20:21], v[24:25]
	buffer_load_dwordx4 v[20:23], v55, s[68:71], 16 offen
	buffer_load_dwordx4 v[24:27], v55, s[68:71], 32 offen
	s_waitcnt vmcnt(9)
	v_pk_add_f32 v[42:43], v[38:39], v[42:43]
	v_pk_add_f32 v[40:41], v[36:37], v[40:41]
	buffer_load_dwordx4 v[36:39], v55, s[68:71], 48 offen
	v_pk_add_f32 v[50:51], v[60:61], v[64:65]
	s_waitcnt vmcnt(8)
	v_pk_add_f32 v[60:61], v[28:29], v[32:33]
	v_min_f32_e32 v28, 0x40e00000, v48
	v_min_f32_e32 v29, 0x40e00000, v49
	v_pk_add_f32 v[52:53], v[58:59], v[62:63]
	v_pk_add_f32 v[58:59], v[30:31], v[34:35]
	s_waitcnt vmcnt(3)
	v_pk_add_f32 v[8:9], v[8:9], v[16:17]
	v_min_f32_e32 v30, 0x40e00000, v46
	v_min_f32_e32 v31, 0x40e00000, v47
	;; [unrolled: 1-line block ×3, first 2 shown]
	v_pk_add_f32 v[10:11], v[10:11], v[18:19]
	v_min_f32_e32 v32, 0x40e00000, v52
	v_min_f32_e32 v33, 0x40e00000, v53
	;; [unrolled: 1-line block ×6, first 2 shown]
	v_mul_f32_e32 v50, 0xbfd9db23, v40
	v_min_f32_e32 v42, 0x40e00000, v42
	v_mul_f32_e32 v51, 0xbfd9db23, v41
	v_mul_f32_e32 v53, 0x3fb8aa3b, v50
	v_min_f32_e32 v46, 0x40e00000, v60
	v_mul_f32_e32 v52, 0xbfd9db23, v42
	v_mul_f32_e32 v60, 0x3fb8aa3b, v51
	v_min_f32_e32 v43, 0x40e00000, v43
	v_min_f32_e32 v47, 0x40e00000, v61
	v_cmp_ngt_f32_e64 s[24:25], s86, v50
	v_cmp_nlt_f32_e64 s[14:15], s87, v50
	v_mul_f32_e32 v61, 0x3fb8aa3b, v52
	v_cmp_ngt_f32_e64 s[26:27], s86, v51
	v_cmp_nlt_f32_e64 s[16:17], s87, v51
	v_fma_f32 v62, v52, s85, -v61
	v_cmp_ngt_f32_e64 s[28:29], s86, v52
	v_cmp_nlt_f32_e64 s[18:19], s87, v52
	v_fmac_f32_e32 v62, 0x32a5705f, v52
	v_min_f32_e32 v49, 0x40e00000, v59
	v_add_u32_e32 v55, s84, v55
	s_waitcnt vmcnt(2)
	v_pk_add_f32 v[12:13], v[12:13], v[20:21]
	s_waitcnt vmcnt(1)
	v_pk_add_f32 v[16:17], v[2:3], v[26:27]
	v_pk_add_f32 v[20:21], v[0:1], v[24:25]
	v_mul_f32_e32 v24, 0xbfd9db23, v28
	v_mul_f32_e32 v25, 0xbfd9db23, v29
	v_med3_f32 v2, v8, s88, v57
	v_med3_f32 v8, v16, s88, v57
	v_mul_f32_e32 v16, 0x3fb8aa3b, v24
	s_waitcnt vmcnt(0)
	v_pk_add_f32 v[18:19], v[6:7], v[38:39]
	v_mul_f32_e32 v26, 0xbfd9db23, v30
	v_med3_f32 v3, v9, s88, v57
	v_med3_f32 v9, v17, s88, v57
	v_mul_f32_e32 v17, 0x3fb8aa3b, v25
	v_fma_f32 v58, v24, s85, -v16
	v_mul_f32_e32 v27, 0xbfd9db23, v31
	v_med3_f32 v6, v12, s88, v57
	v_med3_f32 v12, v18, s88, v57
	v_cmp_ngt_f32_e64 s[42:43], s86, v24
	v_cmp_nlt_f32_e32 vcc, s87, v24
	v_mul_f32_e32 v18, 0x3fb8aa3b, v26
	v_fmac_f32_e32 v58, 0x32a5705f, v24
	v_fma_f32 v24, v25, s85, -v17
	v_pk_add_f32 v[14:15], v[14:15], v[22:23]
	v_pk_add_f32 v[22:23], v[4:5], v[36:37]
	v_mul_f32_e32 v36, 0xbfd9db23, v32
	v_med3_f32 v7, v13, s88, v57
	v_med3_f32 v13, v19, s88, v57
	v_cmp_ngt_f32_e64 s[44:45], s86, v25
	v_cmp_nlt_f32_e64 s[0:1], s87, v25
	v_mul_f32_e32 v19, 0x3fb8aa3b, v27
	v_fmac_f32_e32 v24, 0x32a5705f, v25
	v_fma_f32 v25, v26, s85, -v18
	v_mul_f32_e32 v37, 0xbfd9db23, v33
	v_med3_f32 v0, v10, s88, v57
	v_med3_f32 v10, v20, s88, v57
	v_cmp_ngt_f32_e64 s[46:47], s86, v26
	v_cmp_nlt_f32_e64 s[2:3], s87, v26
	v_mul_f32_e32 v20, 0x3fb8aa3b, v36
	v_fmac_f32_e32 v25, 0x32a5705f, v26
	v_fma_f32 v26, v27, s85, -v19
	;; [unrolled: 8-line block ×4, first 2 shown]
	v_med3_f32 v5, v15, s88, v57
	v_med3_f32 v15, v23, s88, v57
	v_cmp_ngt_f32_e64 s[40:41], s86, v37
	v_cmp_nlt_f32_e64 s[8:9], s87, v37
	v_mul_f32_e32 v23, 0x3fb8aa3b, v39
	v_fmac_f32_e32 v36, 0x32a5705f, v37
	v_fma_f32 v37, v38, s85, -v22
	v_rndne_f32_e32 v66, v16
	v_cmp_ngt_f32_e64 s[20:21], s86, v38
	v_cmp_nlt_f32_e64 s[10:11], s87, v38
	v_fmac_f32_e32 v37, 0x32a5705f, v38
	v_fma_f32 v38, v39, s85, -v23
	v_sub_f32_e32 v16, v16, v66
	v_rndne_f32_e32 v68, v17
	v_cmp_ngt_f32_e64 s[22:23], s86, v39
	v_cmp_nlt_f32_e64 s[12:13], s87, v39
	v_fmac_f32_e32 v38, 0x32a5705f, v39
	v_fma_f32 v39, v50, s85, -v53
	v_add_f32_e32 v67, v16, v58
	v_sub_f32_e32 v16, v17, v68
	v_rndne_f32_e32 v70, v18
	v_fmac_f32_e32 v39, 0x32a5705f, v50
	v_fma_f32 v50, v51, s85, -v60
	v_add_f32_e32 v69, v16, v24
	v_sub_f32_e32 v16, v18, v70
	v_rndne_f32_e32 v72, v19
	v_fmac_f32_e32 v50, 0x32a5705f, v51
	v_mul_f32_e32 v51, 0xbfd9db23, v43
	v_add_f32_e32 v71, v16, v25
	v_sub_f32_e32 v16, v19, v72
	v_rndne_f32_e32 v74, v20
	v_mul_f32_e32 v52, 0x3fb8aa3b, v51
	v_add_f32_e32 v73, v16, v26
	v_sub_f32_e32 v16, v20, v74
	v_rndne_f32_e32 v58, v21
	v_fma_f32 v63, v51, s85, -v52
	v_add_f32_e32 v75, v16, v27
	v_sub_f32_e32 v16, v21, v58
	v_cmp_ngt_f32_e64 s[36:37], s86, v51
	v_cmp_nlt_f32_e64 s[30:31], s87, v51
	v_fmac_f32_e32 v63, 0x32a5705f, v51
	v_mul_f32_e32 v51, 0xbfd9db23, v46
	v_add_f32_e32 v59, v16, v36
	v_rndne_f32_e32 v16, v22
	v_mul_f32_e32 v64, 0x3fb8aa3b, v51
	v_sub_f32_e32 v17, v22, v16
	v_rndne_f32_e32 v18, v23
	v_fma_f32 v65, v51, s85, -v64
	v_add_f32_e32 v19, v17, v37
	v_sub_f32_e32 v17, v23, v18
	v_cmp_ngt_f32_e64 s[38:39], s86, v51
	v_cmp_nlt_f32_e64 s[34:35], s87, v51
	v_fmac_f32_e32 v65, 0x32a5705f, v51
	v_add_f32_e32 v51, v17, v38
	v_rndne_f32_e32 v17, v53
	v_sub_f32_e32 v20, v53, v17
	v_rndne_f32_e32 v23, v60
	v_add_f32_e32 v39, v20, v39
	v_sub_f32_e32 v20, v60, v23
	v_mul_f32_e32 v60, 0xbfd9db23, v47
	v_mul_f32_e32 v27, 0x3fb8aa3b, v60
	v_rndne_f32_e32 v25, v61
	v_fma_f32 v37, v60, s85, -v27
	v_rndne_f32_e32 v38, v27
	v_sub_f32_e32 v21, v61, v25
	v_fmac_f32_e32 v37, 0x32a5705f, v60
	v_sub_f32_e32 v27, v27, v38
	v_mul_f32_e32 v61, 0xbfd9db23, v48
	v_rndne_f32_e32 v26, v52
	v_add_f32_e32 v27, v27, v37
	v_mul_f32_e32 v37, 0x3fb8aa3b, v61
	v_add_f32_e32 v20, v20, v50
	v_sub_f32_e32 v22, v52, v26
	v_fma_f32 v50, v61, s85, -v37
	v_rndne_f32_e32 v52, v37
	v_add_f32_e32 v21, v21, v62
	v_fmac_f32_e32 v50, 0x32a5705f, v61
	v_sub_f32_e32 v37, v37, v52
	v_mul_f32_e32 v62, 0xbfd9db23, v49
	v_add_f32_e32 v37, v37, v50
	v_mul_f32_e32 v50, 0x3fb8aa3b, v62
	v_add_f32_e32 v22, v22, v63
	v_fma_f32 v63, v62, s85, -v50
	v_rndne_f32_e32 v53, v50
	v_rndne_f32_e32 v36, v64
	v_fmac_f32_e32 v63, 0x32a5705f, v62
	v_sub_f32_e32 v50, v50, v53
	v_sub_f32_e32 v24, v64, v36
	v_add_f32_e32 v50, v50, v63
	v_cvt_i32_f32_e32 v63, v66
	v_exp_f32_e32 v64, v67
	v_add_f32_e32 v24, v24, v65
	v_exp_f32_e32 v65, v69
	v_cvt_i32_f32_e32 v58, v58
	v_ldexp_f32 v63, v64, v63
	v_cvt_i32_f32_e32 v64, v68
	v_exp_f32_e32 v59, v59
	v_cvt_i32_f32_e32 v16, v16
	v_exp_f32_e32 v19, v19
	v_ldexp_f32 v64, v65, v64
	v_cvt_i32_f32_e32 v65, v70
	v_exp_f32_e32 v66, v71
	v_ldexp_f32 v58, v59, v58
	v_ldexp_f32 v59, v19, v16
	v_cvt_i32_f32_e32 v16, v18
	v_exp_f32_e32 v18, v51
	v_ldexp_f32 v65, v66, v65
	v_cvt_i32_f32_e32 v66, v72
	v_exp_f32_e32 v67, v73
	v_cndmask_b32_e64 v51, 0, v58, s[40:41]
	v_ldexp_f32 v58, v18, v16
	v_cvt_i32_f32_e32 v16, v17
	v_exp_f32_e32 v17, v39
	v_ldexp_f32 v66, v67, v66
	v_cvt_i32_f32_e32 v67, v74
	v_exp_f32_e32 v68, v75
	v_ldexp_f32 v39, v17, v16
	v_pk_add_f32 v[16:17], v[0:1], 1.0 op_sel_hi:[1,0]
	v_pk_add_f32 v[0:1], v[6:7], 1.0 op_sel_hi:[1,0]
	;; [unrolled: 1-line block ×5, first 2 shown]
	v_cvt_i32_f32_e32 v12, v23
	v_cvt_i32_f32_e32 v13, v25
	;; [unrolled: 1-line block ×7, first 2 shown]
	v_exp_f32_e32 v20, v20
	v_exp_f32_e32 v21, v21
	;; [unrolled: 1-line block ×7, first 2 shown]
	v_ldexp_f32 v67, v68, v67
	v_cmp_ngt_f32_e64 s[52:53], s86, v60
	v_cmp_nlt_f32_e64 s[54:55], s87, v60
	v_cndmask_b32_e64 v60, 0, v63, s[42:43]
	v_cmp_ngt_f32_e64 s[56:57], s86, v61
	v_cndmask_b32_e64 v63, 0, v64, s[44:45]
	v_cmp_nlt_f32_e64 s[42:43], s87, v61
	v_cndmask_b32_e64 v61, 0, v65, s[46:47]
	v_cmp_ngt_f32_e64 s[46:47], s86, v62
	v_cndmask_b32_e64 v64, 0, v66, s[48:49]
	v_cmp_nlt_f32_e64 s[44:45], s87, v62
	v_cndmask_b32_e64 v62, 0, v67, s[50:51]
	v_ldexp_f32 v12, v20, v12
	v_ldexp_f32 v13, v21, v13
	v_ldexp_f32 v14, v22, v14
	v_ldexp_f32 v15, v24, v15
	v_ldexp_f32 v20, v27, v23
	v_ldexp_f32 v21, v36, v25
	v_ldexp_f32 v22, v37, v26
	v_cndmask_b32_e64 v23, 0, v59, s[20:21]
	v_cndmask_b32_e64 v24, 0, v58, s[22:23]
	;; [unrolled: 1-line block ×10, first 2 shown]
	v_cndmask_b32_e32 v26, v56, v60, vcc
	v_cndmask_b32_e64 v27, v56, v63, s[0:1]
	v_cndmask_b32_e64 v36, v56, v61, s[2:3]
	;; [unrolled: 1-line block ×15, first 2 shown]
	v_add_f32_e32 v26, 1.0, v26
	v_add_f32_e32 v27, 1.0, v27
	;; [unrolled: 1-line block ×16, first 2 shown]
	v_rcp_f32_e32 v12, v26
	v_rcp_f32_e32 v13, v27
	;; [unrolled: 1-line block ×16, first 2 shown]
	v_pk_add_f32 v[4:5], v[4:5], 1.0 op_sel_hi:[1,0]
	v_pk_mul_f32 v[12:13], v[28:29], v[12:13]
	v_pk_mul_f32 v[14:15], v[30:31], v[14:15]
	;; [unrolled: 1-line block ×4, first 2 shown]
	v_pk_add_f32 v[8:9], v[8:9], 1.0 op_sel_hi:[1,0]
	v_pk_add_f32 v[10:11], v[10:11], 1.0 op_sel_hi:[1,0]
	v_pk_mul_f32 v[24:25], v[40:41], v[24:25]
	v_pk_mul_f32 v[26:27], v[42:43], v[26:27]
	;; [unrolled: 1-line block ×12, first 2 shown]
	v_perm_b32 v3, v5, v4, s89
	v_perm_b32 v1, v15, v14, s89
	v_perm_b32 v2, v17, v16, s89
	v_perm_b32 v0, v13, v12, s89
	v_perm_b32 v7, v19, v18, s89
	v_perm_b32 v5, v9, v8, s89
	v_perm_b32 v6, v21, v20, s89
	v_perm_b32 v4, v11, v10, s89
	buffer_store_dwordx4 v[0:3], v54, s[60:63], 0 offen
	buffer_store_dwordx4 v[4:7], v54, s[60:63], 16 offen
	v_add_u32_e32 v54, s33, v54
	s_andn2_b64 exec, exec, s[82:83]
	s_cbranch_execnz .LBB271_8
.LBB271_9:
	s_endpgm
	.section	.rodata,"a",@progbits
	.p2align	6, 0x0
	.amdhsa_kernel _ZN5aiter30swiglu_act_and_mul_bias_kernelIftsfLi16EEEvPT0_PKT_PKT1_PKT2_il
		.amdhsa_group_segment_fixed_size 0
		.amdhsa_private_segment_fixed_size 0
		.amdhsa_kernarg_size 304
		.amdhsa_user_sgpr_count 2
		.amdhsa_user_sgpr_dispatch_ptr 0
		.amdhsa_user_sgpr_queue_ptr 0
		.amdhsa_user_sgpr_kernarg_segment_ptr 1
		.amdhsa_user_sgpr_dispatch_id 0
		.amdhsa_user_sgpr_kernarg_preload_length 0
		.amdhsa_user_sgpr_kernarg_preload_offset 0
		.amdhsa_user_sgpr_private_segment_size 0
		.amdhsa_uses_dynamic_stack 0
		.amdhsa_enable_private_segment 0
		.amdhsa_system_sgpr_workgroup_id_x 1
		.amdhsa_system_sgpr_workgroup_id_y 0
		.amdhsa_system_sgpr_workgroup_id_z 0
		.amdhsa_system_sgpr_workgroup_info 0
		.amdhsa_system_vgpr_workitem_id 0
		.amdhsa_next_free_vgpr 76
		.amdhsa_next_free_sgpr 90
		.amdhsa_accum_offset 76
		.amdhsa_reserve_vcc 1
		.amdhsa_float_round_mode_32 0
		.amdhsa_float_round_mode_16_64 0
		.amdhsa_float_denorm_mode_32 3
		.amdhsa_float_denorm_mode_16_64 3
		.amdhsa_dx10_clamp 1
		.amdhsa_ieee_mode 1
		.amdhsa_fp16_overflow 0
		.amdhsa_tg_split 0
		.amdhsa_exception_fp_ieee_invalid_op 0
		.amdhsa_exception_fp_denorm_src 0
		.amdhsa_exception_fp_ieee_div_zero 0
		.amdhsa_exception_fp_ieee_overflow 0
		.amdhsa_exception_fp_ieee_underflow 0
		.amdhsa_exception_fp_ieee_inexact 0
		.amdhsa_exception_int_div_zero 0
	.end_amdhsa_kernel
	.section	.text._ZN5aiter30swiglu_act_and_mul_bias_kernelIftsfLi16EEEvPT0_PKT_PKT1_PKT2_il,"axG",@progbits,_ZN5aiter30swiglu_act_and_mul_bias_kernelIftsfLi16EEEvPT0_PKT_PKT1_PKT2_il,comdat
.Lfunc_end271:
	.size	_ZN5aiter30swiglu_act_and_mul_bias_kernelIftsfLi16EEEvPT0_PKT_PKT1_PKT2_il, .Lfunc_end271-_ZN5aiter30swiglu_act_and_mul_bias_kernelIftsfLi16EEEvPT0_PKT_PKT1_PKT2_il
                                        ; -- End function
	.section	.AMDGPU.csdata,"",@progbits
; Kernel info:
; codeLenInByte = 3056
; NumSgprs: 96
; NumVgprs: 76
; NumAgprs: 0
; TotalNumVgprs: 76
; ScratchSize: 0
; MemoryBound: 0
; FloatMode: 240
; IeeeMode: 1
; LDSByteSize: 0 bytes/workgroup (compile time only)
; SGPRBlocks: 11
; VGPRBlocks: 9
; NumSGPRsForWavesPerEU: 96
; NumVGPRsForWavesPerEU: 76
; AccumOffset: 76
; Occupancy: 6
; WaveLimiterHint : 0
; COMPUTE_PGM_RSRC2:SCRATCH_EN: 0
; COMPUTE_PGM_RSRC2:USER_SGPR: 2
; COMPUTE_PGM_RSRC2:TRAP_HANDLER: 0
; COMPUTE_PGM_RSRC2:TGID_X_EN: 1
; COMPUTE_PGM_RSRC2:TGID_Y_EN: 0
; COMPUTE_PGM_RSRC2:TGID_Z_EN: 0
; COMPUTE_PGM_RSRC2:TIDIG_COMP_CNT: 0
; COMPUTE_PGM_RSRC3_GFX90A:ACCUM_OFFSET: 18
; COMPUTE_PGM_RSRC3_GFX90A:TG_SPLIT: 0
	.section	.text._ZN5aiter30swiglu_act_and_mul_bias_kernelIftsfLi8EEEvPT0_PKT_PKT1_PKT2_il,"axG",@progbits,_ZN5aiter30swiglu_act_and_mul_bias_kernelIftsfLi8EEEvPT0_PKT_PKT1_PKT2_il,comdat
	.protected	_ZN5aiter30swiglu_act_and_mul_bias_kernelIftsfLi8EEEvPT0_PKT_PKT1_PKT2_il ; -- Begin function _ZN5aiter30swiglu_act_and_mul_bias_kernelIftsfLi8EEEvPT0_PKT_PKT1_PKT2_il
	.globl	_ZN5aiter30swiglu_act_and_mul_bias_kernelIftsfLi8EEEvPT0_PKT_PKT1_PKT2_il
	.p2align	8
	.type	_ZN5aiter30swiglu_act_and_mul_bias_kernelIftsfLi8EEEvPT0_PKT_PKT1_PKT2_il,@function
_ZN5aiter30swiglu_act_and_mul_bias_kernelIftsfLi8EEEvPT0_PKT_PKT1_PKT2_il: ; @_ZN5aiter30swiglu_act_and_mul_bias_kernelIftsfLi8EEEvPT0_PKT_PKT1_PKT2_il
; %bb.0:
	s_load_dwordx2 s[4:5], s[0:1], 0x10
	s_load_dword s14, s[0:1], 0x20
	s_load_dwordx2 s[8:9], s[0:1], 0x28
	s_mov_b32 s3, 0
	s_lshl_b64 s[6:7], s[2:3], 1
	s_waitcnt lgkmcnt(0)
	s_add_u32 s4, s4, s6
	s_addc_u32 s5, s5, s7
	v_mov_b32_e32 v1, 0
	global_load_ushort v1, v1, s[4:5]
	s_load_dwordx2 s[10:11], s[0:1], 0x0
	s_ashr_i32 s15, s14, 31
	s_mul_hi_u32 s3, s14, s2
	s_mul_i32 s5, s15, s2
	s_mul_i32 s4, s14, s2
	s_add_i32 s5, s3, s5
	v_mov_b64_e32 v[2:3], s[8:9]
	s_lshl_b64 s[8:9], s[4:5], 1
	s_mov_b64 s[6:7], -1
	v_lshlrev_b32_e32 v24, 3, v0
	s_waitcnt vmcnt(0)
	v_readfirstlane_b32 s3, v1
	s_sext_i32_i16 s4, s3
	s_ashr_i32 s5, s4, 31
	s_waitcnt lgkmcnt(0)
	s_add_u32 s16, s10, s8
	v_cmp_lt_i64_e32 vcc, s[4:5], v[2:3]
	s_addc_u32 s3, s11, s9
	s_add_i32 s5, s14, 1
	s_lshr_b32 s8, s5, 31
	s_add_i32 s5, s5, s8
	s_and_b32 s17, s3, 0xffff
	s_lshl_b32 s3, s5, 1
	s_and_b32 s18, s3, -4
	s_cmp_gt_i32 s4, -1
	s_cselect_b64 s[8:9], -1, 0
	s_and_b64 s[8:9], s[8:9], vcc
	s_and_b64 vcc, exec, s[8:9]
	s_cbranch_vccnz .LBB272_5
; %bb.1:
	v_cmp_gt_i32_e32 vcc, s14, v24
	s_and_saveexec_b64 s[6:7], vcc
	s_cbranch_execz .LBB272_4
; %bb.2:
	s_load_dword s3, s[0:1], 0x3c
	v_mov_b32_e32 v25, 0
	s_mov_b32 s9, 0
	v_lshlrev_b32_e32 v1, 4, v0
	s_mov_b64 s[10:11], 0
	s_waitcnt lgkmcnt(0)
	s_and_b32 s3, s3, 0xffff
	s_lshl_b32 s8, s3, 3
	s_lshl_b32 s3, s3, 4
	s_mov_b32 s19, 0x20000
	v_mov_b32_e32 v2, v25
	v_mov_b32_e32 v3, v25
	;; [unrolled: 1-line block ×4, first 2 shown]
	v_mov_b64_e32 v[6:7], v[24:25]
.LBB272_3:                              ; =>This Inner Loop Header: Depth=1
	v_lshl_add_u64 v[6:7], s[8:9], 0, v[6:7]
	v_cmp_le_i64_e32 vcc, s[14:15], v[6:7]
	buffer_store_dwordx4 v[2:5], v1, s[16:19], 0 offen
	s_or_b64 s[10:11], vcc, s[10:11]
	v_add_u32_e32 v1, s3, v1
	s_andn2_b64 exec, exec, s[10:11]
	s_cbranch_execnz .LBB272_3
.LBB272_4:
	s_or_b64 exec, exec, s[6:7]
	s_mov_b64 s[6:7], 0
.LBB272_5:
	s_andn2_b64 vcc, exec, s[6:7]
	s_cbranch_vccnz .LBB272_9
; %bb.6:
	v_cmp_gt_i32_e32 vcc, s14, v24
	s_and_saveexec_b64 s[6:7], vcc
	s_cbranch_execz .LBB272_9
; %bb.7:
	s_load_dwordx2 s[6:7], s[0:1], 0x8
	s_load_dwordx2 s[8:9], s[0:1], 0x18
	s_mul_hi_i32 s5, s14, s4
	s_mul_i32 s4, s14, s4
	s_lshl_b32 s22, s14, 2
	s_lshl_b64 s[4:5], s[4:5], 3
	s_waitcnt lgkmcnt(0)
	s_add_u32 s20, s8, s4
	s_load_dword s10, s[0:1], 0x3c
	s_addc_u32 s3, s9, s5
	s_lshl_b64 s[0:1], s[14:15], 2
	s_add_u32 s24, s20, s0
	s_addc_u32 s4, s3, s1
	s_and_b32 s21, s3, 0xffff
	s_and_b32 s25, s4, 0xffff
	s_mul_i32 s3, s2, s15
	s_mul_hi_u32 s4, s2, s14
	s_add_i32 s3, s4, s3
	s_mul_i32 s2, s2, s14
	s_lshl_b64 s[2:3], s[2:3], 3
	s_add_u32 s28, s6, s2
	s_addc_u32 s2, s7, s3
	s_add_u32 s36, s28, s0
	s_addc_u32 s0, s2, s1
	s_mov_b32 s19, 0x20000
	s_and_b32 s37, s0, 0xffff
	s_waitcnt lgkmcnt(0)
	s_and_b32 s0, s10, 0xffff
	s_mov_b32 s23, s19
	s_and_b32 s29, s2, 0xffff
	s_mov_b32 s35, 0
	v_mov_b32_e32 v25, 0
	s_lshl_b32 s34, s0, 3
	v_lshlrev_b32_e32 v26, 4, v0
	s_lshl_b32 s33, s0, 4
	v_lshlrev_b32_e32 v27, 5, v0
	s_lshl_b32 s42, s0, 5
	s_mov_b64 s[40:41], 0
	s_mov_b32 s30, s22
	s_mov_b32 s31, s19
	;; [unrolled: 1-line block ×5, first 2 shown]
	v_mov_b32_e32 v28, 0x7f800000
	s_mov_b32 s46, 0xc0e00000
	v_mov_b32_e32 v29, 0x40e00000
	s_mov_b32 s47, 0x7060302
	s_mov_b32 s38, s22
	s_mov_b32 s39, s19
.LBB272_8:                              ; =>This Inner Loop Header: Depth=1
	buffer_load_dwordx4 v[12:15], v27, s[20:23], 0 offen
	buffer_load_dwordx4 v[16:19], v27, s[28:31], 0 offen
	;; [unrolled: 1-line block ×6, first 2 shown]
	s_mov_b32 s26, s22
	s_mov_b32 s27, s23
	buffer_load_dwordx4 v[30:33], v27, s[24:27], 0 offen
	buffer_load_dwordx4 v[34:37], v27, s[24:27], 16 offen
	v_lshl_add_u64 v[24:25], s[34:35], 0, v[24:25]
	v_cmp_le_i64_e32 vcc, s[14:15], v[24:25]
	s_or_b64 s[40:41], vcc, s[40:41]
	v_add_u32_e32 v27, s42, v27
	s_waitcnt vmcnt(6)
	v_pk_add_f32 v[14:15], v[18:19], v[14:15]
	v_pk_add_f32 v[12:13], v[16:17], v[12:13]
	s_waitcnt vmcnt(4)
	v_pk_add_f32 v[16:17], v[10:11], v[22:23]
	v_pk_add_f32 v[18:19], v[8:9], v[20:21]
	v_min_f32_e32 v9, 0x40e00000, v13
	v_min_f32_e32 v8, 0x40e00000, v12
	;; [unrolled: 1-line block ×8, first 2 shown]
	v_mul_f32_e32 v16, 0xbfd9db23, v8
	v_mul_f32_e32 v17, 0xbfd9db23, v9
	v_mul_f32_e32 v18, 0xbfd9db23, v10
	v_mul_f32_e32 v19, 0xbfd9db23, v11
	v_mul_f32_e32 v20, 0xbfd9db23, v12
	v_mul_f32_e32 v21, 0xbfd9db23, v13
	v_mul_f32_e32 v22, 0xbfd9db23, v14
	v_mul_f32_e32 v23, 0xbfd9db23, v15
	s_waitcnt vmcnt(1)
	v_pk_add_f32 v[2:3], v[2:3], v[32:33]
	s_waitcnt vmcnt(0)
	v_pk_add_f32 v[6:7], v[6:7], v[36:37]
	v_pk_add_f32 v[0:1], v[0:1], v[30:31]
	;; [unrolled: 1-line block ×3, first 2 shown]
	v_mul_f32_e32 v30, 0x3fb8aa3b, v16
	v_mul_f32_e32 v31, 0x3fb8aa3b, v17
	;; [unrolled: 1-line block ×8, first 2 shown]
	v_fma_f32 v38, v16, s43, -v30
	v_rndne_f32_e32 v39, v30
	v_fma_f32 v40, v17, s43, -v31
	v_rndne_f32_e32 v41, v31
	;; [unrolled: 2-line block ×8, first 2 shown]
	v_fmac_f32_e32 v38, 0x32a5705f, v16
	v_sub_f32_e32 v30, v30, v39
	v_fmac_f32_e32 v40, 0x32a5705f, v17
	v_sub_f32_e32 v31, v31, v41
	v_fmac_f32_e32 v42, 0x32a5705f, v18
	v_sub_f32_e32 v32, v32, v43
	v_fmac_f32_e32 v44, 0x32a5705f, v19
	v_sub_f32_e32 v33, v33, v45
	v_fmac_f32_e32 v46, 0x32a5705f, v20
	v_sub_f32_e32 v34, v34, v47
	v_fmac_f32_e32 v48, 0x32a5705f, v21
	v_sub_f32_e32 v35, v35, v49
	v_fmac_f32_e32 v50, 0x32a5705f, v22
	v_sub_f32_e32 v36, v36, v51
	v_fmac_f32_e32 v52, 0x32a5705f, v23
	v_sub_f32_e32 v37, v37, v53
	v_add_f32_e32 v30, v30, v38
	v_add_f32_e32 v31, v31, v40
	;; [unrolled: 1-line block ×8, first 2 shown]
	v_cvt_i32_f32_e32 v39, v39
	v_cvt_i32_f32_e32 v41, v41
	;; [unrolled: 1-line block ×8, first 2 shown]
	v_exp_f32_e32 v30, v30
	v_exp_f32_e32 v31, v31
	;; [unrolled: 1-line block ×8, first 2 shown]
	v_ldexp_f32 v30, v30, v39
	v_ldexp_f32 v31, v31, v41
	v_cmp_ngt_f32_e32 vcc, s44, v17
	v_ldexp_f32 v32, v32, v43
	v_cmp_ngt_f32_e64 s[0:1], s44, v18
	v_ldexp_f32 v33, v33, v45
	v_cmp_ngt_f32_e64 s[2:3], s44, v19
	;; [unrolled: 2-line block ×6, first 2 shown]
	v_cmp_ngt_f32_e64 s[12:13], s44, v16
	v_cndmask_b32_e32 v31, 0, v31, vcc
	v_cmp_nlt_f32_e32 vcc, s45, v17
	v_cndmask_b32_e64 v30, 0, v30, s[12:13]
	v_cndmask_b32_e64 v17, 0, v32, s[0:1]
	v_cmp_nlt_f32_e64 s[0:1], s45, v18
	v_cndmask_b32_e64 v18, 0, v33, s[2:3]
	v_cmp_nlt_f32_e64 s[2:3], s45, v19
	;; [unrolled: 2-line block ×6, first 2 shown]
	v_cmp_nlt_f32_e64 s[12:13], s45, v16
	v_cndmask_b32_e32 v23, v28, v31, vcc
	v_cndmask_b32_e64 v17, v28, v17, s[0:1]
	v_cndmask_b32_e64 v16, v28, v30, s[12:13]
	;; [unrolled: 1-line block ×7, first 2 shown]
	v_add_f32_e32 v16, 1.0, v16
	v_add_f32_e32 v23, 1.0, v23
	v_add_f32_e32 v30, 1.0, v17
	v_add_f32_e32 v31, 1.0, v18
	v_add_f32_e32 v32, 1.0, v19
	v_add_f32_e32 v33, 1.0, v20
	v_add_f32_e32 v34, 1.0, v21
	v_add_f32_e32 v35, 1.0, v22
	v_rcp_f32_e32 v16, v16
	v_rcp_f32_e32 v17, v23
	;; [unrolled: 1-line block ×8, first 2 shown]
	v_med3_f32 v3, v3, s46, v29
	v_med3_f32 v2, v2, s46, v29
	v_med3_f32 v7, v7, s46, v29
	v_med3_f32 v6, v6, s46, v29
	v_med3_f32 v1, v1, s46, v29
	v_med3_f32 v0, v0, s46, v29
	v_med3_f32 v5, v5, s46, v29
	v_med3_f32 v4, v4, s46, v29
	v_pk_add_f32 v[6:7], v[6:7], 1.0 op_sel_hi:[1,0]
	v_pk_add_f32 v[2:3], v[2:3], 1.0 op_sel_hi:[1,0]
	;; [unrolled: 1-line block ×4, first 2 shown]
	v_pk_mul_f32 v[8:9], v[8:9], v[16:17]
	v_pk_mul_f32 v[10:11], v[10:11], v[18:19]
	;; [unrolled: 1-line block ×8, first 2 shown]
	v_perm_b32 v3, v3, v2, s47
	v_perm_b32 v1, v11, v10, s47
	v_perm_b32 v2, v5, v4, s47
	v_perm_b32 v0, v7, v6, s47
	buffer_store_dwordx4 v[0:3], v26, s[16:19], 0 offen
	v_add_u32_e32 v26, s33, v26
	s_andn2_b64 exec, exec, s[40:41]
	s_cbranch_execnz .LBB272_8
.LBB272_9:
	s_endpgm
	.section	.rodata,"a",@progbits
	.p2align	6, 0x0
	.amdhsa_kernel _ZN5aiter30swiglu_act_and_mul_bias_kernelIftsfLi8EEEvPT0_PKT_PKT1_PKT2_il
		.amdhsa_group_segment_fixed_size 0
		.amdhsa_private_segment_fixed_size 0
		.amdhsa_kernarg_size 304
		.amdhsa_user_sgpr_count 2
		.amdhsa_user_sgpr_dispatch_ptr 0
		.amdhsa_user_sgpr_queue_ptr 0
		.amdhsa_user_sgpr_kernarg_segment_ptr 1
		.amdhsa_user_sgpr_dispatch_id 0
		.amdhsa_user_sgpr_kernarg_preload_length 0
		.amdhsa_user_sgpr_kernarg_preload_offset 0
		.amdhsa_user_sgpr_private_segment_size 0
		.amdhsa_uses_dynamic_stack 0
		.amdhsa_enable_private_segment 0
		.amdhsa_system_sgpr_workgroup_id_x 1
		.amdhsa_system_sgpr_workgroup_id_y 0
		.amdhsa_system_sgpr_workgroup_id_z 0
		.amdhsa_system_sgpr_workgroup_info 0
		.amdhsa_system_vgpr_workitem_id 0
		.amdhsa_next_free_vgpr 54
		.amdhsa_next_free_sgpr 48
		.amdhsa_accum_offset 56
		.amdhsa_reserve_vcc 1
		.amdhsa_float_round_mode_32 0
		.amdhsa_float_round_mode_16_64 0
		.amdhsa_float_denorm_mode_32 3
		.amdhsa_float_denorm_mode_16_64 3
		.amdhsa_dx10_clamp 1
		.amdhsa_ieee_mode 1
		.amdhsa_fp16_overflow 0
		.amdhsa_tg_split 0
		.amdhsa_exception_fp_ieee_invalid_op 0
		.amdhsa_exception_fp_denorm_src 0
		.amdhsa_exception_fp_ieee_div_zero 0
		.amdhsa_exception_fp_ieee_overflow 0
		.amdhsa_exception_fp_ieee_underflow 0
		.amdhsa_exception_fp_ieee_inexact 0
		.amdhsa_exception_int_div_zero 0
	.end_amdhsa_kernel
	.section	.text._ZN5aiter30swiglu_act_and_mul_bias_kernelIftsfLi8EEEvPT0_PKT_PKT1_PKT2_il,"axG",@progbits,_ZN5aiter30swiglu_act_and_mul_bias_kernelIftsfLi8EEEvPT0_PKT_PKT1_PKT2_il,comdat
.Lfunc_end272:
	.size	_ZN5aiter30swiglu_act_and_mul_bias_kernelIftsfLi8EEEvPT0_PKT_PKT1_PKT2_il, .Lfunc_end272-_ZN5aiter30swiglu_act_and_mul_bias_kernelIftsfLi8EEEvPT0_PKT_PKT1_PKT2_il
                                        ; -- End function
	.section	.AMDGPU.csdata,"",@progbits
; Kernel info:
; codeLenInByte = 1824
; NumSgprs: 54
; NumVgprs: 54
; NumAgprs: 0
; TotalNumVgprs: 54
; ScratchSize: 0
; MemoryBound: 0
; FloatMode: 240
; IeeeMode: 1
; LDSByteSize: 0 bytes/workgroup (compile time only)
; SGPRBlocks: 6
; VGPRBlocks: 6
; NumSGPRsForWavesPerEU: 54
; NumVGPRsForWavesPerEU: 54
; AccumOffset: 56
; Occupancy: 8
; WaveLimiterHint : 0
; COMPUTE_PGM_RSRC2:SCRATCH_EN: 0
; COMPUTE_PGM_RSRC2:USER_SGPR: 2
; COMPUTE_PGM_RSRC2:TRAP_HANDLER: 0
; COMPUTE_PGM_RSRC2:TGID_X_EN: 1
; COMPUTE_PGM_RSRC2:TGID_Y_EN: 0
; COMPUTE_PGM_RSRC2:TGID_Z_EN: 0
; COMPUTE_PGM_RSRC2:TIDIG_COMP_CNT: 0
; COMPUTE_PGM_RSRC3_GFX90A:ACCUM_OFFSET: 13
; COMPUTE_PGM_RSRC3_GFX90A:TG_SPLIT: 0
	.section	.text._ZN5aiter30swiglu_act_and_mul_bias_kernelIftsfLi4EEEvPT0_PKT_PKT1_PKT2_il,"axG",@progbits,_ZN5aiter30swiglu_act_and_mul_bias_kernelIftsfLi4EEEvPT0_PKT_PKT1_PKT2_il,comdat
	.protected	_ZN5aiter30swiglu_act_and_mul_bias_kernelIftsfLi4EEEvPT0_PKT_PKT1_PKT2_il ; -- Begin function _ZN5aiter30swiglu_act_and_mul_bias_kernelIftsfLi4EEEvPT0_PKT_PKT1_PKT2_il
	.globl	_ZN5aiter30swiglu_act_and_mul_bias_kernelIftsfLi4EEEvPT0_PKT_PKT1_PKT2_il
	.p2align	8
	.type	_ZN5aiter30swiglu_act_and_mul_bias_kernelIftsfLi4EEEvPT0_PKT_PKT1_PKT2_il,@function
_ZN5aiter30swiglu_act_and_mul_bias_kernelIftsfLi4EEEvPT0_PKT_PKT1_PKT2_il: ; @_ZN5aiter30swiglu_act_and_mul_bias_kernelIftsfLi4EEEvPT0_PKT_PKT1_PKT2_il
; %bb.0:
	s_load_dwordx2 s[4:5], s[0:1], 0x10
	s_load_dword s6, s[0:1], 0x20
	s_load_dwordx2 s[8:9], s[0:1], 0x28
	s_mov_b32 s3, 0
	s_lshl_b64 s[10:11], s[2:3], 1
	s_waitcnt lgkmcnt(0)
	s_add_u32 s4, s4, s10
	s_addc_u32 s5, s5, s11
	v_mov_b32_e32 v1, 0
	global_load_ushort v1, v1, s[4:5]
	s_load_dwordx2 s[10:11], s[0:1], 0x0
	s_ashr_i32 s7, s6, 31
	s_mul_hi_u32 s3, s6, s2
	s_mul_i32 s5, s7, s2
	s_mul_i32 s4, s6, s2
	s_add_i32 s5, s3, s5
	v_mov_b64_e32 v[2:3], s[8:9]
	s_lshl_b64 s[8:9], s[4:5], 1
	s_mov_b64 s[12:13], -1
	v_lshlrev_b32_e32 v12, 2, v0
	s_waitcnt vmcnt(0)
	v_readfirstlane_b32 s3, v1
	s_sext_i32_i16 s4, s3
	s_ashr_i32 s5, s4, 31
	s_waitcnt lgkmcnt(0)
	s_add_u32 s8, s10, s8
	v_cmp_lt_i64_e32 vcc, s[4:5], v[2:3]
	s_addc_u32 s3, s11, s9
	s_add_i32 s5, s6, 1
	s_lshr_b32 s10, s5, 31
	s_add_i32 s5, s5, s10
	s_and_b32 s9, s3, 0xffff
	s_lshl_b32 s3, s5, 1
	s_and_b32 s10, s3, -4
	s_cmp_gt_i32 s4, -1
	s_cselect_b64 s[14:15], -1, 0
	s_and_b64 s[14:15], s[14:15], vcc
	s_and_b64 vcc, exec, s[14:15]
	s_cbranch_vccnz .LBB273_5
; %bb.1:
	v_cmp_gt_i32_e32 vcc, s6, v12
	s_and_saveexec_b64 s[12:13], vcc
	s_cbranch_execz .LBB273_4
; %bb.2:
	s_load_dword s3, s[0:1], 0x3c
	v_mov_b32_e32 v13, 0
	s_mov_b32 s15, 0
	v_lshlrev_b32_e32 v1, 3, v0
	s_mov_b64 s[16:17], 0
	s_waitcnt lgkmcnt(0)
	s_and_b32 s3, s3, 0xffff
	s_lshl_b32 s14, s3, 2
	s_lshl_b32 s3, s3, 3
	s_mov_b32 s11, 0x20000
	v_mov_b32_e32 v2, v13
	v_mov_b32_e32 v3, v13
	v_mov_b64_e32 v[4:5], v[12:13]
.LBB273_3:                              ; =>This Inner Loop Header: Depth=1
	v_lshl_add_u64 v[4:5], s[14:15], 0, v[4:5]
	v_cmp_le_i64_e32 vcc, s[6:7], v[4:5]
	buffer_store_dwordx2 v[2:3], v1, s[8:11], 0 offen
	s_or_b64 s[16:17], vcc, s[16:17]
	v_add_u32_e32 v1, s3, v1
	s_andn2_b64 exec, exec, s[16:17]
	s_cbranch_execnz .LBB273_3
.LBB273_4:
	s_or_b64 exec, exec, s[12:13]
	s_mov_b64 s[12:13], 0
.LBB273_5:
	s_andn2_b64 vcc, exec, s[12:13]
	s_cbranch_vccnz .LBB273_9
; %bb.6:
	v_cmp_gt_i32_e32 vcc, s6, v12
	s_and_saveexec_b64 s[12:13], vcc
	s_cbranch_execz .LBB273_9
; %bb.7:
	s_load_dwordx2 s[18:19], s[0:1], 0x8
	s_load_dwordx2 s[12:13], s[0:1], 0x18
	s_mul_hi_i32 s5, s6, s4
	s_mul_i32 s4, s6, s4
	s_lshl_b32 s14, s6, 2
	s_lshl_b64 s[4:5], s[4:5], 3
	s_waitcnt lgkmcnt(0)
	s_add_u32 s12, s12, s4
	s_load_dword s22, s[0:1], 0x3c
	s_addc_u32 s3, s13, s5
	s_lshl_b64 s[0:1], s[6:7], 2
	s_add_u32 s16, s12, s0
	s_addc_u32 s4, s3, s1
	s_and_b32 s13, s3, 0xffff
	s_and_b32 s17, s4, 0xffff
	s_mul_i32 s3, s2, s7
	s_mul_hi_u32 s4, s2, s6
	s_add_i32 s3, s4, s3
	s_mul_i32 s2, s2, s6
	s_lshl_b64 s[2:3], s[2:3], 3
	s_add_u32 s20, s18, s2
	s_addc_u32 s2, s19, s3
	s_add_u32 s24, s20, s0
	s_addc_u32 s0, s2, s1
	s_mov_b32 s11, 0x20000
	s_and_b32 s25, s0, 0xffff
	s_waitcnt lgkmcnt(0)
	s_and_b32 s0, s22, 0xffff
	s_mov_b32 s15, s11
	s_and_b32 s21, s2, 0xffff
	s_mov_b32 s29, 0
	v_mov_b32_e32 v13, 0
	s_lshl_b32 s28, s0, 2
	v_lshlrev_b32_e32 v14, 3, v0
	s_lshl_b32 s33, s0, 3
	v_lshlrev_b32_e32 v15, 4, v0
	s_lshl_b32 s34, s0, 4
	s_mov_b64 s[30:31], 0
	s_mov_b32 s22, s14
	s_mov_b32 s23, s11
	;; [unrolled: 1-line block ×5, first 2 shown]
	v_mov_b32_e32 v16, 0x7f800000
	s_mov_b32 s38, 0xc0e00000
	v_mov_b32_e32 v17, 0x40e00000
	s_mov_b32 s39, 0x7060302
	s_mov_b32 s26, s14
	;; [unrolled: 1-line block ×3, first 2 shown]
.LBB273_8:                              ; =>This Inner Loop Header: Depth=1
	buffer_load_dwordx4 v[4:7], v15, s[12:15], 0 offen
	buffer_load_dwordx4 v[8:11], v15, s[20:23], 0 offen
	;; [unrolled: 1-line block ×3, first 2 shown]
	s_mov_b32 s18, s14
	s_mov_b32 s19, s15
	buffer_load_dwordx4 v[18:21], v15, s[16:19], 0 offen
	v_lshl_add_u64 v[12:13], s[28:29], 0, v[12:13]
	v_cmp_le_i64_e32 vcc, s[6:7], v[12:13]
	s_or_b64 s[30:31], vcc, s[30:31]
	v_add_u32_e32 v15, s34, v15
	s_waitcnt vmcnt(2)
	v_pk_add_f32 v[6:7], v[10:11], v[6:7]
	v_pk_add_f32 v[4:5], v[8:9], v[4:5]
	v_min_f32_e32 v7, 0x40e00000, v7
	v_min_f32_e32 v5, 0x40e00000, v5
	;; [unrolled: 1-line block ×4, first 2 shown]
	v_mul_f32_e32 v8, 0xbfd9db23, v4
	v_mul_f32_e32 v9, 0xbfd9db23, v5
	;; [unrolled: 1-line block ×4, first 2 shown]
	s_waitcnt vmcnt(0)
	v_pk_add_f32 v[2:3], v[2:3], v[20:21]
	v_pk_add_f32 v[0:1], v[0:1], v[18:19]
	v_mul_f32_e32 v18, 0x3fb8aa3b, v8
	v_mul_f32_e32 v19, 0x3fb8aa3b, v9
	;; [unrolled: 1-line block ×4, first 2 shown]
	v_fma_f32 v22, v8, s35, -v18
	v_rndne_f32_e32 v23, v18
	v_fma_f32 v24, v9, s35, -v19
	v_rndne_f32_e32 v25, v19
	;; [unrolled: 2-line block ×4, first 2 shown]
	v_fmac_f32_e32 v22, 0x32a5705f, v8
	v_sub_f32_e32 v18, v18, v23
	v_fmac_f32_e32 v24, 0x32a5705f, v9
	v_sub_f32_e32 v19, v19, v25
	;; [unrolled: 2-line block ×4, first 2 shown]
	v_add_f32_e32 v18, v18, v22
	v_add_f32_e32 v19, v19, v24
	;; [unrolled: 1-line block ×4, first 2 shown]
	v_cvt_i32_f32_e32 v23, v23
	v_cvt_i32_f32_e32 v25, v25
	;; [unrolled: 1-line block ×4, first 2 shown]
	v_exp_f32_e32 v18, v18
	v_exp_f32_e32 v19, v19
	;; [unrolled: 1-line block ×4, first 2 shown]
	v_ldexp_f32 v18, v18, v23
	v_ldexp_f32 v19, v19, v25
	v_cmp_ngt_f32_e32 vcc, s36, v9
	v_ldexp_f32 v20, v20, v27
	v_cmp_ngt_f32_e64 s[0:1], s36, v10
	v_ldexp_f32 v21, v21, v29
	v_cmp_ngt_f32_e64 s[2:3], s36, v11
	v_cmp_ngt_f32_e64 s[4:5], s36, v8
	v_cndmask_b32_e32 v19, 0, v19, vcc
	v_cmp_nlt_f32_e32 vcc, s37, v9
	v_cndmask_b32_e64 v18, 0, v18, s[4:5]
	v_cndmask_b32_e64 v9, 0, v20, s[0:1]
	v_cmp_nlt_f32_e64 s[0:1], s37, v10
	v_cndmask_b32_e64 v10, 0, v21, s[2:3]
	v_cmp_nlt_f32_e64 s[2:3], s37, v11
	v_cmp_nlt_f32_e64 s[4:5], s37, v8
	v_cndmask_b32_e32 v11, v16, v19, vcc
	v_cndmask_b32_e64 v9, v16, v9, s[0:1]
	v_cndmask_b32_e64 v8, v16, v18, s[4:5]
	;; [unrolled: 1-line block ×3, first 2 shown]
	v_add_f32_e32 v8, 1.0, v8
	v_add_f32_e32 v11, 1.0, v11
	;; [unrolled: 1-line block ×4, first 2 shown]
	v_rcp_f32_e32 v8, v8
	v_rcp_f32_e32 v9, v11
	;; [unrolled: 1-line block ×4, first 2 shown]
	v_med3_f32 v3, v3, s38, v17
	v_med3_f32 v2, v2, s38, v17
	;; [unrolled: 1-line block ×4, first 2 shown]
	v_pk_add_f32 v[2:3], v[2:3], 1.0 op_sel_hi:[1,0]
	v_pk_add_f32 v[0:1], v[0:1], 1.0 op_sel_hi:[1,0]
	v_pk_mul_f32 v[4:5], v[4:5], v[8:9]
	v_pk_mul_f32 v[6:7], v[6:7], v[10:11]
	;; [unrolled: 1-line block ×4, first 2 shown]
	s_nop 0
	v_perm_b32 v3, v3, v2, s39
	v_perm_b32 v2, v1, v0, s39
	buffer_store_dwordx2 v[2:3], v14, s[8:11], 0 offen
	v_add_u32_e32 v14, s33, v14
	s_andn2_b64 exec, exec, s[30:31]
	s_cbranch_execnz .LBB273_8
.LBB273_9:
	s_endpgm
	.section	.rodata,"a",@progbits
	.p2align	6, 0x0
	.amdhsa_kernel _ZN5aiter30swiglu_act_and_mul_bias_kernelIftsfLi4EEEvPT0_PKT_PKT1_PKT2_il
		.amdhsa_group_segment_fixed_size 0
		.amdhsa_private_segment_fixed_size 0
		.amdhsa_kernarg_size 304
		.amdhsa_user_sgpr_count 2
		.amdhsa_user_sgpr_dispatch_ptr 0
		.amdhsa_user_sgpr_queue_ptr 0
		.amdhsa_user_sgpr_kernarg_segment_ptr 1
		.amdhsa_user_sgpr_dispatch_id 0
		.amdhsa_user_sgpr_kernarg_preload_length 0
		.amdhsa_user_sgpr_kernarg_preload_offset 0
		.amdhsa_user_sgpr_private_segment_size 0
		.amdhsa_uses_dynamic_stack 0
		.amdhsa_enable_private_segment 0
		.amdhsa_system_sgpr_workgroup_id_x 1
		.amdhsa_system_sgpr_workgroup_id_y 0
		.amdhsa_system_sgpr_workgroup_id_z 0
		.amdhsa_system_sgpr_workgroup_info 0
		.amdhsa_system_vgpr_workitem_id 0
		.amdhsa_next_free_vgpr 30
		.amdhsa_next_free_sgpr 40
		.amdhsa_accum_offset 32
		.amdhsa_reserve_vcc 1
		.amdhsa_float_round_mode_32 0
		.amdhsa_float_round_mode_16_64 0
		.amdhsa_float_denorm_mode_32 3
		.amdhsa_float_denorm_mode_16_64 3
		.amdhsa_dx10_clamp 1
		.amdhsa_ieee_mode 1
		.amdhsa_fp16_overflow 0
		.amdhsa_tg_split 0
		.amdhsa_exception_fp_ieee_invalid_op 0
		.amdhsa_exception_fp_denorm_src 0
		.amdhsa_exception_fp_ieee_div_zero 0
		.amdhsa_exception_fp_ieee_overflow 0
		.amdhsa_exception_fp_ieee_underflow 0
		.amdhsa_exception_fp_ieee_inexact 0
		.amdhsa_exception_int_div_zero 0
	.end_amdhsa_kernel
	.section	.text._ZN5aiter30swiglu_act_and_mul_bias_kernelIftsfLi4EEEvPT0_PKT_PKT1_PKT2_il,"axG",@progbits,_ZN5aiter30swiglu_act_and_mul_bias_kernelIftsfLi4EEEvPT0_PKT_PKT1_PKT2_il,comdat
.Lfunc_end273:
	.size	_ZN5aiter30swiglu_act_and_mul_bias_kernelIftsfLi4EEEvPT0_PKT_PKT1_PKT2_il, .Lfunc_end273-_ZN5aiter30swiglu_act_and_mul_bias_kernelIftsfLi4EEEvPT0_PKT_PKT1_PKT2_il
                                        ; -- End function
	.section	.AMDGPU.csdata,"",@progbits
; Kernel info:
; codeLenInByte = 1220
; NumSgprs: 46
; NumVgprs: 30
; NumAgprs: 0
; TotalNumVgprs: 30
; ScratchSize: 0
; MemoryBound: 0
; FloatMode: 240
; IeeeMode: 1
; LDSByteSize: 0 bytes/workgroup (compile time only)
; SGPRBlocks: 5
; VGPRBlocks: 3
; NumSGPRsForWavesPerEU: 46
; NumVGPRsForWavesPerEU: 30
; AccumOffset: 32
; Occupancy: 8
; WaveLimiterHint : 0
; COMPUTE_PGM_RSRC2:SCRATCH_EN: 0
; COMPUTE_PGM_RSRC2:USER_SGPR: 2
; COMPUTE_PGM_RSRC2:TRAP_HANDLER: 0
; COMPUTE_PGM_RSRC2:TGID_X_EN: 1
; COMPUTE_PGM_RSRC2:TGID_Y_EN: 0
; COMPUTE_PGM_RSRC2:TGID_Z_EN: 0
; COMPUTE_PGM_RSRC2:TIDIG_COMP_CNT: 0
; COMPUTE_PGM_RSRC3_GFX90A:ACCUM_OFFSET: 7
; COMPUTE_PGM_RSRC3_GFX90A:TG_SPLIT: 0
	.section	.text._ZN5aiter30swiglu_act_and_mul_bias_kernelIftsfLi2EEEvPT0_PKT_PKT1_PKT2_il,"axG",@progbits,_ZN5aiter30swiglu_act_and_mul_bias_kernelIftsfLi2EEEvPT0_PKT_PKT1_PKT2_il,comdat
	.protected	_ZN5aiter30swiglu_act_and_mul_bias_kernelIftsfLi2EEEvPT0_PKT_PKT1_PKT2_il ; -- Begin function _ZN5aiter30swiglu_act_and_mul_bias_kernelIftsfLi2EEEvPT0_PKT_PKT1_PKT2_il
	.globl	_ZN5aiter30swiglu_act_and_mul_bias_kernelIftsfLi2EEEvPT0_PKT_PKT1_PKT2_il
	.p2align	8
	.type	_ZN5aiter30swiglu_act_and_mul_bias_kernelIftsfLi2EEEvPT0_PKT_PKT1_PKT2_il,@function
_ZN5aiter30swiglu_act_and_mul_bias_kernelIftsfLi2EEEvPT0_PKT_PKT1_PKT2_il: ; @_ZN5aiter30swiglu_act_and_mul_bias_kernelIftsfLi2EEEvPT0_PKT_PKT1_PKT2_il
; %bb.0:
	s_load_dwordx2 s[4:5], s[0:1], 0x10
	s_load_dword s24, s[0:1], 0x20
	s_load_dwordx2 s[6:7], s[0:1], 0x28
	s_mov_b32 s3, 0
	s_lshl_b64 s[8:9], s[2:3], 1
	s_waitcnt lgkmcnt(0)
	s_add_u32 s4, s4, s8
	s_addc_u32 s5, s5, s9
	v_mov_b32_e32 v1, 0
	global_load_ushort v1, v1, s[4:5]
	s_load_dwordx2 s[4:5], s[0:1], 0x0
	s_ashr_i32 s25, s24, 31
	s_mul_hi_u32 s3, s24, s2
	v_mov_b64_e32 v[2:3], s[6:7]
	s_mul_i32 s6, s25, s2
	s_mul_i32 s8, s24, s2
	s_add_i32 s9, s3, s6
	s_lshl_b64 s[6:7], s[8:9], 1
	s_mov_b64 s[10:11], -1
	s_waitcnt vmcnt(0)
	v_readfirstlane_b32 s3, v1
	s_sext_i32_i16 s8, s3
	s_ashr_i32 s9, s8, 31
	s_waitcnt lgkmcnt(0)
	s_add_u32 s4, s4, s6
	s_addc_u32 s3, s5, s7
	s_add_i32 s6, s24, 1
	s_lshr_b32 s7, s6, 31
	s_add_i32 s6, s6, s7
	s_and_b32 s5, s3, 0xffff
	s_lshl_b32 s3, s6, 1
	s_and_b32 s6, s3, -4
	s_cmp_gt_i32 s8, -1
	v_cmp_lt_i64_e32 vcc, s[8:9], v[2:3]
	s_cselect_b64 s[12:13], -1, 0
	s_and_b64 s[12:13], s[12:13], vcc
	s_and_b64 vcc, exec, s[12:13]
	v_lshlrev_b32_e32 v2, 1, v0
	s_cbranch_vccnz .LBB274_5
; %bb.1:
	v_cmp_gt_i32_e32 vcc, s24, v2
	s_and_saveexec_b64 s[10:11], vcc
	s_cbranch_execz .LBB274_4
; %bb.2:
	s_load_dword s3, s[0:1], 0x3c
	v_mov_b32_e32 v3, 0
	s_mov_b32 s13, 0
	v_lshlrev_b32_e32 v1, 2, v0
	s_mov_b64 s[14:15], 0
	s_waitcnt lgkmcnt(0)
	s_and_b32 s3, s3, 0xffff
	s_lshl_b32 s12, s3, 1
	s_lshl_b32 s3, s3, 2
	s_mov_b32 s7, 0x20000
	v_mov_b64_e32 v[4:5], v[2:3]
.LBB274_3:                              ; =>This Inner Loop Header: Depth=1
	v_lshl_add_u64 v[4:5], s[12:13], 0, v[4:5]
	v_cmp_le_i64_e32 vcc, s[24:25], v[4:5]
	buffer_store_dword v3, v1, s[4:7], 0 offen
	s_or_b64 s[14:15], vcc, s[14:15]
	v_add_u32_e32 v1, s3, v1
	s_andn2_b64 exec, exec, s[14:15]
	s_cbranch_execnz .LBB274_3
.LBB274_4:
	s_or_b64 exec, exec, s[10:11]
	s_mov_b64 s[10:11], 0
.LBB274_5:
	s_andn2_b64 vcc, exec, s[10:11]
	s_cbranch_vccnz .LBB274_9
; %bb.6:
	v_cmp_gt_i32_e32 vcc, s24, v2
	s_and_saveexec_b64 s[10:11], vcc
	s_cbranch_execz .LBB274_9
; %bb.7:
	s_load_dwordx2 s[14:15], s[0:1], 0x8
	s_load_dwordx2 s[12:13], s[0:1], 0x18
	s_mul_hi_i32 s9, s24, s8
	s_mul_i32 s8, s24, s8
	s_lshl_b32 s10, s24, 2
	s_lshl_b64 s[8:9], s[8:9], 3
	s_waitcnt lgkmcnt(0)
	s_add_u32 s8, s12, s8
	s_load_dword s18, s[0:1], 0x3c
	s_addc_u32 s3, s13, s9
	s_lshl_b64 s[0:1], s[24:25], 2
	s_add_u32 s12, s8, s0
	s_addc_u32 s13, s3, s1
	s_and_b32 s9, s3, 0xffff
	s_mul_i32 s3, s2, s25
	s_mul_hi_u32 s16, s2, s24
	s_add_i32 s3, s16, s3
	s_mul_i32 s2, s2, s24
	s_and_b32 s13, s13, 0xffff
	s_lshl_b64 s[2:3], s[2:3], 3
	s_add_u32 s16, s14, s2
	s_addc_u32 s2, s15, s3
	s_add_u32 s20, s16, s0
	s_addc_u32 s0, s2, s1
	s_mov_b32 s7, 0x20000
	s_and_b32 s21, s0, 0xffff
	s_waitcnt lgkmcnt(0)
	s_and_b32 s0, s18, 0xffff
	s_mov_b32 s11, s7
	s_and_b32 s17, s2, 0xffff
	s_mov_b32 s3, 0
	v_mov_b32_e32 v3, 0
	s_lshl_b32 s2, s0, 1
	v_lshlrev_b32_e32 v1, 2, v0
	s_lshl_b32 s28, s0, 2
	v_lshlrev_b32_e32 v0, 3, v0
	s_lshl_b32 s29, s0, 3
	s_mov_b64 s[26:27], 0
	s_mov_b32 s18, s10
	s_mov_b32 s19, s7
	;; [unrolled: 1-line block ×5, first 2 shown]
	v_mov_b32_e32 v4, 0x7f800000
	s_mov_b32 s34, 0xc0e00000
	v_mov_b32_e32 v5, 0x40e00000
	s_mov_b32 s35, 0x7060302
	s_mov_b32 s22, s10
	;; [unrolled: 1-line block ×3, first 2 shown]
.LBB274_8:                              ; =>This Inner Loop Header: Depth=1
	buffer_load_dwordx2 v[6:7], v0, s[16:19], 0 offen
	buffer_load_dwordx2 v[8:9], v0, s[20:23], 0 offen
	;; [unrolled: 1-line block ×3, first 2 shown]
	s_mov_b32 s14, s10
	s_mov_b32 s15, s11
	buffer_load_dwordx2 v[12:13], v0, s[12:15], 0 offen
	v_lshl_add_u64 v[2:3], s[2:3], 0, v[2:3]
	v_cmp_le_i64_e32 vcc, s[24:25], v[2:3]
	s_or_b64 s[26:27], vcc, s[26:27]
	v_add_u32_e32 v0, s29, v0
	s_waitcnt vmcnt(1)
	v_pk_add_f32 v[6:7], v[6:7], v[10:11]
	s_nop 0
	v_min_f32_e32 v7, 0x40e00000, v7
	v_min_f32_e32 v6, 0x40e00000, v6
	v_mul_f32_e32 v10, 0xbfd9db23, v6
	v_mul_f32_e32 v11, 0xbfd9db23, v7
	s_waitcnt vmcnt(0)
	v_pk_add_f32 v[8:9], v[8:9], v[12:13]
	v_mul_f32_e32 v12, 0x3fb8aa3b, v10
	v_mul_f32_e32 v13, 0x3fb8aa3b, v11
	v_fma_f32 v14, v10, s30, -v12
	v_rndne_f32_e32 v15, v12
	v_fma_f32 v16, v11, s30, -v13
	v_rndne_f32_e32 v17, v13
	v_fmac_f32_e32 v14, 0x32a5705f, v10
	v_sub_f32_e32 v12, v12, v15
	v_fmac_f32_e32 v16, 0x32a5705f, v11
	v_sub_f32_e32 v13, v13, v17
	v_add_f32_e32 v12, v12, v14
	v_add_f32_e32 v13, v13, v16
	v_cvt_i32_f32_e32 v15, v15
	v_cvt_i32_f32_e32 v17, v17
	v_exp_f32_e32 v12, v12
	v_exp_f32_e32 v13, v13
	v_cmp_ngt_f32_e32 vcc, s31, v11
	v_cmp_ngt_f32_e64 s[0:1], s31, v10
	v_ldexp_f32 v12, v12, v15
	v_ldexp_f32 v13, v13, v17
	v_cndmask_b32_e64 v12, 0, v12, s[0:1]
	v_cndmask_b32_e32 v13, 0, v13, vcc
	v_cmp_nlt_f32_e32 vcc, s33, v11
	v_cmp_nlt_f32_e64 s[0:1], s33, v10
	v_med3_f32 v9, v9, s34, v5
	v_cndmask_b32_e32 v11, v4, v13, vcc
	v_cndmask_b32_e64 v10, v4, v12, s[0:1]
	v_add_f32_e32 v10, 1.0, v10
	v_add_f32_e32 v11, 1.0, v11
	v_rcp_f32_e32 v10, v10
	v_rcp_f32_e32 v11, v11
	v_med3_f32 v8, v8, s34, v5
	v_pk_add_f32 v[8:9], v[8:9], 1.0 op_sel_hi:[1,0]
	v_pk_mul_f32 v[6:7], v[6:7], v[10:11]
	s_nop 0
	v_pk_mul_f32 v[6:7], v[8:9], v[6:7]
	s_nop 0
	v_perm_b32 v6, v7, v6, s35
	buffer_store_dword v6, v1, s[4:7], 0 offen
	v_add_u32_e32 v1, s28, v1
	s_andn2_b64 exec, exec, s[26:27]
	s_cbranch_execnz .LBB274_8
.LBB274_9:
	s_endpgm
	.section	.rodata,"a",@progbits
	.p2align	6, 0x0
	.amdhsa_kernel _ZN5aiter30swiglu_act_and_mul_bias_kernelIftsfLi2EEEvPT0_PKT_PKT1_PKT2_il
		.amdhsa_group_segment_fixed_size 0
		.amdhsa_private_segment_fixed_size 0
		.amdhsa_kernarg_size 304
		.amdhsa_user_sgpr_count 2
		.amdhsa_user_sgpr_dispatch_ptr 0
		.amdhsa_user_sgpr_queue_ptr 0
		.amdhsa_user_sgpr_kernarg_segment_ptr 1
		.amdhsa_user_sgpr_dispatch_id 0
		.amdhsa_user_sgpr_kernarg_preload_length 0
		.amdhsa_user_sgpr_kernarg_preload_offset 0
		.amdhsa_user_sgpr_private_segment_size 0
		.amdhsa_uses_dynamic_stack 0
		.amdhsa_enable_private_segment 0
		.amdhsa_system_sgpr_workgroup_id_x 1
		.amdhsa_system_sgpr_workgroup_id_y 0
		.amdhsa_system_sgpr_workgroup_id_z 0
		.amdhsa_system_sgpr_workgroup_info 0
		.amdhsa_system_vgpr_workitem_id 0
		.amdhsa_next_free_vgpr 18
		.amdhsa_next_free_sgpr 36
		.amdhsa_accum_offset 20
		.amdhsa_reserve_vcc 1
		.amdhsa_float_round_mode_32 0
		.amdhsa_float_round_mode_16_64 0
		.amdhsa_float_denorm_mode_32 3
		.amdhsa_float_denorm_mode_16_64 3
		.amdhsa_dx10_clamp 1
		.amdhsa_ieee_mode 1
		.amdhsa_fp16_overflow 0
		.amdhsa_tg_split 0
		.amdhsa_exception_fp_ieee_invalid_op 0
		.amdhsa_exception_fp_denorm_src 0
		.amdhsa_exception_fp_ieee_div_zero 0
		.amdhsa_exception_fp_ieee_overflow 0
		.amdhsa_exception_fp_ieee_underflow 0
		.amdhsa_exception_fp_ieee_inexact 0
		.amdhsa_exception_int_div_zero 0
	.end_amdhsa_kernel
	.section	.text._ZN5aiter30swiglu_act_and_mul_bias_kernelIftsfLi2EEEvPT0_PKT_PKT1_PKT2_il,"axG",@progbits,_ZN5aiter30swiglu_act_and_mul_bias_kernelIftsfLi2EEEvPT0_PKT_PKT1_PKT2_il,comdat
.Lfunc_end274:
	.size	_ZN5aiter30swiglu_act_and_mul_bias_kernelIftsfLi2EEEvPT0_PKT_PKT1_PKT2_il, .Lfunc_end274-_ZN5aiter30swiglu_act_and_mul_bias_kernelIftsfLi2EEEvPT0_PKT_PKT1_PKT2_il
                                        ; -- End function
	.section	.AMDGPU.csdata,"",@progbits
; Kernel info:
; codeLenInByte = 940
; NumSgprs: 42
; NumVgprs: 18
; NumAgprs: 0
; TotalNumVgprs: 18
; ScratchSize: 0
; MemoryBound: 0
; FloatMode: 240
; IeeeMode: 1
; LDSByteSize: 0 bytes/workgroup (compile time only)
; SGPRBlocks: 5
; VGPRBlocks: 2
; NumSGPRsForWavesPerEU: 42
; NumVGPRsForWavesPerEU: 18
; AccumOffset: 20
; Occupancy: 8
; WaveLimiterHint : 0
; COMPUTE_PGM_RSRC2:SCRATCH_EN: 0
; COMPUTE_PGM_RSRC2:USER_SGPR: 2
; COMPUTE_PGM_RSRC2:TRAP_HANDLER: 0
; COMPUTE_PGM_RSRC2:TGID_X_EN: 1
; COMPUTE_PGM_RSRC2:TGID_Y_EN: 0
; COMPUTE_PGM_RSRC2:TGID_Z_EN: 0
; COMPUTE_PGM_RSRC2:TIDIG_COMP_CNT: 0
; COMPUTE_PGM_RSRC3_GFX90A:ACCUM_OFFSET: 4
; COMPUTE_PGM_RSRC3_GFX90A:TG_SPLIT: 0
	.section	.text._ZN5aiter30swiglu_act_and_mul_bias_kernelIftsfLi1EEEvPT0_PKT_PKT1_PKT2_il,"axG",@progbits,_ZN5aiter30swiglu_act_and_mul_bias_kernelIftsfLi1EEEvPT0_PKT_PKT1_PKT2_il,comdat
	.protected	_ZN5aiter30swiglu_act_and_mul_bias_kernelIftsfLi1EEEvPT0_PKT_PKT1_PKT2_il ; -- Begin function _ZN5aiter30swiglu_act_and_mul_bias_kernelIftsfLi1EEEvPT0_PKT_PKT1_PKT2_il
	.globl	_ZN5aiter30swiglu_act_and_mul_bias_kernelIftsfLi1EEEvPT0_PKT_PKT1_PKT2_il
	.p2align	8
	.type	_ZN5aiter30swiglu_act_and_mul_bias_kernelIftsfLi1EEEvPT0_PKT_PKT1_PKT2_il,@function
_ZN5aiter30swiglu_act_and_mul_bias_kernelIftsfLi1EEEvPT0_PKT_PKT1_PKT2_il: ; @_ZN5aiter30swiglu_act_and_mul_bias_kernelIftsfLi1EEEvPT0_PKT_PKT1_PKT2_il
; %bb.0:
	s_load_dwordx2 s[4:5], s[0:1], 0x10
	s_load_dword s20, s[0:1], 0x20
	s_load_dwordx2 s[8:9], s[0:1], 0x28
	s_mov_b32 s3, 0
	s_lshl_b64 s[6:7], s[2:3], 1
	s_waitcnt lgkmcnt(0)
	s_add_u32 s4, s4, s6
	s_addc_u32 s5, s5, s7
	v_mov_b32_e32 v1, 0
	global_load_ushort v1, v1, s[4:5]
	s_load_dwordx2 s[4:5], s[0:1], 0x0
	s_ashr_i32 s21, s20, 31
	s_mul_hi_u32 s3, s20, s2
	v_mov_b64_e32 v[2:3], s[8:9]
	s_mul_i32 s8, s21, s2
	s_add_i32 s11, s3, s8
	s_mul_i32 s10, s20, s2
	s_lshl_b64 s[8:9], s[10:11], 1
	s_mov_b64 s[6:7], -1
	s_waitcnt vmcnt(0)
	v_readfirstlane_b32 s3, v1
	s_sext_i32_i16 s12, s3
	s_ashr_i32 s13, s12, 31
	s_waitcnt lgkmcnt(0)
	s_add_u32 s8, s4, s8
	s_addc_u32 s3, s5, s9
	s_add_i32 s4, s20, 1
	s_lshr_b32 s5, s4, 31
	s_add_i32 s4, s4, s5
	s_and_b32 s9, s3, 0xffff
	s_lshl_b32 s3, s4, 1
	s_and_b32 s10, s3, -4
	s_cmp_gt_i32 s12, -1
	v_cmp_lt_i64_e32 vcc, s[12:13], v[2:3]
	s_cselect_b64 s[4:5], -1, 0
	s_and_b64 s[4:5], s[4:5], vcc
	s_and_b64 vcc, exec, s[4:5]
	v_cmp_gt_i32_e64 s[4:5], s20, v0
	s_cbranch_vccnz .LBB275_5
; %bb.1:
	s_and_saveexec_b64 s[6:7], s[4:5]
	s_cbranch_execz .LBB275_4
; %bb.2:
	s_load_dword s3, s[0:1], 0x3c
	v_mov_b32_e32 v1, 0
	s_mov_b32 s5, 0
	v_lshlrev_b32_e32 v4, 1, v0
	s_mov_b64 s[14:15], 0
	s_waitcnt lgkmcnt(0)
	s_and_b32 s4, s3, 0xffff
	s_lshl_b32 s3, s4, 1
	s_mov_b32 s11, 0x20000
	v_mov_b64_e32 v[2:3], v[0:1]
.LBB275_3:                              ; =>This Inner Loop Header: Depth=1
	v_lshl_add_u64 v[2:3], v[2:3], 0, s[4:5]
	v_cmp_le_i64_e32 vcc, s[20:21], v[2:3]
	buffer_store_short v1, v4, s[8:11], 0 offen
	s_or_b64 s[14:15], vcc, s[14:15]
	v_add_u32_e32 v4, s3, v4
	s_andn2_b64 exec, exec, s[14:15]
	s_cbranch_execnz .LBB275_3
.LBB275_4:
	s_or_b64 exec, exec, s[6:7]
	s_mov_b64 s[6:7], 0
.LBB275_5:
	s_andn2_b64 vcc, exec, s[6:7]
	s_cbranch_vccnz .LBB275_9
; %bb.6:
	v_cmp_gt_i32_e32 vcc, s20, v0
	s_and_saveexec_b64 s[4:5], vcc
	s_cbranch_execz .LBB275_9
; %bb.7:
	s_load_dwordx2 s[14:15], s[0:1], 0x8
	s_load_dwordx2 s[4:5], s[0:1], 0x18
	s_mul_hi_i32 s13, s20, s12
	s_mul_i32 s12, s20, s12
	s_lshl_b32 s6, s20, 2
	s_lshl_b64 s[12:13], s[12:13], 3
	s_waitcnt lgkmcnt(0)
	s_add_u32 s4, s4, s12
	s_load_dword s18, s[0:1], 0x3c
	s_addc_u32 s1, s5, s13
	s_lshl_b64 s[16:17], s[20:21], 2
	s_add_u32 s0, s4, s16
	s_addc_u32 s3, s1, s17
	s_and_b32 s5, s1, 0xffff
	s_and_b32 s1, s3, 0xffff
	s_mul_i32 s3, s2, s21
	s_mul_hi_u32 s12, s2, s20
	s_add_i32 s3, s12, s3
	s_mul_i32 s2, s2, s20
	s_lshl_b64 s[2:3], s[2:3], 3
	s_add_u32 s12, s14, s2
	s_addc_u32 s2, s15, s3
	s_add_u32 s16, s12, s16
	s_mov_b32 s11, 0x20000
	s_addc_u32 s3, s2, s17
	s_waitcnt lgkmcnt(0)
	s_and_b32 s22, s18, 0xffff
	s_mov_b32 s7, s11
	s_and_b32 s13, s2, 0xffff
	s_and_b32 s17, s3, 0xffff
	s_mov_b32 s23, 0
	v_mov_b32_e32 v1, 0
	v_lshlrev_b32_e32 v2, 1, v0
	s_lshl_b32 s26, s22, 1
	v_lshlrev_b32_e32 v3, 2, v0
	s_lshl_b32 s27, s22, 2
	s_mov_b64 s[24:25], 0
	s_mov_b32 s14, s6
	s_mov_b32 s15, s11
	;; [unrolled: 1-line block ×5, first 2 shown]
	v_mov_b32_e32 v4, 0x7f800000
	s_mov_b32 s18, s6
	s_mov_b32 s19, s11
.LBB275_8:                              ; =>This Inner Loop Header: Depth=1
	buffer_load_dword v5, v3, s[12:15], 0 offen
	buffer_load_dword v6, v3, s[16:19], 0 offen
	s_mov_b32 s2, s6
	s_mov_b32 s3, s7
	buffer_load_dword v7, v3, s[4:7], 0 offen
	buffer_load_dword v8, v3, s[0:3], 0 offen
	v_lshl_add_u64 v[0:1], v[0:1], 0, s[22:23]
	v_cmp_le_i64_e32 vcc, s[20:21], v[0:1]
	s_or_b64 s[24:25], vcc, s[24:25]
	v_add_u32_e32 v3, s27, v3
	s_waitcnt vmcnt(1)
	v_add_f32_e32 v5, v5, v7
	v_min_f32_e32 v5, 0x40e00000, v5
	v_mul_f32_e32 v7, 0xbfd9db23, v5
	s_waitcnt vmcnt(0)
	v_add_f32_e32 v6, v6, v8
	v_mul_f32_e32 v8, 0x3fb8aa3b, v7
	v_fma_f32 v9, v7, s28, -v8
	v_rndne_f32_e32 v10, v8
	v_fmac_f32_e32 v9, 0x32a5705f, v7
	v_sub_f32_e32 v8, v8, v10
	v_add_f32_e32 v8, v8, v9
	v_cvt_i32_f32_e32 v10, v10
	v_exp_f32_e32 v8, v8
	v_cmp_ngt_f32_e32 vcc, s29, v7
	v_max_f32_e32 v6, 0xc0e00000, v6
	v_min_f32_e32 v6, 0x40e00000, v6
	v_ldexp_f32 v8, v8, v10
	v_cndmask_b32_e32 v8, 0, v8, vcc
	v_cmp_nlt_f32_e32 vcc, s30, v7
	v_add_f32_e32 v6, 1.0, v6
	s_nop 0
	v_cndmask_b32_e32 v7, v4, v8, vcc
	v_add_f32_e32 v7, 1.0, v7
	v_rcp_f32_e32 v7, v7
	s_nop 0
	v_mul_f32_e32 v5, v5, v7
	v_mul_f32_e32 v5, v6, v5
	v_lshrrev_b32_e32 v5, 16, v5
	buffer_store_short v5, v2, s[8:11], 0 offen
	v_add_u32_e32 v2, s26, v2
	s_andn2_b64 exec, exec, s[24:25]
	s_cbranch_execnz .LBB275_8
.LBB275_9:
	s_endpgm
	.section	.rodata,"a",@progbits
	.p2align	6, 0x0
	.amdhsa_kernel _ZN5aiter30swiglu_act_and_mul_bias_kernelIftsfLi1EEEvPT0_PKT_PKT1_PKT2_il
		.amdhsa_group_segment_fixed_size 0
		.amdhsa_private_segment_fixed_size 0
		.amdhsa_kernarg_size 304
		.amdhsa_user_sgpr_count 2
		.amdhsa_user_sgpr_dispatch_ptr 0
		.amdhsa_user_sgpr_queue_ptr 0
		.amdhsa_user_sgpr_kernarg_segment_ptr 1
		.amdhsa_user_sgpr_dispatch_id 0
		.amdhsa_user_sgpr_kernarg_preload_length 0
		.amdhsa_user_sgpr_kernarg_preload_offset 0
		.amdhsa_user_sgpr_private_segment_size 0
		.amdhsa_uses_dynamic_stack 0
		.amdhsa_enable_private_segment 0
		.amdhsa_system_sgpr_workgroup_id_x 1
		.amdhsa_system_sgpr_workgroup_id_y 0
		.amdhsa_system_sgpr_workgroup_id_z 0
		.amdhsa_system_sgpr_workgroup_info 0
		.amdhsa_system_vgpr_workitem_id 0
		.amdhsa_next_free_vgpr 11
		.amdhsa_next_free_sgpr 31
		.amdhsa_accum_offset 12
		.amdhsa_reserve_vcc 1
		.amdhsa_float_round_mode_32 0
		.amdhsa_float_round_mode_16_64 0
		.amdhsa_float_denorm_mode_32 3
		.amdhsa_float_denorm_mode_16_64 3
		.amdhsa_dx10_clamp 1
		.amdhsa_ieee_mode 1
		.amdhsa_fp16_overflow 0
		.amdhsa_tg_split 0
		.amdhsa_exception_fp_ieee_invalid_op 0
		.amdhsa_exception_fp_denorm_src 0
		.amdhsa_exception_fp_ieee_div_zero 0
		.amdhsa_exception_fp_ieee_overflow 0
		.amdhsa_exception_fp_ieee_underflow 0
		.amdhsa_exception_fp_ieee_inexact 0
		.amdhsa_exception_int_div_zero 0
	.end_amdhsa_kernel
	.section	.text._ZN5aiter30swiglu_act_and_mul_bias_kernelIftsfLi1EEEvPT0_PKT_PKT1_PKT2_il,"axG",@progbits,_ZN5aiter30swiglu_act_and_mul_bias_kernelIftsfLi1EEEvPT0_PKT_PKT1_PKT2_il,comdat
.Lfunc_end275:
	.size	_ZN5aiter30swiglu_act_and_mul_bias_kernelIftsfLi1EEEvPT0_PKT_PKT1_PKT2_il, .Lfunc_end275-_ZN5aiter30swiglu_act_and_mul_bias_kernelIftsfLi1EEEvPT0_PKT_PKT1_PKT2_il
                                        ; -- End function
	.section	.AMDGPU.csdata,"",@progbits
; Kernel info:
; codeLenInByte = 772
; NumSgprs: 37
; NumVgprs: 11
; NumAgprs: 0
; TotalNumVgprs: 11
; ScratchSize: 0
; MemoryBound: 0
; FloatMode: 240
; IeeeMode: 1
; LDSByteSize: 0 bytes/workgroup (compile time only)
; SGPRBlocks: 4
; VGPRBlocks: 1
; NumSGPRsForWavesPerEU: 37
; NumVGPRsForWavesPerEU: 11
; AccumOffset: 12
; Occupancy: 8
; WaveLimiterHint : 0
; COMPUTE_PGM_RSRC2:SCRATCH_EN: 0
; COMPUTE_PGM_RSRC2:USER_SGPR: 2
; COMPUTE_PGM_RSRC2:TRAP_HANDLER: 0
; COMPUTE_PGM_RSRC2:TGID_X_EN: 1
; COMPUTE_PGM_RSRC2:TGID_Y_EN: 0
; COMPUTE_PGM_RSRC2:TGID_Z_EN: 0
; COMPUTE_PGM_RSRC2:TIDIG_COMP_CNT: 0
; COMPUTE_PGM_RSRC3_GFX90A:ACCUM_OFFSET: 2
; COMPUTE_PGM_RSRC3_GFX90A:TG_SPLIT: 0
	.section	.text._ZN5aiter30swiglu_act_and_mul_bias_kernelIfDF16_sfLi16EEEvPT0_PKT_PKT1_PKT2_il,"axG",@progbits,_ZN5aiter30swiglu_act_and_mul_bias_kernelIfDF16_sfLi16EEEvPT0_PKT_PKT1_PKT2_il,comdat
	.protected	_ZN5aiter30swiglu_act_and_mul_bias_kernelIfDF16_sfLi16EEEvPT0_PKT_PKT1_PKT2_il ; -- Begin function _ZN5aiter30swiglu_act_and_mul_bias_kernelIfDF16_sfLi16EEEvPT0_PKT_PKT1_PKT2_il
	.globl	_ZN5aiter30swiglu_act_and_mul_bias_kernelIfDF16_sfLi16EEEvPT0_PKT_PKT1_PKT2_il
	.p2align	8
	.type	_ZN5aiter30swiglu_act_and_mul_bias_kernelIfDF16_sfLi16EEEvPT0_PKT_PKT1_PKT2_il,@function
_ZN5aiter30swiglu_act_and_mul_bias_kernelIfDF16_sfLi16EEEvPT0_PKT_PKT1_PKT2_il: ; @_ZN5aiter30swiglu_act_and_mul_bias_kernelIfDF16_sfLi16EEEvPT0_PKT_PKT1_PKT2_il
; %bb.0:
	s_load_dwordx2 s[4:5], s[0:1], 0x10
	s_load_dword s64, s[0:1], 0x20
	s_load_dwordx2 s[8:9], s[0:1], 0x28
	s_mov_b32 s3, 0
	s_lshl_b64 s[6:7], s[2:3], 1
	s_waitcnt lgkmcnt(0)
	s_add_u32 s4, s4, s6
	s_addc_u32 s5, s5, s7
	v_mov_b32_e32 v1, 0
	global_load_ushort v1, v1, s[4:5]
	s_load_dwordx2 s[10:11], s[0:1], 0x0
	s_ashr_i32 s65, s64, 31
	s_mul_hi_u32 s3, s64, s2
	s_mul_i32 s5, s65, s2
	s_mul_i32 s4, s64, s2
	s_add_i32 s5, s3, s5
	v_mov_b64_e32 v[2:3], s[8:9]
	s_lshl_b64 s[8:9], s[4:5], 1
	s_mov_b64 s[6:7], -1
	v_lshlrev_b32_e32 v40, 4, v0
	s_waitcnt vmcnt(0)
	v_readfirstlane_b32 s3, v1
	s_sext_i32_i16 s4, s3
	s_ashr_i32 s5, s4, 31
	s_waitcnt lgkmcnt(0)
	s_add_u32 s44, s10, s8
	v_cmp_lt_i64_e32 vcc, s[4:5], v[2:3]
	s_addc_u32 s3, s11, s9
	s_add_i32 s5, s64, 1
	s_lshr_b32 s8, s5, 31
	s_add_i32 s5, s5, s8
	s_and_b32 s45, s3, 0xffff
	s_lshl_b32 s3, s5, 1
	s_and_b32 s46, s3, -4
	s_cmp_gt_i32 s4, -1
	s_cselect_b64 s[8:9], -1, 0
	s_and_b64 s[8:9], s[8:9], vcc
	s_and_b64 vcc, exec, s[8:9]
	s_cbranch_vccnz .LBB276_5
; %bb.1:
	v_cmp_gt_i32_e32 vcc, s64, v40
	s_and_saveexec_b64 s[6:7], vcc
	s_cbranch_execz .LBB276_4
; %bb.2:
	s_load_dword s3, s[0:1], 0x3c
	s_mov_b32 s9, 0
	s_mov_b32 s12, s9
	;; [unrolled: 1-line block ×3, first 2 shown]
	v_mov_b32_e32 v41, 0
	s_waitcnt lgkmcnt(0)
	s_and_b32 s3, s3, 0xffff
	s_mov_b32 s14, s9
	s_mov_b32 s15, s9
	v_mov_b64_e32 v[2:3], s[12:13]
	v_lshlrev_b32_e32 v1, 5, v0
	s_lshl_b32 s8, s3, 4
	s_lshl_b32 s3, s3, 5
	s_mov_b64 s[10:11], 0
	s_mov_b32 s47, 0x20000
	v_mov_b64_e32 v[4:5], s[14:15]
	v_mov_b64_e32 v[6:7], v[40:41]
.LBB276_3:                              ; =>This Inner Loop Header: Depth=1
	v_lshl_add_u64 v[6:7], s[8:9], 0, v[6:7]
	v_cmp_le_i64_e32 vcc, s[64:65], v[6:7]
	buffer_store_dwordx4 v[2:5], v1, s[44:47], 0 offen
	buffer_store_dwordx4 v[2:5], v1, s[44:47], 16 offen
	s_or_b64 s[10:11], vcc, s[10:11]
	v_add_u32_e32 v1, s3, v1
	s_andn2_b64 exec, exec, s[10:11]
	s_cbranch_execnz .LBB276_3
.LBB276_4:
	s_or_b64 exec, exec, s[6:7]
	s_mov_b64 s[6:7], 0
.LBB276_5:
	s_andn2_b64 vcc, exec, s[6:7]
	s_cbranch_vccnz .LBB276_9
; %bb.6:
	v_cmp_gt_i32_e32 vcc, s64, v40
	s_and_saveexec_b64 s[6:7], vcc
	s_cbranch_execz .LBB276_9
; %bb.7:
	s_load_dwordx2 s[6:7], s[0:1], 0x8
	s_load_dwordx2 s[8:9], s[0:1], 0x18
	s_mul_hi_i32 s5, s64, s4
	s_mul_i32 s4, s64, s4
	s_lshl_b32 s50, s64, 2
	s_lshl_b64 s[4:5], s[4:5], 3
	s_waitcnt lgkmcnt(0)
	s_add_u32 s48, s8, s4
	s_load_dword s10, s[0:1], 0x3c
	s_addc_u32 s3, s9, s5
	s_lshl_b64 s[0:1], s[64:65], 2
	s_add_u32 s52, s48, s0
	s_addc_u32 s4, s3, s1
	s_and_b32 s49, s3, 0xffff
	s_and_b32 s53, s4, 0xffff
	s_mul_i32 s3, s2, s65
	s_mul_hi_u32 s4, s2, s64
	s_add_i32 s3, s4, s3
	s_mul_i32 s2, s2, s64
	s_lshl_b64 s[2:3], s[2:3], 3
	s_add_u32 s56, s6, s2
	s_addc_u32 s2, s7, s3
	s_add_u32 s60, s56, s0
	s_addc_u32 s0, s2, s1
	s_mov_b32 s47, 0x20000
	s_and_b32 s61, s0, 0xffff
	s_waitcnt lgkmcnt(0)
	s_and_b32 s0, s10, 0xffff
	s_mov_b32 s51, s47
	s_and_b32 s57, s2, 0xffff
	s_mov_b32 s67, 0
	v_mov_b32_e32 v41, 0
	s_lshl_b32 s66, s0, 4
	v_lshlrev_b32_e32 v50, 5, v0
	s_lshl_b32 s33, s0, 5
	v_lshlrev_b32_e32 v51, 6, v0
	s_lshl_b32 s70, s0, 6
	s_mov_b64 s[68:69], 0
	s_mov_b32 s58, s50
	s_mov_b32 s59, s47
	;; [unrolled: 1-line block ×5, first 2 shown]
	v_mov_b32_e32 v52, 0x7f800000
	s_mov_b32 s74, 0xc0e00000
	v_mov_b32_e32 v53, 0x40e00000
	s_mov_b32 s62, s50
	s_mov_b32 s63, s47
.LBB276_8:                              ; =>This Inner Loop Header: Depth=1
	buffer_load_dwordx4 v[0:3], v51, s[56:59], 0 offen
	buffer_load_dwordx4 v[44:47], v51, s[48:51], 0 offen
	;; [unrolled: 1-line block ×11, first 2 shown]
	s_mov_b32 s54, s50
	s_mov_b32 s55, s51
	buffer_load_dwordx4 v[54:57], v51, s[52:55], 32 offen
	v_lshl_add_u64 v[40:41], s[66:67], 0, v[40:41]
	v_cmp_le_i64_e64 s[40:41], s[64:65], v[40:41]
	s_or_b64 s[68:69], s[40:41], s[68:69]
	s_waitcnt vmcnt(10)
	v_pk_add_f32 v[42:43], v[2:3], v[46:47]
	v_pk_add_f32 v[44:45], v[0:1], v[44:45]
	s_waitcnt vmcnt(8)
	v_pk_add_f32 v[38:39], v[34:35], v[38:39]
	v_pk_add_f32 v[36:37], v[32:33], v[36:37]
	buffer_load_dwordx4 v[32:35], v51, s[52:55], 0 offen
	buffer_load_dwordx4 v[0:3], v51, s[60:63], 48 offen
	s_waitcnt vmcnt(7)
	v_pk_add_f32 v[30:31], v[26:27], v[30:31]
	v_pk_add_f32 v[46:47], v[24:25], v[28:29]
	buffer_load_dwordx4 v[24:27], v51, s[52:55], 16 offen
	v_min_f32_e32 v28, 0x40e00000, v44
	s_waitcnt vmcnt(4)
	v_pk_add_f32 v[48:49], v[14:15], v[22:23]
	v_pk_add_f32 v[58:59], v[12:13], v[20:21]
	v_min_f32_e32 v29, 0x40e00000, v45
	v_min_f32_e32 v14, 0x40e00000, v36
	v_mul_f32_e32 v36, 0xbfd9db23, v29
	v_min_f32_e32 v12, 0x40e00000, v42
	v_cmp_ngt_f32_e64 s[12:13], s72, v36
	v_cmp_nlt_f32_e64 s[14:15], s73, v36
	v_min_f32_e32 v13, 0x40e00000, v43
	v_mul_f32_e32 v44, 0xbfd9db23, v13
	v_min_f32_e32 v15, 0x40e00000, v37
	v_mul_f32_e32 v37, 0x3fb8aa3b, v44
	v_cmp_ngt_f32_e64 s[36:37], s72, v44
	v_cmp_nlt_f32_e64 s[0:1], s73, v44
	v_mul_f32_e32 v45, 0xbfd9db23, v14
	v_cmp_ngt_f32_e64 s[28:29], s72, v45
	v_cmp_nlt_f32_e64 s[2:3], s73, v45
	s_waitcnt vmcnt(2)
	v_pk_add_f32 v[18:19], v[18:19], v[34:35]
	v_pk_add_f32 v[16:17], v[16:17], v[32:33]
	buffer_load_dwordx4 v[32:35], v51, s[52:55], 48 offen
	v_pk_add_f32 v[22:23], v[4:5], v[54:55]
	s_waitcnt vmcnt(1)
	v_pk_add_f32 v[20:21], v[10:11], v[26:27]
	v_pk_add_f32 v[26:27], v[8:9], v[24:25]
	v_min_f32_e32 v5, 0x40e00000, v31
	v_min_f32_e32 v4, 0x40e00000, v30
	;; [unrolled: 1-line block ×4, first 2 shown]
	v_pk_add_f32 v[24:25], v[6:7], v[56:57]
	v_mul_f32_e32 v46, 0xbfd9db23, v15
	v_fma_f32 v56, v44, s71, -v37
	v_min_f32_e32 v9, 0x40e00000, v39
	v_fmac_f32_e32 v56, 0x32a5705f, v44
	v_mul_f32_e32 v44, 0xbfd9db23, v11
	v_min_f32_e32 v6, 0x40e00000, v58
	v_mul_f32_e32 v58, 0xbfd9db23, v9
	v_min_f32_e32 v8, 0x40e00000, v38
	v_cmp_ngt_f32_e64 s[30:31], s72, v46
	v_cmp_nlt_f32_e64 s[4:5], s73, v46
	v_mul_f32_e32 v47, 0xbfd9db23, v8
	v_cmp_ngt_f32_e64 s[24:25], s72, v44
	v_mul_f32_e32 v38, 0xbfd9db23, v12
	v_cmp_ngt_f32_e64 s[34:35], s72, v58
	v_min_f32_e32 v7, 0x40e00000, v59
	v_mul_f32_e32 v59, 0xbfd9db23, v10
	v_mul_f32_e32 v39, 0x3fb8aa3b, v38
	v_cmp_ngt_f32_e64 s[26:27], s72, v47
	v_cmp_nlt_f32_e64 s[6:7], s73, v47
	v_fma_f32 v57, v38, s71, -v39
	v_cmp_ngt_f32_e64 s[38:39], s72, v38
	v_cmp_nlt_f32_e32 vcc, s73, v38
	v_fmac_f32_e32 v57, 0x32a5705f, v38
	v_cmp_ngt_f32_e64 s[18:19], s72, v59
	v_med3_f32 v21, v21, s74, v53
	v_med3_f32 v20, v20, s74, v53
	;; [unrolled: 1-line block ×6, first 2 shown]
	v_pk_add_f32 v[20:21], v[20:21], 1.0 op_sel_hi:[1,0]
	v_pk_add_f32 v[22:23], v[22:23], 1.0 op_sel_hi:[1,0]
	;; [unrolled: 1-line block ×3, first 2 shown]
	v_add_u32_e32 v51, s70, v51
	s_waitcnt vmcnt(0)
	v_pk_add_f32 v[30:31], v[2:3], v[34:35]
	v_pk_add_f32 v[32:33], v[0:1], v[32:33]
	v_mul_f32_e32 v35, 0xbfd9db23, v28
	v_med3_f32 v2, v16, s74, v53
	v_med3_f32 v16, v18, s74, v53
	;; [unrolled: 1-line block ×4, first 2 shown]
	v_mul_f32_e32 v32, 0x3fb8aa3b, v35
	v_med3_f32 v3, v17, s74, v53
	v_med3_f32 v17, v19, s74, v53
	;; [unrolled: 1-line block ×4, first 2 shown]
	v_mul_f32_e32 v33, 0x3fb8aa3b, v36
	v_fma_f32 v42, v35, s71, -v32
	v_cmp_ngt_f32_e64 s[8:9], s72, v35
	v_cmp_nlt_f32_e64 s[10:11], s73, v35
	v_fmac_f32_e32 v42, 0x32a5705f, v35
	v_fma_f32 v35, v36, s71, -v33
	v_fmac_f32_e32 v35, 0x32a5705f, v36
	v_rndne_f32_e32 v36, v32
	v_sub_f32_e32 v32, v32, v36
	v_add_f32_e32 v32, v32, v42
	v_rndne_f32_e32 v42, v33
	v_sub_f32_e32 v33, v33, v42
	v_add_f32_e32 v43, v33, v35
	v_cvt_i32_f32_e32 v33, v36
	v_exp_f32_e32 v32, v32
	v_cvt_i32_f32_e32 v36, v42
	v_exp_f32_e32 v42, v43
	v_mul_f32_e32 v35, 0x3fb8aa3b, v46
	v_ldexp_f32 v32, v32, v33
	v_cndmask_b32_e64 v32, 0, v32, s[8:9]
	v_ldexp_f32 v36, v42, v36
	v_cndmask_b32_e64 v36, 0, v36, s[12:13]
	v_cndmask_b32_e64 v32, v52, v32, s[10:11]
	;; [unrolled: 1-line block ×3, first 2 shown]
	v_add_f32_e32 v32, 1.0, v32
	v_add_f32_e32 v36, 1.0, v36
	v_rcp_f32_e32 v42, v32
	v_rcp_f32_e32 v43, v36
	v_fma_f32 v54, v46, s71, -v35
	v_mul_f32_e32 v34, 0x3fb8aa3b, v45
	v_mul_f32_e32 v36, 0x3fb8aa3b, v58
	v_pk_mul_f32 v[28:29], v[28:29], v[42:43]
	v_mul_f32_e32 v42, 0x3fb8aa3b, v44
	v_fmac_f32_e32 v54, 0x32a5705f, v46
	v_fma_f32 v43, v44, s71, -v42
	v_mul_f32_e32 v46, 0xbfd9db23, v4
	v_min_f32_e32 v0, 0x40e00000, v48
	v_fma_f32 v55, v45, s71, -v34
	v_fma_f32 v48, v58, s71, -v36
	v_cmp_nlt_f32_e64 s[12:13], s73, v44
	v_fmac_f32_e32 v43, 0x32a5705f, v44
	v_mul_f32_e32 v44, 0x3fb8aa3b, v46
	v_mul_f32_e32 v33, 0x3fb8aa3b, v47
	v_cmp_nlt_f32_e64 s[8:9], s73, v58
	v_fmac_f32_e32 v55, 0x32a5705f, v45
	v_fmac_f32_e32 v48, 0x32a5705f, v58
	v_fma_f32 v45, v46, s71, -v44
	v_mul_f32_e32 v58, 0xbfd9db23, v5
	v_min_f32_e32 v1, 0x40e00000, v49
	v_fma_f32 v49, v47, s71, -v33
	v_cmp_ngt_f32_e64 s[22:23], s72, v46
	v_cmp_nlt_f32_e64 s[14:15], s73, v46
	v_fmac_f32_e32 v45, 0x32a5705f, v46
	v_mul_f32_e32 v46, 0x3fb8aa3b, v58
	v_mul_f32_e32 v32, 0x3fb8aa3b, v59
	v_fmac_f32_e32 v49, 0x32a5705f, v47
	v_fma_f32 v47, v58, s71, -v46
	v_fma_f32 v38, v59, s71, -v32
	v_cmp_ngt_f32_e64 s[20:21], s72, v58
	v_cmp_nlt_f32_e64 s[16:17], s73, v58
	v_fmac_f32_e32 v47, 0x32a5705f, v58
	v_mul_f32_e32 v58, 0xbfd9db23, v6
	v_cmp_nlt_f32_e64 s[10:11], s73, v59
	v_fmac_f32_e32 v38, 0x32a5705f, v59
	v_mul_f32_e32 v59, 0x3fb8aa3b, v58
	v_fma_f32 v60, v58, s71, -v59
	v_cmp_ngt_f32_e64 s[42:43], s72, v58
	v_cmp_nlt_f32_e64 s[40:41], s73, v58
	v_fmac_f32_e32 v60, 0x32a5705f, v58
	v_rndne_f32_e32 v58, v39
	v_sub_f32_e32 v39, v39, v58
	v_add_f32_e32 v39, v39, v57
	v_cvt_i32_f32_e32 v57, v58
	v_rndne_f32_e32 v58, v37
	v_sub_f32_e32 v37, v37, v58
	v_add_f32_e32 v37, v37, v56
	v_cvt_i32_f32_e32 v56, v58
	v_exp_f32_e32 v37, v37
	v_exp_f32_e32 v39, v39
	v_med3_f32 v31, v31, s74, v53
	v_med3_f32 v30, v30, s74, v53
	v_ldexp_f32 v37, v37, v56
	v_mul_f32_e32 v56, 0xbfd9db23, v7
	v_ldexp_f32 v39, v39, v57
	v_mul_f32_e32 v57, 0x3fb8aa3b, v56
	v_fma_f32 v58, v56, s71, -v57
	v_cndmask_b32_e64 v39, 0, v39, s[38:39]
	v_cndmask_b32_e64 v37, 0, v37, s[36:37]
	v_cmp_ngt_f32_e64 s[38:39], s72, v56
	v_cmp_nlt_f32_e64 s[36:37], s73, v56
	v_fmac_f32_e32 v58, 0x32a5705f, v56
	v_rndne_f32_e32 v56, v34
	v_sub_f32_e32 v34, v34, v56
	v_add_f32_e32 v34, v34, v55
	v_cvt_i32_f32_e32 v55, v56
	v_rndne_f32_e32 v56, v35
	v_sub_f32_e32 v35, v35, v56
	v_add_f32_e32 v35, v35, v54
	v_cvt_i32_f32_e32 v54, v56
	v_exp_f32_e32 v35, v35
	v_exp_f32_e32 v34, v34
	v_cndmask_b32_e32 v39, v52, v39, vcc
	v_cndmask_b32_e64 v37, v52, v37, s[0:1]
	v_ldexp_f32 v35, v35, v54
	v_mul_f32_e32 v54, 0xbfd9db23, v0
	v_ldexp_f32 v34, v34, v55
	v_mul_f32_e32 v55, 0x3fb8aa3b, v54
	v_fma_f32 v56, v54, s71, -v55
	v_cndmask_b32_e64 v34, 0, v34, s[28:29]
	v_cndmask_b32_e64 v35, 0, v35, s[30:31]
	v_cmp_ngt_f32_e64 s[28:29], s72, v54
	v_cmp_nlt_f32_e64 s[30:31], s73, v54
	v_fmac_f32_e32 v56, 0x32a5705f, v54
	v_rndne_f32_e32 v54, v33
	v_sub_f32_e32 v33, v33, v54
	v_add_f32_e32 v33, v33, v49
	v_cvt_i32_f32_e32 v49, v54
	v_rndne_f32_e32 v54, v36
	v_sub_f32_e32 v36, v36, v54
	v_add_f32_e32 v36, v36, v48
	v_cvt_i32_f32_e32 v48, v54
	v_exp_f32_e32 v36, v36
	v_exp_f32_e32 v33, v33
	v_cndmask_b32_e64 v34, v52, v34, s[2:3]
	v_cndmask_b32_e64 v35, v52, v35, s[4:5]
	v_ldexp_f32 v36, v36, v48
	v_mul_f32_e32 v48, 0xbfd9db23, v1
	v_ldexp_f32 v33, v33, v49
	v_mul_f32_e32 v49, 0x3fb8aa3b, v48
	v_fma_f32 v54, v48, s71, -v49
	v_cndmask_b32_e64 v33, 0, v33, s[26:27]
	v_cndmask_b32_e64 v36, 0, v36, s[34:35]
	v_cmp_ngt_f32_e64 s[26:27], s72, v48
	v_cmp_nlt_f32_e64 s[34:35], s73, v48
	v_fmac_f32_e32 v54, 0x32a5705f, v48
	v_rndne_f32_e32 v48, v32
	v_sub_f32_e32 v32, v32, v48
	v_add_f32_e32 v32, v32, v38
	v_rndne_f32_e32 v38, v42
	v_sub_f32_e32 v42, v42, v38
	v_add_f32_e32 v42, v42, v43
	v_cvt_i32_f32_e32 v38, v38
	v_exp_f32_e32 v42, v42
	v_rndne_f32_e32 v43, v44
	v_sub_f32_e32 v44, v44, v43
	v_add_f32_e32 v44, v44, v45
	v_ldexp_f32 v38, v42, v38
	v_cvt_i32_f32_e32 v42, v43
	v_exp_f32_e32 v43, v44
	v_rndne_f32_e32 v45, v46
	v_sub_f32_e32 v46, v46, v45
	v_add_f32_e32 v46, v46, v47
	v_ldexp_f32 v42, v43, v42
	;; [unrolled: 6-line block ×4, first 2 shown]
	v_cvt_i32_f32_e32 v45, v60
	v_exp_f32_e32 v46, v57
	v_rndne_f32_e32 v58, v55
	v_sub_f32_e32 v55, v55, v58
	v_cvt_i32_f32_e32 v48, v48
	v_exp_f32_e32 v32, v32
	v_add_f32_e32 v55, v55, v56
	v_ldexp_f32 v45, v46, v45
	v_cvt_i32_f32_e32 v46, v58
	v_exp_f32_e32 v47, v55
	v_rndne_f32_e32 v56, v49
	v_ldexp_f32 v32, v32, v48
	v_sub_f32_e32 v48, v49, v56
	v_add_f32_e32 v48, v48, v54
	v_ldexp_f32 v46, v47, v46
	v_cvt_i32_f32_e32 v47, v56
	v_exp_f32_e32 v48, v48
	v_cndmask_b32_e64 v32, 0, v32, s[18:19]
	v_cndmask_b32_e64 v38, 0, v38, s[24:25]
	;; [unrolled: 1-line block ×3, first 2 shown]
	v_ldexp_f32 v47, v48, v47
	v_cndmask_b32_e64 v43, 0, v43, s[20:21]
	v_cndmask_b32_e64 v44, 0, v44, s[42:43]
	;; [unrolled: 1-line block ×15, first 2 shown]
	v_add_f32_e32 v39, 1.0, v39
	v_add_f32_e32 v37, 1.0, v37
	;; [unrolled: 1-line block ×14, first 2 shown]
	v_rcp_f32_e32 v32, v39
	v_rcp_f32_e32 v33, v37
	v_rcp_f32_e32 v34, v34
	v_rcp_f32_e32 v35, v35
	v_rcp_f32_e32 v36, v48
	v_rcp_f32_e32 v37, v49
	v_rcp_f32_e32 v38, v54
	v_rcp_f32_e32 v39, v55
	v_rcp_f32_e32 v42, v42
	v_rcp_f32_e32 v43, v43
	v_rcp_f32_e32 v44, v44
	v_rcp_f32_e32 v45, v45
	v_rcp_f32_e32 v46, v46
	v_rcp_f32_e32 v47, v47
	v_pk_add_f32 v[2:3], v[2:3], 1.0 op_sel_hi:[1,0]
	v_pk_add_f32 v[16:17], v[16:17], 1.0 op_sel_hi:[1,0]
	v_pk_add_f32 v[18:19], v[18:19], 1.0 op_sel_hi:[1,0]
	v_pk_mul_f32 v[12:13], v[12:13], v[32:33]
	v_pk_mul_f32 v[14:15], v[14:15], v[34:35]
	;; [unrolled: 1-line block ×3, first 2 shown]
	v_pk_add_f32 v[26:27], v[26:27], 1.0 op_sel_hi:[1,0]
	v_pk_add_f32 v[30:31], v[30:31], 1.0 op_sel_hi:[1,0]
	v_pk_mul_f32 v[10:11], v[10:11], v[38:39]
	v_pk_mul_f32 v[4:5], v[4:5], v[42:43]
	;; [unrolled: 1-line block ×12, first 2 shown]
	v_cvt_f16_f32_e32 v16, v3
	v_cvt_f16_f32_e32 v17, v2
	;; [unrolled: 1-line block ×16, first 2 shown]
	v_pack_b32_f16 v3, v8, v3
	v_pack_b32_f16 v1, v12, v2
	;; [unrolled: 1-line block ×8, first 2 shown]
	buffer_store_dwordx4 v[0:3], v50, s[44:47], 0 offen
	buffer_store_dwordx4 v[4:7], v50, s[44:47], 16 offen
	v_add_u32_e32 v50, s33, v50
	s_andn2_b64 exec, exec, s[68:69]
	s_cbranch_execnz .LBB276_8
.LBB276_9:
	s_endpgm
	.section	.rodata,"a",@progbits
	.p2align	6, 0x0
	.amdhsa_kernel _ZN5aiter30swiglu_act_and_mul_bias_kernelIfDF16_sfLi16EEEvPT0_PKT_PKT1_PKT2_il
		.amdhsa_group_segment_fixed_size 0
		.amdhsa_private_segment_fixed_size 0
		.amdhsa_kernarg_size 304
		.amdhsa_user_sgpr_count 2
		.amdhsa_user_sgpr_dispatch_ptr 0
		.amdhsa_user_sgpr_queue_ptr 0
		.amdhsa_user_sgpr_kernarg_segment_ptr 1
		.amdhsa_user_sgpr_dispatch_id 0
		.amdhsa_user_sgpr_kernarg_preload_length 0
		.amdhsa_user_sgpr_kernarg_preload_offset 0
		.amdhsa_user_sgpr_private_segment_size 0
		.amdhsa_uses_dynamic_stack 0
		.amdhsa_enable_private_segment 0
		.amdhsa_system_sgpr_workgroup_id_x 1
		.amdhsa_system_sgpr_workgroup_id_y 0
		.amdhsa_system_sgpr_workgroup_id_z 0
		.amdhsa_system_sgpr_workgroup_info 0
		.amdhsa_system_vgpr_workitem_id 0
		.amdhsa_next_free_vgpr 61
		.amdhsa_next_free_sgpr 75
		.amdhsa_accum_offset 64
		.amdhsa_reserve_vcc 1
		.amdhsa_float_round_mode_32 0
		.amdhsa_float_round_mode_16_64 0
		.amdhsa_float_denorm_mode_32 3
		.amdhsa_float_denorm_mode_16_64 3
		.amdhsa_dx10_clamp 1
		.amdhsa_ieee_mode 1
		.amdhsa_fp16_overflow 0
		.amdhsa_tg_split 0
		.amdhsa_exception_fp_ieee_invalid_op 0
		.amdhsa_exception_fp_denorm_src 0
		.amdhsa_exception_fp_ieee_div_zero 0
		.amdhsa_exception_fp_ieee_overflow 0
		.amdhsa_exception_fp_ieee_underflow 0
		.amdhsa_exception_fp_ieee_inexact 0
		.amdhsa_exception_int_div_zero 0
	.end_amdhsa_kernel
	.section	.text._ZN5aiter30swiglu_act_and_mul_bias_kernelIfDF16_sfLi16EEEvPT0_PKT_PKT1_PKT2_il,"axG",@progbits,_ZN5aiter30swiglu_act_and_mul_bias_kernelIfDF16_sfLi16EEEvPT0_PKT_PKT1_PKT2_il,comdat
.Lfunc_end276:
	.size	_ZN5aiter30swiglu_act_and_mul_bias_kernelIfDF16_sfLi16EEEvPT0_PKT_PKT1_PKT2_il, .Lfunc_end276-_ZN5aiter30swiglu_act_and_mul_bias_kernelIfDF16_sfLi16EEEvPT0_PKT_PKT1_PKT2_il
                                        ; -- End function
	.section	.AMDGPU.csdata,"",@progbits
; Kernel info:
; codeLenInByte = 3112
; NumSgprs: 81
; NumVgprs: 61
; NumAgprs: 0
; TotalNumVgprs: 61
; ScratchSize: 0
; MemoryBound: 0
; FloatMode: 240
; IeeeMode: 1
; LDSByteSize: 0 bytes/workgroup (compile time only)
; SGPRBlocks: 10
; VGPRBlocks: 7
; NumSGPRsForWavesPerEU: 81
; NumVGPRsForWavesPerEU: 61
; AccumOffset: 64
; Occupancy: 8
; WaveLimiterHint : 0
; COMPUTE_PGM_RSRC2:SCRATCH_EN: 0
; COMPUTE_PGM_RSRC2:USER_SGPR: 2
; COMPUTE_PGM_RSRC2:TRAP_HANDLER: 0
; COMPUTE_PGM_RSRC2:TGID_X_EN: 1
; COMPUTE_PGM_RSRC2:TGID_Y_EN: 0
; COMPUTE_PGM_RSRC2:TGID_Z_EN: 0
; COMPUTE_PGM_RSRC2:TIDIG_COMP_CNT: 0
; COMPUTE_PGM_RSRC3_GFX90A:ACCUM_OFFSET: 15
; COMPUTE_PGM_RSRC3_GFX90A:TG_SPLIT: 0
	.section	.text._ZN5aiter30swiglu_act_and_mul_bias_kernelIfDF16_sfLi8EEEvPT0_PKT_PKT1_PKT2_il,"axG",@progbits,_ZN5aiter30swiglu_act_and_mul_bias_kernelIfDF16_sfLi8EEEvPT0_PKT_PKT1_PKT2_il,comdat
	.protected	_ZN5aiter30swiglu_act_and_mul_bias_kernelIfDF16_sfLi8EEEvPT0_PKT_PKT1_PKT2_il ; -- Begin function _ZN5aiter30swiglu_act_and_mul_bias_kernelIfDF16_sfLi8EEEvPT0_PKT_PKT1_PKT2_il
	.globl	_ZN5aiter30swiglu_act_and_mul_bias_kernelIfDF16_sfLi8EEEvPT0_PKT_PKT1_PKT2_il
	.p2align	8
	.type	_ZN5aiter30swiglu_act_and_mul_bias_kernelIfDF16_sfLi8EEEvPT0_PKT_PKT1_PKT2_il,@function
_ZN5aiter30swiglu_act_and_mul_bias_kernelIfDF16_sfLi8EEEvPT0_PKT_PKT1_PKT2_il: ; @_ZN5aiter30swiglu_act_and_mul_bias_kernelIfDF16_sfLi8EEEvPT0_PKT_PKT1_PKT2_il
; %bb.0:
	s_load_dwordx2 s[4:5], s[0:1], 0x10
	s_load_dword s14, s[0:1], 0x20
	s_load_dwordx2 s[8:9], s[0:1], 0x28
	s_mov_b32 s3, 0
	s_lshl_b64 s[6:7], s[2:3], 1
	s_waitcnt lgkmcnt(0)
	s_add_u32 s4, s4, s6
	s_addc_u32 s5, s5, s7
	v_mov_b32_e32 v1, 0
	global_load_ushort v1, v1, s[4:5]
	s_load_dwordx2 s[10:11], s[0:1], 0x0
	s_ashr_i32 s15, s14, 31
	s_mul_hi_u32 s3, s14, s2
	s_mul_i32 s5, s15, s2
	s_mul_i32 s4, s14, s2
	s_add_i32 s5, s3, s5
	v_mov_b64_e32 v[2:3], s[8:9]
	s_lshl_b64 s[8:9], s[4:5], 1
	s_mov_b64 s[6:7], -1
	v_lshlrev_b32_e32 v24, 3, v0
	s_waitcnt vmcnt(0)
	v_readfirstlane_b32 s3, v1
	s_sext_i32_i16 s4, s3
	s_ashr_i32 s5, s4, 31
	s_waitcnt lgkmcnt(0)
	s_add_u32 s16, s10, s8
	v_cmp_lt_i64_e32 vcc, s[4:5], v[2:3]
	s_addc_u32 s3, s11, s9
	s_add_i32 s5, s14, 1
	s_lshr_b32 s8, s5, 31
	s_add_i32 s5, s5, s8
	s_and_b32 s17, s3, 0xffff
	s_lshl_b32 s3, s5, 1
	s_and_b32 s18, s3, -4
	s_cmp_gt_i32 s4, -1
	s_cselect_b64 s[8:9], -1, 0
	s_and_b64 s[8:9], s[8:9], vcc
	s_and_b64 vcc, exec, s[8:9]
	s_cbranch_vccnz .LBB277_5
; %bb.1:
	v_cmp_gt_i32_e32 vcc, s14, v24
	s_and_saveexec_b64 s[6:7], vcc
	s_cbranch_execz .LBB277_4
; %bb.2:
	s_load_dword s3, s[0:1], 0x3c
	v_mov_b32_e32 v25, 0
	s_mov_b32 s9, 0
	v_lshlrev_b32_e32 v1, 4, v0
	s_mov_b64 s[10:11], 0
	s_waitcnt lgkmcnt(0)
	s_and_b32 s3, s3, 0xffff
	s_lshl_b32 s8, s3, 3
	s_lshl_b32 s3, s3, 4
	s_mov_b32 s19, 0x20000
	v_mov_b32_e32 v2, v25
	v_mov_b32_e32 v3, v25
	;; [unrolled: 1-line block ×4, first 2 shown]
	v_mov_b64_e32 v[6:7], v[24:25]
.LBB277_3:                              ; =>This Inner Loop Header: Depth=1
	v_lshl_add_u64 v[6:7], s[8:9], 0, v[6:7]
	v_cmp_le_i64_e32 vcc, s[14:15], v[6:7]
	buffer_store_dwordx4 v[2:5], v1, s[16:19], 0 offen
	s_or_b64 s[10:11], vcc, s[10:11]
	v_add_u32_e32 v1, s3, v1
	s_andn2_b64 exec, exec, s[10:11]
	s_cbranch_execnz .LBB277_3
.LBB277_4:
	s_or_b64 exec, exec, s[6:7]
	s_mov_b64 s[6:7], 0
.LBB277_5:
	s_andn2_b64 vcc, exec, s[6:7]
	s_cbranch_vccnz .LBB277_9
; %bb.6:
	v_cmp_gt_i32_e32 vcc, s14, v24
	s_and_saveexec_b64 s[6:7], vcc
	s_cbranch_execz .LBB277_9
; %bb.7:
	s_load_dwordx2 s[6:7], s[0:1], 0x8
	s_load_dwordx2 s[8:9], s[0:1], 0x18
	s_mul_hi_i32 s5, s14, s4
	s_mul_i32 s4, s14, s4
	s_lshl_b32 s22, s14, 2
	s_lshl_b64 s[4:5], s[4:5], 3
	s_waitcnt lgkmcnt(0)
	s_add_u32 s20, s8, s4
	s_load_dword s10, s[0:1], 0x3c
	s_addc_u32 s3, s9, s5
	s_lshl_b64 s[0:1], s[14:15], 2
	s_add_u32 s24, s20, s0
	s_addc_u32 s4, s3, s1
	s_and_b32 s21, s3, 0xffff
	s_and_b32 s25, s4, 0xffff
	s_mul_i32 s3, s2, s15
	s_mul_hi_u32 s4, s2, s14
	s_add_i32 s3, s4, s3
	s_mul_i32 s2, s2, s14
	s_lshl_b64 s[2:3], s[2:3], 3
	s_add_u32 s28, s6, s2
	s_addc_u32 s2, s7, s3
	s_add_u32 s36, s28, s0
	s_addc_u32 s0, s2, s1
	s_mov_b32 s19, 0x20000
	s_and_b32 s37, s0, 0xffff
	s_waitcnt lgkmcnt(0)
	s_and_b32 s0, s10, 0xffff
	s_mov_b32 s23, s19
	s_and_b32 s29, s2, 0xffff
	s_mov_b32 s35, 0
	v_mov_b32_e32 v25, 0
	s_lshl_b32 s34, s0, 3
	v_lshlrev_b32_e32 v26, 4, v0
	s_lshl_b32 s33, s0, 4
	v_lshlrev_b32_e32 v27, 5, v0
	s_lshl_b32 s42, s0, 5
	s_mov_b64 s[40:41], 0
	s_mov_b32 s30, s22
	s_mov_b32 s31, s19
	s_mov_b32 s43, 0x3fb8aa3b
	s_mov_b32 s44, 0xc2ce8ed0
	s_mov_b32 s45, 0x42b17218
	v_mov_b32_e32 v28, 0x7f800000
	s_mov_b32 s46, 0xc0e00000
	v_mov_b32_e32 v29, 0x40e00000
	s_mov_b32 s38, s22
	s_mov_b32 s39, s19
.LBB277_8:                              ; =>This Inner Loop Header: Depth=1
	buffer_load_dwordx4 v[0:3], v27, s[28:31], 0 offen
	buffer_load_dwordx4 v[4:7], v27, s[28:31], 16 offen
	;; [unrolled: 1-line block ×6, first 2 shown]
	s_mov_b32 s26, s22
	s_mov_b32 s27, s23
	buffer_load_dwordx4 v[30:33], v27, s[24:27], 0 offen
	buffer_load_dwordx4 v[34:37], v27, s[24:27], 16 offen
	v_lshl_add_u64 v[24:25], s[34:35], 0, v[24:25]
	v_cmp_le_i64_e32 vcc, s[14:15], v[24:25]
	s_or_b64 s[40:41], vcc, s[40:41]
	v_add_u32_e32 v27, s42, v27
	s_waitcnt vmcnt(5)
	v_pk_add_f32 v[2:3], v[2:3], v[18:19]
	v_pk_add_f32 v[0:1], v[0:1], v[16:17]
	v_min_f32_e32 v3, 0x40e00000, v3
	s_waitcnt vmcnt(2)
	v_pk_add_f32 v[6:7], v[6:7], v[22:23]
	v_pk_add_f32 v[4:5], v[4:5], v[20:21]
	v_min_f32_e32 v1, 0x40e00000, v1
	v_min_f32_e32 v0, 0x40e00000, v0
	;; [unrolled: 1-line block ×7, first 2 shown]
	v_mul_f32_e32 v16, 0xbfd9db23, v0
	v_mul_f32_e32 v17, 0xbfd9db23, v1
	;; [unrolled: 1-line block ×8, first 2 shown]
	s_waitcnt vmcnt(1)
	v_pk_add_f32 v[14:15], v[14:15], v[32:33]
	v_pk_add_f32 v[12:13], v[12:13], v[30:31]
	s_waitcnt vmcnt(0)
	v_pk_add_f32 v[10:11], v[10:11], v[36:37]
	v_pk_add_f32 v[8:9], v[8:9], v[34:35]
	v_mul_f32_e32 v30, 0x3fb8aa3b, v16
	v_mul_f32_e32 v31, 0x3fb8aa3b, v17
	;; [unrolled: 1-line block ×8, first 2 shown]
	v_fma_f32 v38, v16, s43, -v30
	v_rndne_f32_e32 v39, v30
	v_fma_f32 v40, v17, s43, -v31
	v_rndne_f32_e32 v41, v31
	;; [unrolled: 2-line block ×8, first 2 shown]
	v_fmac_f32_e32 v38, 0x32a5705f, v16
	v_sub_f32_e32 v30, v30, v39
	v_fmac_f32_e32 v40, 0x32a5705f, v17
	v_sub_f32_e32 v31, v31, v41
	v_fmac_f32_e32 v42, 0x32a5705f, v18
	v_sub_f32_e32 v32, v32, v43
	v_fmac_f32_e32 v44, 0x32a5705f, v19
	v_sub_f32_e32 v33, v33, v45
	v_fmac_f32_e32 v46, 0x32a5705f, v20
	v_sub_f32_e32 v34, v34, v47
	v_fmac_f32_e32 v48, 0x32a5705f, v21
	v_sub_f32_e32 v35, v35, v49
	v_fmac_f32_e32 v50, 0x32a5705f, v22
	v_sub_f32_e32 v36, v36, v51
	v_fmac_f32_e32 v52, 0x32a5705f, v23
	v_sub_f32_e32 v37, v37, v53
	v_add_f32_e32 v30, v30, v38
	v_add_f32_e32 v31, v31, v40
	;; [unrolled: 1-line block ×8, first 2 shown]
	v_cvt_i32_f32_e32 v39, v39
	v_cvt_i32_f32_e32 v41, v41
	;; [unrolled: 1-line block ×8, first 2 shown]
	v_exp_f32_e32 v30, v30
	v_exp_f32_e32 v31, v31
	;; [unrolled: 1-line block ×8, first 2 shown]
	v_ldexp_f32 v30, v30, v39
	v_ldexp_f32 v31, v31, v41
	v_cmp_ngt_f32_e32 vcc, s44, v17
	v_ldexp_f32 v32, v32, v43
	v_cmp_ngt_f32_e64 s[0:1], s44, v18
	v_ldexp_f32 v33, v33, v45
	v_cmp_ngt_f32_e64 s[2:3], s44, v19
	;; [unrolled: 2-line block ×6, first 2 shown]
	v_cmp_ngt_f32_e64 s[12:13], s44, v16
	v_cndmask_b32_e32 v31, 0, v31, vcc
	v_cmp_nlt_f32_e32 vcc, s45, v17
	v_cndmask_b32_e64 v30, 0, v30, s[12:13]
	v_cndmask_b32_e64 v17, 0, v32, s[0:1]
	v_cmp_nlt_f32_e64 s[0:1], s45, v18
	v_cndmask_b32_e64 v18, 0, v33, s[2:3]
	v_cmp_nlt_f32_e64 s[2:3], s45, v19
	;; [unrolled: 2-line block ×6, first 2 shown]
	v_cmp_nlt_f32_e64 s[12:13], s45, v16
	v_cndmask_b32_e32 v23, v28, v31, vcc
	v_cndmask_b32_e64 v17, v28, v17, s[0:1]
	v_cndmask_b32_e64 v16, v28, v30, s[12:13]
	;; [unrolled: 1-line block ×7, first 2 shown]
	v_add_f32_e32 v16, 1.0, v16
	v_add_f32_e32 v23, 1.0, v23
	;; [unrolled: 1-line block ×8, first 2 shown]
	v_rcp_f32_e32 v16, v16
	v_rcp_f32_e32 v17, v23
	;; [unrolled: 1-line block ×8, first 2 shown]
	v_med3_f32 v13, v13, s46, v29
	v_med3_f32 v12, v12, s46, v29
	;; [unrolled: 1-line block ×8, first 2 shown]
	v_pk_add_f32 v[12:13], v[12:13], 1.0 op_sel_hi:[1,0]
	v_pk_add_f32 v[14:15], v[14:15], 1.0 op_sel_hi:[1,0]
	;; [unrolled: 1-line block ×4, first 2 shown]
	v_pk_mul_f32 v[0:1], v[0:1], v[16:17]
	v_pk_mul_f32 v[2:3], v[2:3], v[18:19]
	;; [unrolled: 1-line block ×8, first 2 shown]
	v_cvt_f16_f32_e32 v8, v1
	v_cvt_f16_f32_e32 v1, v3
	;; [unrolled: 1-line block ×8, first 2 shown]
	v_pack_b32_f16 v3, v6, v3
	v_pack_b32_f16 v1, v2, v1
	;; [unrolled: 1-line block ×4, first 2 shown]
	buffer_store_dwordx4 v[0:3], v26, s[16:19], 0 offen
	v_add_u32_e32 v26, s33, v26
	s_andn2_b64 exec, exec, s[40:41]
	s_cbranch_execnz .LBB277_8
.LBB277_9:
	s_endpgm
	.section	.rodata,"a",@progbits
	.p2align	6, 0x0
	.amdhsa_kernel _ZN5aiter30swiglu_act_and_mul_bias_kernelIfDF16_sfLi8EEEvPT0_PKT_PKT1_PKT2_il
		.amdhsa_group_segment_fixed_size 0
		.amdhsa_private_segment_fixed_size 0
		.amdhsa_kernarg_size 304
		.amdhsa_user_sgpr_count 2
		.amdhsa_user_sgpr_dispatch_ptr 0
		.amdhsa_user_sgpr_queue_ptr 0
		.amdhsa_user_sgpr_kernarg_segment_ptr 1
		.amdhsa_user_sgpr_dispatch_id 0
		.amdhsa_user_sgpr_kernarg_preload_length 0
		.amdhsa_user_sgpr_kernarg_preload_offset 0
		.amdhsa_user_sgpr_private_segment_size 0
		.amdhsa_uses_dynamic_stack 0
		.amdhsa_enable_private_segment 0
		.amdhsa_system_sgpr_workgroup_id_x 1
		.amdhsa_system_sgpr_workgroup_id_y 0
		.amdhsa_system_sgpr_workgroup_id_z 0
		.amdhsa_system_sgpr_workgroup_info 0
		.amdhsa_system_vgpr_workitem_id 0
		.amdhsa_next_free_vgpr 54
		.amdhsa_next_free_sgpr 47
		.amdhsa_accum_offset 56
		.amdhsa_reserve_vcc 1
		.amdhsa_float_round_mode_32 0
		.amdhsa_float_round_mode_16_64 0
		.amdhsa_float_denorm_mode_32 3
		.amdhsa_float_denorm_mode_16_64 3
		.amdhsa_dx10_clamp 1
		.amdhsa_ieee_mode 1
		.amdhsa_fp16_overflow 0
		.amdhsa_tg_split 0
		.amdhsa_exception_fp_ieee_invalid_op 0
		.amdhsa_exception_fp_denorm_src 0
		.amdhsa_exception_fp_ieee_div_zero 0
		.amdhsa_exception_fp_ieee_overflow 0
		.amdhsa_exception_fp_ieee_underflow 0
		.amdhsa_exception_fp_ieee_inexact 0
		.amdhsa_exception_int_div_zero 0
	.end_amdhsa_kernel
	.section	.text._ZN5aiter30swiglu_act_and_mul_bias_kernelIfDF16_sfLi8EEEvPT0_PKT_PKT1_PKT2_il,"axG",@progbits,_ZN5aiter30swiglu_act_and_mul_bias_kernelIfDF16_sfLi8EEEvPT0_PKT_PKT1_PKT2_il,comdat
.Lfunc_end277:
	.size	_ZN5aiter30swiglu_act_and_mul_bias_kernelIfDF16_sfLi8EEEvPT0_PKT_PKT1_PKT2_il, .Lfunc_end277-_ZN5aiter30swiglu_act_and_mul_bias_kernelIfDF16_sfLi8EEEvPT0_PKT_PKT1_PKT2_il
                                        ; -- End function
	.section	.AMDGPU.csdata,"",@progbits
; Kernel info:
; codeLenInByte = 1848
; NumSgprs: 53
; NumVgprs: 54
; NumAgprs: 0
; TotalNumVgprs: 54
; ScratchSize: 0
; MemoryBound: 0
; FloatMode: 240
; IeeeMode: 1
; LDSByteSize: 0 bytes/workgroup (compile time only)
; SGPRBlocks: 6
; VGPRBlocks: 6
; NumSGPRsForWavesPerEU: 53
; NumVGPRsForWavesPerEU: 54
; AccumOffset: 56
; Occupancy: 8
; WaveLimiterHint : 0
; COMPUTE_PGM_RSRC2:SCRATCH_EN: 0
; COMPUTE_PGM_RSRC2:USER_SGPR: 2
; COMPUTE_PGM_RSRC2:TRAP_HANDLER: 0
; COMPUTE_PGM_RSRC2:TGID_X_EN: 1
; COMPUTE_PGM_RSRC2:TGID_Y_EN: 0
; COMPUTE_PGM_RSRC2:TGID_Z_EN: 0
; COMPUTE_PGM_RSRC2:TIDIG_COMP_CNT: 0
; COMPUTE_PGM_RSRC3_GFX90A:ACCUM_OFFSET: 13
; COMPUTE_PGM_RSRC3_GFX90A:TG_SPLIT: 0
	.section	.text._ZN5aiter30swiglu_act_and_mul_bias_kernelIfDF16_sfLi4EEEvPT0_PKT_PKT1_PKT2_il,"axG",@progbits,_ZN5aiter30swiglu_act_and_mul_bias_kernelIfDF16_sfLi4EEEvPT0_PKT_PKT1_PKT2_il,comdat
	.protected	_ZN5aiter30swiglu_act_and_mul_bias_kernelIfDF16_sfLi4EEEvPT0_PKT_PKT1_PKT2_il ; -- Begin function _ZN5aiter30swiglu_act_and_mul_bias_kernelIfDF16_sfLi4EEEvPT0_PKT_PKT1_PKT2_il
	.globl	_ZN5aiter30swiglu_act_and_mul_bias_kernelIfDF16_sfLi4EEEvPT0_PKT_PKT1_PKT2_il
	.p2align	8
	.type	_ZN5aiter30swiglu_act_and_mul_bias_kernelIfDF16_sfLi4EEEvPT0_PKT_PKT1_PKT2_il,@function
_ZN5aiter30swiglu_act_and_mul_bias_kernelIfDF16_sfLi4EEEvPT0_PKT_PKT1_PKT2_il: ; @_ZN5aiter30swiglu_act_and_mul_bias_kernelIfDF16_sfLi4EEEvPT0_PKT_PKT1_PKT2_il
; %bb.0:
	s_load_dwordx2 s[4:5], s[0:1], 0x10
	s_load_dword s28, s[0:1], 0x20
	s_load_dwordx2 s[8:9], s[0:1], 0x28
	s_mov_b32 s3, 0
	s_lshl_b64 s[6:7], s[2:3], 1
	s_waitcnt lgkmcnt(0)
	s_add_u32 s4, s4, s6
	s_addc_u32 s5, s5, s7
	v_mov_b32_e32 v1, 0
	global_load_ushort v1, v1, s[4:5]
	s_load_dwordx2 s[10:11], s[0:1], 0x0
	s_ashr_i32 s29, s28, 31
	s_mul_hi_u32 s3, s28, s2
	s_mul_i32 s5, s29, s2
	s_mul_i32 s4, s28, s2
	s_add_i32 s5, s3, s5
	v_mov_b64_e32 v[2:3], s[8:9]
	s_lshl_b64 s[8:9], s[4:5], 1
	s_mov_b64 s[6:7], -1
	v_lshlrev_b32_e32 v12, 2, v0
	s_waitcnt vmcnt(0)
	v_readfirstlane_b32 s3, v1
	s_sext_i32_i16 s4, s3
	s_ashr_i32 s5, s4, 31
	s_waitcnt lgkmcnt(0)
	s_add_u32 s8, s10, s8
	v_cmp_lt_i64_e32 vcc, s[4:5], v[2:3]
	s_addc_u32 s3, s11, s9
	s_add_i32 s5, s28, 1
	s_lshr_b32 s10, s5, 31
	s_add_i32 s5, s5, s10
	s_and_b32 s9, s3, 0xffff
	s_lshl_b32 s3, s5, 1
	s_and_b32 s10, s3, -4
	s_cmp_gt_i32 s4, -1
	s_cselect_b64 s[12:13], -1, 0
	s_and_b64 s[12:13], s[12:13], vcc
	s_and_b64 vcc, exec, s[12:13]
	s_cbranch_vccnz .LBB278_5
; %bb.1:
	v_cmp_gt_i32_e32 vcc, s28, v12
	s_and_saveexec_b64 s[6:7], vcc
	s_cbranch_execz .LBB278_4
; %bb.2:
	s_load_dword s3, s[0:1], 0x3c
	v_mov_b32_e32 v13, 0
	s_mov_b32 s13, 0
	v_lshlrev_b32_e32 v1, 3, v0
	s_mov_b64 s[14:15], 0
	s_waitcnt lgkmcnt(0)
	s_and_b32 s3, s3, 0xffff
	s_lshl_b32 s12, s3, 2
	s_lshl_b32 s3, s3, 3
	s_mov_b32 s11, 0x20000
	v_mov_b32_e32 v2, v13
	v_mov_b32_e32 v3, v13
	v_mov_b64_e32 v[4:5], v[12:13]
.LBB278_3:                              ; =>This Inner Loop Header: Depth=1
	v_lshl_add_u64 v[4:5], s[12:13], 0, v[4:5]
	v_cmp_le_i64_e32 vcc, s[28:29], v[4:5]
	buffer_store_dwordx2 v[2:3], v1, s[8:11], 0 offen
	s_or_b64 s[14:15], vcc, s[14:15]
	v_add_u32_e32 v1, s3, v1
	s_andn2_b64 exec, exec, s[14:15]
	s_cbranch_execnz .LBB278_3
.LBB278_4:
	s_or_b64 exec, exec, s[6:7]
	s_mov_b64 s[6:7], 0
.LBB278_5:
	s_andn2_b64 vcc, exec, s[6:7]
	s_cbranch_vccnz .LBB278_9
; %bb.6:
	v_cmp_gt_i32_e32 vcc, s28, v12
	s_and_saveexec_b64 s[6:7], vcc
	s_cbranch_execz .LBB278_9
; %bb.7:
	s_load_dwordx2 s[6:7], s[0:1], 0x8
	s_load_dwordx2 s[12:13], s[0:1], 0x18
	s_mul_hi_i32 s5, s28, s4
	s_mul_i32 s4, s28, s4
	s_lshl_b32 s14, s28, 2
	s_lshl_b64 s[4:5], s[4:5], 3
	s_waitcnt lgkmcnt(0)
	s_add_u32 s12, s12, s4
	s_load_dword s18, s[0:1], 0x3c
	s_addc_u32 s3, s13, s5
	s_lshl_b64 s[0:1], s[28:29], 2
	s_add_u32 s16, s12, s0
	s_addc_u32 s4, s3, s1
	s_and_b32 s13, s3, 0xffff
	s_and_b32 s17, s4, 0xffff
	s_mul_i32 s3, s2, s29
	s_mul_hi_u32 s4, s2, s28
	s_add_i32 s3, s4, s3
	s_mul_i32 s2, s2, s28
	s_lshl_b64 s[2:3], s[2:3], 3
	s_add_u32 s20, s6, s2
	s_addc_u32 s2, s7, s3
	s_add_u32 s24, s20, s0
	s_addc_u32 s0, s2, s1
	s_mov_b32 s11, 0x20000
	s_and_b32 s25, s0, 0xffff
	s_waitcnt lgkmcnt(0)
	s_and_b32 s0, s18, 0xffff
	s_mov_b32 s15, s11
	s_and_b32 s21, s2, 0xffff
	s_mov_b32 s31, 0
	v_mov_b32_e32 v13, 0
	s_lshl_b32 s30, s0, 2
	v_lshlrev_b32_e32 v14, 3, v0
	s_lshl_b32 s33, s0, 3
	v_lshlrev_b32_e32 v15, 4, v0
	s_lshl_b32 s36, s0, 4
	s_mov_b64 s[34:35], 0
	s_mov_b32 s22, s14
	s_mov_b32 s23, s11
	;; [unrolled: 1-line block ×5, first 2 shown]
	v_mov_b32_e32 v16, 0x7f800000
	s_mov_b32 s40, 0xc0e00000
	v_mov_b32_e32 v17, 0x40e00000
	s_mov_b32 s26, s14
	s_mov_b32 s27, s11
.LBB278_8:                              ; =>This Inner Loop Header: Depth=1
	buffer_load_dwordx4 v[4:7], v15, s[20:23], 0 offen
	buffer_load_dwordx4 v[0:3], v15, s[24:27], 0 offen
	;; [unrolled: 1-line block ×3, first 2 shown]
	s_mov_b32 s18, s14
	s_mov_b32 s19, s15
	buffer_load_dwordx4 v[18:21], v15, s[16:19], 0 offen
	v_lshl_add_u64 v[12:13], s[30:31], 0, v[12:13]
	v_cmp_le_i64_e32 vcc, s[28:29], v[12:13]
	v_add_u32_e32 v15, s36, v15
	s_or_b64 s[34:35], vcc, s[34:35]
	s_waitcnt vmcnt(1)
	v_pk_add_f32 v[6:7], v[6:7], v[10:11]
	v_pk_add_f32 v[4:5], v[4:5], v[8:9]
	v_min_f32_e32 v7, 0x40e00000, v7
	v_min_f32_e32 v5, 0x40e00000, v5
	;; [unrolled: 1-line block ×4, first 2 shown]
	v_mul_f32_e32 v8, 0xbfd9db23, v4
	v_mul_f32_e32 v9, 0xbfd9db23, v5
	;; [unrolled: 1-line block ×4, first 2 shown]
	s_waitcnt vmcnt(0)
	v_pk_add_f32 v[2:3], v[2:3], v[20:21]
	v_pk_add_f32 v[0:1], v[0:1], v[18:19]
	v_mul_f32_e32 v18, 0x3fb8aa3b, v8
	v_mul_f32_e32 v19, 0x3fb8aa3b, v9
	;; [unrolled: 1-line block ×4, first 2 shown]
	v_fma_f32 v22, v8, s37, -v18
	v_rndne_f32_e32 v23, v18
	v_fma_f32 v24, v9, s37, -v19
	v_rndne_f32_e32 v25, v19
	;; [unrolled: 2-line block ×4, first 2 shown]
	v_fmac_f32_e32 v22, 0x32a5705f, v8
	v_sub_f32_e32 v18, v18, v23
	v_fmac_f32_e32 v24, 0x32a5705f, v9
	v_sub_f32_e32 v19, v19, v25
	;; [unrolled: 2-line block ×4, first 2 shown]
	v_add_f32_e32 v18, v18, v22
	v_add_f32_e32 v19, v19, v24
	;; [unrolled: 1-line block ×4, first 2 shown]
	v_cvt_i32_f32_e32 v23, v23
	v_cvt_i32_f32_e32 v25, v25
	;; [unrolled: 1-line block ×4, first 2 shown]
	v_exp_f32_e32 v18, v18
	v_exp_f32_e32 v19, v19
	;; [unrolled: 1-line block ×4, first 2 shown]
	v_ldexp_f32 v18, v18, v23
	v_ldexp_f32 v19, v19, v25
	v_cmp_ngt_f32_e64 s[0:1], s38, v9
	v_ldexp_f32 v20, v20, v27
	v_cmp_ngt_f32_e64 s[2:3], s38, v10
	;; [unrolled: 2-line block ×3, first 2 shown]
	v_cmp_ngt_f32_e64 s[6:7], s38, v8
	v_cndmask_b32_e64 v19, 0, v19, s[0:1]
	v_cmp_nlt_f32_e64 s[0:1], s39, v9
	v_cndmask_b32_e64 v18, 0, v18, s[6:7]
	v_cndmask_b32_e64 v9, 0, v20, s[2:3]
	v_cmp_nlt_f32_e64 s[2:3], s39, v10
	v_cndmask_b32_e64 v10, 0, v21, s[4:5]
	v_cmp_nlt_f32_e64 s[4:5], s39, v11
	v_cmp_nlt_f32_e64 s[6:7], s39, v8
	v_cndmask_b32_e64 v11, v16, v19, s[0:1]
	v_cndmask_b32_e64 v9, v16, v9, s[2:3]
	;; [unrolled: 1-line block ×4, first 2 shown]
	v_add_f32_e32 v8, 1.0, v8
	v_add_f32_e32 v11, 1.0, v11
	;; [unrolled: 1-line block ×4, first 2 shown]
	v_rcp_f32_e32 v8, v8
	v_rcp_f32_e32 v9, v11
	;; [unrolled: 1-line block ×4, first 2 shown]
	v_med3_f32 v1, v1, s40, v17
	v_med3_f32 v0, v0, s40, v17
	;; [unrolled: 1-line block ×4, first 2 shown]
	v_pk_add_f32 v[0:1], v[0:1], 1.0 op_sel_hi:[1,0]
	v_pk_add_f32 v[2:3], v[2:3], 1.0 op_sel_hi:[1,0]
	v_pk_mul_f32 v[4:5], v[4:5], v[8:9]
	v_pk_mul_f32 v[6:7], v[6:7], v[10:11]
	;; [unrolled: 1-line block ×4, first 2 shown]
	v_cvt_f16_f32_e32 v4, v1
	v_cvt_f16_f32_e32 v1, v3
	;; [unrolled: 1-line block ×4, first 2 shown]
	v_pack_b32_f16 v1, v2, v1
	v_pack_b32_f16 v0, v0, v4
	buffer_store_dwordx2 v[0:1], v14, s[8:11], 0 offen
	v_add_u32_e32 v14, s33, v14
	s_andn2_b64 exec, exec, s[34:35]
	s_cbranch_execnz .LBB278_8
.LBB278_9:
	s_endpgm
	.section	.rodata,"a",@progbits
	.p2align	6, 0x0
	.amdhsa_kernel _ZN5aiter30swiglu_act_and_mul_bias_kernelIfDF16_sfLi4EEEvPT0_PKT_PKT1_PKT2_il
		.amdhsa_group_segment_fixed_size 0
		.amdhsa_private_segment_fixed_size 0
		.amdhsa_kernarg_size 304
		.amdhsa_user_sgpr_count 2
		.amdhsa_user_sgpr_dispatch_ptr 0
		.amdhsa_user_sgpr_queue_ptr 0
		.amdhsa_user_sgpr_kernarg_segment_ptr 1
		.amdhsa_user_sgpr_dispatch_id 0
		.amdhsa_user_sgpr_kernarg_preload_length 0
		.amdhsa_user_sgpr_kernarg_preload_offset 0
		.amdhsa_user_sgpr_private_segment_size 0
		.amdhsa_uses_dynamic_stack 0
		.amdhsa_enable_private_segment 0
		.amdhsa_system_sgpr_workgroup_id_x 1
		.amdhsa_system_sgpr_workgroup_id_y 0
		.amdhsa_system_sgpr_workgroup_id_z 0
		.amdhsa_system_sgpr_workgroup_info 0
		.amdhsa_system_vgpr_workitem_id 0
		.amdhsa_next_free_vgpr 30
		.amdhsa_next_free_sgpr 41
		.amdhsa_accum_offset 32
		.amdhsa_reserve_vcc 1
		.amdhsa_float_round_mode_32 0
		.amdhsa_float_round_mode_16_64 0
		.amdhsa_float_denorm_mode_32 3
		.amdhsa_float_denorm_mode_16_64 3
		.amdhsa_dx10_clamp 1
		.amdhsa_ieee_mode 1
		.amdhsa_fp16_overflow 0
		.amdhsa_tg_split 0
		.amdhsa_exception_fp_ieee_invalid_op 0
		.amdhsa_exception_fp_denorm_src 0
		.amdhsa_exception_fp_ieee_div_zero 0
		.amdhsa_exception_fp_ieee_overflow 0
		.amdhsa_exception_fp_ieee_underflow 0
		.amdhsa_exception_fp_ieee_inexact 0
		.amdhsa_exception_int_div_zero 0
	.end_amdhsa_kernel
	.section	.text._ZN5aiter30swiglu_act_and_mul_bias_kernelIfDF16_sfLi4EEEvPT0_PKT_PKT1_PKT2_il,"axG",@progbits,_ZN5aiter30swiglu_act_and_mul_bias_kernelIfDF16_sfLi4EEEvPT0_PKT_PKT1_PKT2_il,comdat
.Lfunc_end278:
	.size	_ZN5aiter30swiglu_act_and_mul_bias_kernelIfDF16_sfLi4EEEvPT0_PKT_PKT1_PKT2_il, .Lfunc_end278-_ZN5aiter30swiglu_act_and_mul_bias_kernelIfDF16_sfLi4EEEvPT0_PKT_PKT1_PKT2_il
                                        ; -- End function
	.section	.AMDGPU.csdata,"",@progbits
; Kernel info:
; codeLenInByte = 1240
; NumSgprs: 47
; NumVgprs: 30
; NumAgprs: 0
; TotalNumVgprs: 30
; ScratchSize: 0
; MemoryBound: 0
; FloatMode: 240
; IeeeMode: 1
; LDSByteSize: 0 bytes/workgroup (compile time only)
; SGPRBlocks: 5
; VGPRBlocks: 3
; NumSGPRsForWavesPerEU: 47
; NumVGPRsForWavesPerEU: 30
; AccumOffset: 32
; Occupancy: 8
; WaveLimiterHint : 0
; COMPUTE_PGM_RSRC2:SCRATCH_EN: 0
; COMPUTE_PGM_RSRC2:USER_SGPR: 2
; COMPUTE_PGM_RSRC2:TRAP_HANDLER: 0
; COMPUTE_PGM_RSRC2:TGID_X_EN: 1
; COMPUTE_PGM_RSRC2:TGID_Y_EN: 0
; COMPUTE_PGM_RSRC2:TGID_Z_EN: 0
; COMPUTE_PGM_RSRC2:TIDIG_COMP_CNT: 0
; COMPUTE_PGM_RSRC3_GFX90A:ACCUM_OFFSET: 7
; COMPUTE_PGM_RSRC3_GFX90A:TG_SPLIT: 0
	.section	.text._ZN5aiter30swiglu_act_and_mul_bias_kernelIfDF16_sfLi2EEEvPT0_PKT_PKT1_PKT2_il,"axG",@progbits,_ZN5aiter30swiglu_act_and_mul_bias_kernelIfDF16_sfLi2EEEvPT0_PKT_PKT1_PKT2_il,comdat
	.protected	_ZN5aiter30swiglu_act_and_mul_bias_kernelIfDF16_sfLi2EEEvPT0_PKT_PKT1_PKT2_il ; -- Begin function _ZN5aiter30swiglu_act_and_mul_bias_kernelIfDF16_sfLi2EEEvPT0_PKT_PKT1_PKT2_il
	.globl	_ZN5aiter30swiglu_act_and_mul_bias_kernelIfDF16_sfLi2EEEvPT0_PKT_PKT1_PKT2_il
	.p2align	8
	.type	_ZN5aiter30swiglu_act_and_mul_bias_kernelIfDF16_sfLi2EEEvPT0_PKT_PKT1_PKT2_il,@function
_ZN5aiter30swiglu_act_and_mul_bias_kernelIfDF16_sfLi2EEEvPT0_PKT_PKT1_PKT2_il: ; @_ZN5aiter30swiglu_act_and_mul_bias_kernelIfDF16_sfLi2EEEvPT0_PKT_PKT1_PKT2_il
; %bb.0:
	s_load_dwordx2 s[4:5], s[0:1], 0x10
	s_load_dword s24, s[0:1], 0x20
	s_load_dwordx2 s[6:7], s[0:1], 0x28
	s_mov_b32 s3, 0
	s_lshl_b64 s[8:9], s[2:3], 1
	s_waitcnt lgkmcnt(0)
	s_add_u32 s4, s4, s8
	s_addc_u32 s5, s5, s9
	v_mov_b32_e32 v1, 0
	global_load_ushort v1, v1, s[4:5]
	s_load_dwordx2 s[4:5], s[0:1], 0x0
	s_ashr_i32 s25, s24, 31
	s_mul_hi_u32 s3, s24, s2
	v_mov_b64_e32 v[2:3], s[6:7]
	s_mul_i32 s6, s25, s2
	s_mul_i32 s8, s24, s2
	s_add_i32 s9, s3, s6
	s_lshl_b64 s[6:7], s[8:9], 1
	s_mov_b64 s[10:11], -1
	s_waitcnt vmcnt(0)
	v_readfirstlane_b32 s3, v1
	s_sext_i32_i16 s8, s3
	s_ashr_i32 s9, s8, 31
	s_waitcnt lgkmcnt(0)
	s_add_u32 s4, s4, s6
	s_addc_u32 s3, s5, s7
	s_add_i32 s6, s24, 1
	s_lshr_b32 s7, s6, 31
	s_add_i32 s6, s6, s7
	s_and_b32 s5, s3, 0xffff
	s_lshl_b32 s3, s6, 1
	s_and_b32 s6, s3, -4
	s_cmp_gt_i32 s8, -1
	v_cmp_lt_i64_e32 vcc, s[8:9], v[2:3]
	s_cselect_b64 s[12:13], -1, 0
	s_and_b64 s[12:13], s[12:13], vcc
	s_and_b64 vcc, exec, s[12:13]
	v_lshlrev_b32_e32 v2, 1, v0
	s_cbranch_vccnz .LBB279_5
; %bb.1:
	v_cmp_gt_i32_e32 vcc, s24, v2
	s_and_saveexec_b64 s[10:11], vcc
	s_cbranch_execz .LBB279_4
; %bb.2:
	s_load_dword s3, s[0:1], 0x3c
	v_mov_b32_e32 v3, 0
	s_mov_b32 s13, 0
	v_lshlrev_b32_e32 v1, 2, v0
	s_mov_b64 s[14:15], 0
	s_waitcnt lgkmcnt(0)
	s_and_b32 s3, s3, 0xffff
	s_lshl_b32 s12, s3, 1
	s_lshl_b32 s3, s3, 2
	s_mov_b32 s7, 0x20000
	v_mov_b64_e32 v[4:5], v[2:3]
.LBB279_3:                              ; =>This Inner Loop Header: Depth=1
	v_lshl_add_u64 v[4:5], s[12:13], 0, v[4:5]
	v_cmp_le_i64_e32 vcc, s[24:25], v[4:5]
	buffer_store_dword v3, v1, s[4:7], 0 offen
	s_or_b64 s[14:15], vcc, s[14:15]
	v_add_u32_e32 v1, s3, v1
	s_andn2_b64 exec, exec, s[14:15]
	s_cbranch_execnz .LBB279_3
.LBB279_4:
	s_or_b64 exec, exec, s[10:11]
	s_mov_b64 s[10:11], 0
.LBB279_5:
	s_andn2_b64 vcc, exec, s[10:11]
	s_cbranch_vccnz .LBB279_9
; %bb.6:
	v_cmp_gt_i32_e32 vcc, s24, v2
	s_and_saveexec_b64 s[10:11], vcc
	s_cbranch_execz .LBB279_9
; %bb.7:
	s_load_dwordx2 s[14:15], s[0:1], 0x8
	s_load_dwordx2 s[12:13], s[0:1], 0x18
	s_mul_hi_i32 s9, s24, s8
	s_mul_i32 s8, s24, s8
	s_lshl_b32 s10, s24, 2
	s_lshl_b64 s[8:9], s[8:9], 3
	s_waitcnt lgkmcnt(0)
	s_add_u32 s8, s12, s8
	s_load_dword s18, s[0:1], 0x3c
	s_addc_u32 s3, s13, s9
	s_lshl_b64 s[0:1], s[24:25], 2
	s_add_u32 s12, s8, s0
	s_addc_u32 s13, s3, s1
	s_and_b32 s9, s3, 0xffff
	s_mul_i32 s3, s2, s25
	s_mul_hi_u32 s16, s2, s24
	s_add_i32 s3, s16, s3
	s_mul_i32 s2, s2, s24
	s_and_b32 s13, s13, 0xffff
	s_lshl_b64 s[2:3], s[2:3], 3
	s_add_u32 s16, s14, s2
	s_addc_u32 s2, s15, s3
	s_add_u32 s20, s16, s0
	s_addc_u32 s0, s2, s1
	s_mov_b32 s7, 0x20000
	s_and_b32 s21, s0, 0xffff
	s_waitcnt lgkmcnt(0)
	s_and_b32 s0, s18, 0xffff
	s_mov_b32 s11, s7
	s_and_b32 s17, s2, 0xffff
	s_mov_b32 s3, 0
	v_mov_b32_e32 v3, 0
	s_lshl_b32 s2, s0, 1
	v_lshlrev_b32_e32 v1, 2, v0
	s_lshl_b32 s28, s0, 2
	v_lshlrev_b32_e32 v0, 3, v0
	s_lshl_b32 s29, s0, 3
	s_mov_b64 s[26:27], 0
	s_mov_b32 s18, s10
	s_mov_b32 s19, s7
	;; [unrolled: 1-line block ×5, first 2 shown]
	v_mov_b32_e32 v4, 0x7f800000
	s_mov_b32 s34, 0xc0e00000
	v_mov_b32_e32 v5, 0x40e00000
	s_mov_b32 s22, s10
	s_mov_b32 s23, s7
.LBB279_8:                              ; =>This Inner Loop Header: Depth=1
	buffer_load_dwordx2 v[6:7], v0, s[16:19], 0 offen
	buffer_load_dwordx2 v[8:9], v0, s[20:23], 0 offen
	;; [unrolled: 1-line block ×3, first 2 shown]
	s_mov_b32 s14, s10
	s_mov_b32 s15, s11
	buffer_load_dwordx2 v[12:13], v0, s[12:15], 0 offen
	v_lshl_add_u64 v[2:3], s[2:3], 0, v[2:3]
	v_add_u32_e32 v0, s29, v0
	s_waitcnt vmcnt(1)
	v_pk_add_f32 v[6:7], v[6:7], v[10:11]
	s_nop 0
	v_min_f32_e32 v7, 0x40e00000, v7
	v_min_f32_e32 v6, 0x40e00000, v6
	v_mul_f32_e32 v10, 0xbfd9db23, v6
	v_mul_f32_e32 v11, 0xbfd9db23, v7
	s_waitcnt vmcnt(0)
	v_pk_add_f32 v[8:9], v[8:9], v[12:13]
	v_mul_f32_e32 v12, 0x3fb8aa3b, v10
	v_mul_f32_e32 v13, 0x3fb8aa3b, v11
	v_fma_f32 v14, v10, s30, -v12
	v_rndne_f32_e32 v15, v12
	v_fma_f32 v16, v11, s30, -v13
	v_rndne_f32_e32 v17, v13
	v_fmac_f32_e32 v14, 0x32a5705f, v10
	v_sub_f32_e32 v12, v12, v15
	v_fmac_f32_e32 v16, 0x32a5705f, v11
	v_sub_f32_e32 v13, v13, v17
	v_add_f32_e32 v12, v12, v14
	v_add_f32_e32 v13, v13, v16
	v_cvt_i32_f32_e32 v15, v15
	v_cvt_i32_f32_e32 v17, v17
	v_exp_f32_e32 v12, v12
	v_exp_f32_e32 v13, v13
	v_cmp_ngt_f32_e32 vcc, s31, v11
	v_cmp_ngt_f32_e64 s[0:1], s31, v10
	v_ldexp_f32 v12, v12, v15
	v_ldexp_f32 v13, v13, v17
	v_cndmask_b32_e64 v12, 0, v12, s[0:1]
	v_cndmask_b32_e32 v13, 0, v13, vcc
	v_cmp_nlt_f32_e32 vcc, s33, v11
	v_cmp_nlt_f32_e64 s[0:1], s33, v10
	v_med3_f32 v9, v9, s34, v5
	v_cndmask_b32_e32 v11, v4, v13, vcc
	v_cndmask_b32_e64 v10, v4, v12, s[0:1]
	v_add_f32_e32 v10, 1.0, v10
	v_add_f32_e32 v11, 1.0, v11
	v_rcp_f32_e32 v10, v10
	v_rcp_f32_e32 v11, v11
	v_med3_f32 v8, v8, s34, v5
	v_pk_add_f32 v[8:9], v[8:9], 1.0 op_sel_hi:[1,0]
	v_cmp_le_i64_e32 vcc, s[24:25], v[2:3]
	v_pk_mul_f32 v[6:7], v[6:7], v[10:11]
	s_or_b64 s[26:27], vcc, s[26:27]
	v_pk_mul_f32 v[6:7], v[8:9], v[6:7]
	s_nop 0
	v_cvt_f16_f32_e32 v7, v7
	v_cvt_f16_f32_e32 v6, v6
	v_pack_b32_f16 v6, v6, v7
	buffer_store_dword v6, v1, s[4:7], 0 offen
	v_add_u32_e32 v1, s28, v1
	s_andn2_b64 exec, exec, s[26:27]
	s_cbranch_execnz .LBB279_8
.LBB279_9:
	s_endpgm
	.section	.rodata,"a",@progbits
	.p2align	6, 0x0
	.amdhsa_kernel _ZN5aiter30swiglu_act_and_mul_bias_kernelIfDF16_sfLi2EEEvPT0_PKT_PKT1_PKT2_il
		.amdhsa_group_segment_fixed_size 0
		.amdhsa_private_segment_fixed_size 0
		.amdhsa_kernarg_size 304
		.amdhsa_user_sgpr_count 2
		.amdhsa_user_sgpr_dispatch_ptr 0
		.amdhsa_user_sgpr_queue_ptr 0
		.amdhsa_user_sgpr_kernarg_segment_ptr 1
		.amdhsa_user_sgpr_dispatch_id 0
		.amdhsa_user_sgpr_kernarg_preload_length 0
		.amdhsa_user_sgpr_kernarg_preload_offset 0
		.amdhsa_user_sgpr_private_segment_size 0
		.amdhsa_uses_dynamic_stack 0
		.amdhsa_enable_private_segment 0
		.amdhsa_system_sgpr_workgroup_id_x 1
		.amdhsa_system_sgpr_workgroup_id_y 0
		.amdhsa_system_sgpr_workgroup_id_z 0
		.amdhsa_system_sgpr_workgroup_info 0
		.amdhsa_system_vgpr_workitem_id 0
		.amdhsa_next_free_vgpr 18
		.amdhsa_next_free_sgpr 35
		.amdhsa_accum_offset 20
		.amdhsa_reserve_vcc 1
		.amdhsa_float_round_mode_32 0
		.amdhsa_float_round_mode_16_64 0
		.amdhsa_float_denorm_mode_32 3
		.amdhsa_float_denorm_mode_16_64 3
		.amdhsa_dx10_clamp 1
		.amdhsa_ieee_mode 1
		.amdhsa_fp16_overflow 0
		.amdhsa_tg_split 0
		.amdhsa_exception_fp_ieee_invalid_op 0
		.amdhsa_exception_fp_denorm_src 0
		.amdhsa_exception_fp_ieee_div_zero 0
		.amdhsa_exception_fp_ieee_overflow 0
		.amdhsa_exception_fp_ieee_underflow 0
		.amdhsa_exception_fp_ieee_inexact 0
		.amdhsa_exception_int_div_zero 0
	.end_amdhsa_kernel
	.section	.text._ZN5aiter30swiglu_act_and_mul_bias_kernelIfDF16_sfLi2EEEvPT0_PKT_PKT1_PKT2_il,"axG",@progbits,_ZN5aiter30swiglu_act_and_mul_bias_kernelIfDF16_sfLi2EEEvPT0_PKT_PKT1_PKT2_il,comdat
.Lfunc_end279:
	.size	_ZN5aiter30swiglu_act_and_mul_bias_kernelIfDF16_sfLi2EEEvPT0_PKT_PKT1_PKT2_il, .Lfunc_end279-_ZN5aiter30swiglu_act_and_mul_bias_kernelIfDF16_sfLi2EEEvPT0_PKT_PKT1_PKT2_il
                                        ; -- End function
	.section	.AMDGPU.csdata,"",@progbits
; Kernel info:
; codeLenInByte = 936
; NumSgprs: 41
; NumVgprs: 18
; NumAgprs: 0
; TotalNumVgprs: 18
; ScratchSize: 0
; MemoryBound: 0
; FloatMode: 240
; IeeeMode: 1
; LDSByteSize: 0 bytes/workgroup (compile time only)
; SGPRBlocks: 5
; VGPRBlocks: 2
; NumSGPRsForWavesPerEU: 41
; NumVGPRsForWavesPerEU: 18
; AccumOffset: 20
; Occupancy: 8
; WaveLimiterHint : 0
; COMPUTE_PGM_RSRC2:SCRATCH_EN: 0
; COMPUTE_PGM_RSRC2:USER_SGPR: 2
; COMPUTE_PGM_RSRC2:TRAP_HANDLER: 0
; COMPUTE_PGM_RSRC2:TGID_X_EN: 1
; COMPUTE_PGM_RSRC2:TGID_Y_EN: 0
; COMPUTE_PGM_RSRC2:TGID_Z_EN: 0
; COMPUTE_PGM_RSRC2:TIDIG_COMP_CNT: 0
; COMPUTE_PGM_RSRC3_GFX90A:ACCUM_OFFSET: 4
; COMPUTE_PGM_RSRC3_GFX90A:TG_SPLIT: 0
	.section	.text._ZN5aiter30swiglu_act_and_mul_bias_kernelIfDF16_sfLi1EEEvPT0_PKT_PKT1_PKT2_il,"axG",@progbits,_ZN5aiter30swiglu_act_and_mul_bias_kernelIfDF16_sfLi1EEEvPT0_PKT_PKT1_PKT2_il,comdat
	.protected	_ZN5aiter30swiglu_act_and_mul_bias_kernelIfDF16_sfLi1EEEvPT0_PKT_PKT1_PKT2_il ; -- Begin function _ZN5aiter30swiglu_act_and_mul_bias_kernelIfDF16_sfLi1EEEvPT0_PKT_PKT1_PKT2_il
	.globl	_ZN5aiter30swiglu_act_and_mul_bias_kernelIfDF16_sfLi1EEEvPT0_PKT_PKT1_PKT2_il
	.p2align	8
	.type	_ZN5aiter30swiglu_act_and_mul_bias_kernelIfDF16_sfLi1EEEvPT0_PKT_PKT1_PKT2_il,@function
_ZN5aiter30swiglu_act_and_mul_bias_kernelIfDF16_sfLi1EEEvPT0_PKT_PKT1_PKT2_il: ; @_ZN5aiter30swiglu_act_and_mul_bias_kernelIfDF16_sfLi1EEEvPT0_PKT_PKT1_PKT2_il
; %bb.0:
	s_load_dwordx2 s[4:5], s[0:1], 0x10
	s_load_dword s20, s[0:1], 0x20
	s_load_dwordx2 s[8:9], s[0:1], 0x28
	s_mov_b32 s3, 0
	s_lshl_b64 s[6:7], s[2:3], 1
	s_waitcnt lgkmcnt(0)
	s_add_u32 s4, s4, s6
	s_addc_u32 s5, s5, s7
	v_mov_b32_e32 v1, 0
	global_load_ushort v1, v1, s[4:5]
	s_load_dwordx2 s[4:5], s[0:1], 0x0
	s_ashr_i32 s21, s20, 31
	s_mul_hi_u32 s3, s20, s2
	v_mov_b64_e32 v[2:3], s[8:9]
	s_mul_i32 s8, s21, s2
	s_add_i32 s11, s3, s8
	s_mul_i32 s10, s20, s2
	s_lshl_b64 s[8:9], s[10:11], 1
	s_mov_b64 s[6:7], -1
	s_waitcnt vmcnt(0)
	v_readfirstlane_b32 s3, v1
	s_sext_i32_i16 s12, s3
	s_ashr_i32 s13, s12, 31
	s_waitcnt lgkmcnt(0)
	s_add_u32 s8, s4, s8
	s_addc_u32 s3, s5, s9
	s_add_i32 s4, s20, 1
	s_lshr_b32 s5, s4, 31
	s_add_i32 s4, s4, s5
	s_and_b32 s9, s3, 0xffff
	s_lshl_b32 s3, s4, 1
	s_and_b32 s10, s3, -4
	s_cmp_gt_i32 s12, -1
	v_cmp_lt_i64_e32 vcc, s[12:13], v[2:3]
	s_cselect_b64 s[4:5], -1, 0
	s_and_b64 s[4:5], s[4:5], vcc
	s_and_b64 vcc, exec, s[4:5]
	v_cmp_gt_i32_e64 s[4:5], s20, v0
	s_cbranch_vccnz .LBB280_5
; %bb.1:
	s_and_saveexec_b64 s[6:7], s[4:5]
	s_cbranch_execz .LBB280_4
; %bb.2:
	s_load_dword s3, s[0:1], 0x3c
	v_mov_b32_e32 v1, 0
	s_mov_b32 s5, 0
	v_lshlrev_b32_e32 v4, 1, v0
	s_mov_b64 s[14:15], 0
	s_waitcnt lgkmcnt(0)
	s_and_b32 s4, s3, 0xffff
	s_lshl_b32 s3, s4, 1
	s_mov_b32 s11, 0x20000
	v_mov_b64_e32 v[2:3], v[0:1]
.LBB280_3:                              ; =>This Inner Loop Header: Depth=1
	v_lshl_add_u64 v[2:3], v[2:3], 0, s[4:5]
	v_cmp_le_i64_e32 vcc, s[20:21], v[2:3]
	buffer_store_short v1, v4, s[8:11], 0 offen
	s_or_b64 s[14:15], vcc, s[14:15]
	v_add_u32_e32 v4, s3, v4
	s_andn2_b64 exec, exec, s[14:15]
	s_cbranch_execnz .LBB280_3
.LBB280_4:
	s_or_b64 exec, exec, s[6:7]
	s_mov_b64 s[6:7], 0
.LBB280_5:
	s_andn2_b64 vcc, exec, s[6:7]
	s_cbranch_vccnz .LBB280_9
; %bb.6:
	v_cmp_gt_i32_e32 vcc, s20, v0
	s_and_saveexec_b64 s[4:5], vcc
	s_cbranch_execz .LBB280_9
; %bb.7:
	s_load_dwordx2 s[14:15], s[0:1], 0x8
	s_load_dwordx2 s[4:5], s[0:1], 0x18
	s_mul_hi_i32 s13, s20, s12
	s_mul_i32 s12, s20, s12
	s_lshl_b32 s6, s20, 2
	s_lshl_b64 s[12:13], s[12:13], 3
	s_waitcnt lgkmcnt(0)
	s_add_u32 s4, s4, s12
	s_load_dword s18, s[0:1], 0x3c
	s_addc_u32 s1, s5, s13
	s_lshl_b64 s[16:17], s[20:21], 2
	s_add_u32 s0, s4, s16
	s_addc_u32 s3, s1, s17
	s_and_b32 s5, s1, 0xffff
	s_and_b32 s1, s3, 0xffff
	s_mul_i32 s3, s2, s21
	s_mul_hi_u32 s12, s2, s20
	s_add_i32 s3, s12, s3
	s_mul_i32 s2, s2, s20
	s_lshl_b64 s[2:3], s[2:3], 3
	s_add_u32 s12, s14, s2
	s_addc_u32 s2, s15, s3
	s_add_u32 s16, s12, s16
	s_mov_b32 s11, 0x20000
	s_addc_u32 s3, s2, s17
	s_waitcnt lgkmcnt(0)
	s_and_b32 s22, s18, 0xffff
	s_mov_b32 s7, s11
	s_and_b32 s13, s2, 0xffff
	s_and_b32 s17, s3, 0xffff
	s_mov_b32 s23, 0
	v_mov_b32_e32 v1, 0
	v_lshlrev_b32_e32 v2, 1, v0
	s_lshl_b32 s26, s22, 1
	v_lshlrev_b32_e32 v3, 2, v0
	s_lshl_b32 s27, s22, 2
	s_mov_b64 s[24:25], 0
	s_mov_b32 s14, s6
	s_mov_b32 s15, s11
	;; [unrolled: 1-line block ×5, first 2 shown]
	v_mov_b32_e32 v4, 0x7f800000
	s_mov_b32 s18, s6
	s_mov_b32 s19, s11
.LBB280_8:                              ; =>This Inner Loop Header: Depth=1
	buffer_load_dword v5, v3, s[12:15], 0 offen
	buffer_load_dword v6, v3, s[16:19], 0 offen
	s_mov_b32 s2, s6
	s_mov_b32 s3, s7
	buffer_load_dword v7, v3, s[4:7], 0 offen
	buffer_load_dword v8, v3, s[0:3], 0 offen
	v_lshl_add_u64 v[0:1], v[0:1], 0, s[22:23]
	v_cmp_le_i64_e32 vcc, s[20:21], v[0:1]
	s_or_b64 s[24:25], vcc, s[24:25]
	v_add_u32_e32 v3, s27, v3
	s_waitcnt vmcnt(1)
	v_add_f32_e32 v5, v5, v7
	v_min_f32_e32 v5, 0x40e00000, v5
	v_mul_f32_e32 v7, 0xbfd9db23, v5
	s_waitcnt vmcnt(0)
	v_add_f32_e32 v6, v6, v8
	v_mul_f32_e32 v8, 0x3fb8aa3b, v7
	v_fma_f32 v9, v7, s28, -v8
	v_rndne_f32_e32 v10, v8
	v_fmac_f32_e32 v9, 0x32a5705f, v7
	v_sub_f32_e32 v8, v8, v10
	v_add_f32_e32 v8, v8, v9
	v_cvt_i32_f32_e32 v10, v10
	v_exp_f32_e32 v8, v8
	v_cmp_ngt_f32_e32 vcc, s29, v7
	v_max_f32_e32 v6, 0xc0e00000, v6
	v_min_f32_e32 v6, 0x40e00000, v6
	v_ldexp_f32 v8, v8, v10
	v_cndmask_b32_e32 v8, 0, v8, vcc
	v_cmp_nlt_f32_e32 vcc, s30, v7
	v_add_f32_e32 v6, 1.0, v6
	s_nop 0
	v_cndmask_b32_e32 v7, v4, v8, vcc
	v_add_f32_e32 v7, 1.0, v7
	v_rcp_f32_e32 v7, v7
	s_nop 0
	v_mul_f32_e32 v5, v5, v7
	v_fma_mixlo_f16 v5, v6, v5, 0
	buffer_store_short v5, v2, s[8:11], 0 offen
	v_add_u32_e32 v2, s26, v2
	s_andn2_b64 exec, exec, s[24:25]
	s_cbranch_execnz .LBB280_8
.LBB280_9:
	s_endpgm
	.section	.rodata,"a",@progbits
	.p2align	6, 0x0
	.amdhsa_kernel _ZN5aiter30swiglu_act_and_mul_bias_kernelIfDF16_sfLi1EEEvPT0_PKT_PKT1_PKT2_il
		.amdhsa_group_segment_fixed_size 0
		.amdhsa_private_segment_fixed_size 0
		.amdhsa_kernarg_size 304
		.amdhsa_user_sgpr_count 2
		.amdhsa_user_sgpr_dispatch_ptr 0
		.amdhsa_user_sgpr_queue_ptr 0
		.amdhsa_user_sgpr_kernarg_segment_ptr 1
		.amdhsa_user_sgpr_dispatch_id 0
		.amdhsa_user_sgpr_kernarg_preload_length 0
		.amdhsa_user_sgpr_kernarg_preload_offset 0
		.amdhsa_user_sgpr_private_segment_size 0
		.amdhsa_uses_dynamic_stack 0
		.amdhsa_enable_private_segment 0
		.amdhsa_system_sgpr_workgroup_id_x 1
		.amdhsa_system_sgpr_workgroup_id_y 0
		.amdhsa_system_sgpr_workgroup_id_z 0
		.amdhsa_system_sgpr_workgroup_info 0
		.amdhsa_system_vgpr_workitem_id 0
		.amdhsa_next_free_vgpr 11
		.amdhsa_next_free_sgpr 31
		.amdhsa_accum_offset 12
		.amdhsa_reserve_vcc 1
		.amdhsa_float_round_mode_32 0
		.amdhsa_float_round_mode_16_64 0
		.amdhsa_float_denorm_mode_32 3
		.amdhsa_float_denorm_mode_16_64 3
		.amdhsa_dx10_clamp 1
		.amdhsa_ieee_mode 1
		.amdhsa_fp16_overflow 0
		.amdhsa_tg_split 0
		.amdhsa_exception_fp_ieee_invalid_op 0
		.amdhsa_exception_fp_denorm_src 0
		.amdhsa_exception_fp_ieee_div_zero 0
		.amdhsa_exception_fp_ieee_overflow 0
		.amdhsa_exception_fp_ieee_underflow 0
		.amdhsa_exception_fp_ieee_inexact 0
		.amdhsa_exception_int_div_zero 0
	.end_amdhsa_kernel
	.section	.text._ZN5aiter30swiglu_act_and_mul_bias_kernelIfDF16_sfLi1EEEvPT0_PKT_PKT1_PKT2_il,"axG",@progbits,_ZN5aiter30swiglu_act_and_mul_bias_kernelIfDF16_sfLi1EEEvPT0_PKT_PKT1_PKT2_il,comdat
.Lfunc_end280:
	.size	_ZN5aiter30swiglu_act_and_mul_bias_kernelIfDF16_sfLi1EEEvPT0_PKT_PKT1_PKT2_il, .Lfunc_end280-_ZN5aiter30swiglu_act_and_mul_bias_kernelIfDF16_sfLi1EEEvPT0_PKT_PKT1_PKT2_il
                                        ; -- End function
	.section	.AMDGPU.csdata,"",@progbits
; Kernel info:
; codeLenInByte = 772
; NumSgprs: 37
; NumVgprs: 11
; NumAgprs: 0
; TotalNumVgprs: 11
; ScratchSize: 0
; MemoryBound: 0
; FloatMode: 240
; IeeeMode: 1
; LDSByteSize: 0 bytes/workgroup (compile time only)
; SGPRBlocks: 4
; VGPRBlocks: 1
; NumSGPRsForWavesPerEU: 37
; NumVGPRsForWavesPerEU: 11
; AccumOffset: 12
; Occupancy: 8
; WaveLimiterHint : 0
; COMPUTE_PGM_RSRC2:SCRATCH_EN: 0
; COMPUTE_PGM_RSRC2:USER_SGPR: 2
; COMPUTE_PGM_RSRC2:TRAP_HANDLER: 0
; COMPUTE_PGM_RSRC2:TGID_X_EN: 1
; COMPUTE_PGM_RSRC2:TGID_Y_EN: 0
; COMPUTE_PGM_RSRC2:TGID_Z_EN: 0
; COMPUTE_PGM_RSRC2:TIDIG_COMP_CNT: 0
; COMPUTE_PGM_RSRC3_GFX90A:ACCUM_OFFSET: 2
; COMPUTE_PGM_RSRC3_GFX90A:TG_SPLIT: 0
	.section	.text._ZN5aiter30swiglu_act_and_mul_bias_kernelIffsfLi16EEEvPT0_PKT_PKT1_PKT2_il,"axG",@progbits,_ZN5aiter30swiglu_act_and_mul_bias_kernelIffsfLi16EEEvPT0_PKT_PKT1_PKT2_il,comdat
	.protected	_ZN5aiter30swiglu_act_and_mul_bias_kernelIffsfLi16EEEvPT0_PKT_PKT1_PKT2_il ; -- Begin function _ZN5aiter30swiglu_act_and_mul_bias_kernelIffsfLi16EEEvPT0_PKT_PKT1_PKT2_il
	.globl	_ZN5aiter30swiglu_act_and_mul_bias_kernelIffsfLi16EEEvPT0_PKT_PKT1_PKT2_il
	.p2align	8
	.type	_ZN5aiter30swiglu_act_and_mul_bias_kernelIffsfLi16EEEvPT0_PKT_PKT1_PKT2_il,@function
_ZN5aiter30swiglu_act_and_mul_bias_kernelIffsfLi16EEEvPT0_PKT_PKT1_PKT2_il: ; @_ZN5aiter30swiglu_act_and_mul_bias_kernelIffsfLi16EEEvPT0_PKT_PKT1_PKT2_il
; %bb.0:
	s_load_dword s24, s[0:1], 0x20
	s_load_dwordx2 s[4:5], s[0:1], 0x10
	s_load_dwordx2 s[6:7], s[0:1], 0x28
	s_mov_b32 s3, 0
	s_lshl_b64 s[8:9], s[2:3], 1
	s_waitcnt lgkmcnt(0)
	s_ashr_i32 s25, s24, 31
	s_add_u32 s4, s4, s8
	s_addc_u32 s5, s5, s9
	v_mov_b32_e32 v1, 0
	global_load_ushort v1, v1, s[4:5]
	s_load_dwordx2 s[4:5], s[0:1], 0x0
	s_mul_hi_u32 s3, s24, s2
	v_mov_b64_e32 v[2:3], s[6:7]
	s_mul_i32 s7, s25, s2
	s_mul_i32 s8, s24, s2
	s_add_i32 s9, s3, s7
	s_lshl_b64 s[12:13], s[8:9], 2
	s_lshl_b32 s6, s24, 2
	s_mov_b64 s[10:11], -1
	v_lshlrev_b32_e32 v44, 4, v0
	s_waitcnt vmcnt(0)
	v_readfirstlane_b32 s3, v1
	s_sext_i32_i16 s8, s3
	s_ashr_i32 s9, s8, 31
	s_waitcnt lgkmcnt(0)
	s_add_u32 s4, s4, s12
	s_addc_u32 s3, s5, s13
	s_and_b32 s5, s3, 0xffff
	s_cmp_gt_i32 s8, -1
	v_cmp_lt_i64_e32 vcc, s[8:9], v[2:3]
	s_cselect_b64 s[12:13], -1, 0
	s_and_b64 s[12:13], s[12:13], vcc
	s_and_b64 vcc, exec, s[12:13]
	s_cbranch_vccnz .LBB281_5
; %bb.1:
	v_cmp_gt_i32_e32 vcc, s24, v44
	s_and_saveexec_b64 s[10:11], vcc
	s_cbranch_execz .LBB281_4
; %bb.2:
	s_load_dword s3, s[0:1], 0x3c
	s_mov_b32 s13, 0
	s_mov_b32 s16, s13
	;; [unrolled: 1-line block ×3, first 2 shown]
	v_mov_b32_e32 v45, 0
	s_waitcnt lgkmcnt(0)
	s_and_b32 s3, s3, 0xffff
	s_mov_b32 s18, s13
	s_mov_b32 s19, s13
	v_mov_b64_e32 v[2:3], s[16:17]
	v_lshlrev_b32_e32 v1, 6, v0
	s_lshl_b32 s12, s3, 4
	s_lshl_b32 s3, s3, 6
	s_mov_b64 s[14:15], 0
	s_mov_b32 s7, 0x20000
	v_mov_b64_e32 v[4:5], s[18:19]
	v_mov_b64_e32 v[6:7], v[44:45]
.LBB281_3:                              ; =>This Inner Loop Header: Depth=1
	v_lshl_add_u64 v[6:7], s[12:13], 0, v[6:7]
	v_cmp_le_i64_e32 vcc, s[24:25], v[6:7]
	buffer_store_dwordx4 v[2:5], v1, s[4:7], 0 offen
	buffer_store_dwordx4 v[2:5], v1, s[4:7], 16 offen
	;; [unrolled: 1-line block ×4, first 2 shown]
	s_or_b64 s[14:15], vcc, s[14:15]
	v_add_u32_e32 v1, s3, v1
	s_andn2_b64 exec, exec, s[14:15]
	s_cbranch_execnz .LBB281_3
.LBB281_4:
	s_or_b64 exec, exec, s[10:11]
	s_mov_b64 s[10:11], 0
.LBB281_5:
	s_andn2_b64 vcc, exec, s[10:11]
	s_cbranch_vccnz .LBB281_9
; %bb.6:
	v_cmp_gt_i32_e32 vcc, s24, v44
	s_and_saveexec_b64 s[10:11], vcc
	s_cbranch_execz .LBB281_9
; %bb.7:
	s_load_dwordx2 s[10:11], s[0:1], 0x8
	s_load_dwordx2 s[12:13], s[0:1], 0x18
	s_mul_hi_i32 s9, s24, s8
	s_mul_i32 s8, s24, s8
	s_lshl_b64 s[8:9], s[8:9], 3
	s_load_dword s14, s[0:1], 0x3c
	s_waitcnt lgkmcnt(0)
	s_add_u32 s8, s12, s8
	s_addc_u32 s3, s13, s9
	s_lshl_b64 s[0:1], s[24:25], 2
	s_add_u32 s12, s8, s0
	s_addc_u32 s13, s3, s1
	s_and_b32 s9, s3, 0xffff
	s_mul_i32 s3, s2, s25
	s_mul_hi_u32 s15, s2, s24
	s_add_i32 s3, s15, s3
	s_mul_i32 s2, s2, s24
	s_and_b32 s13, s13, 0xffff
	s_lshl_b64 s[2:3], s[2:3], 3
	s_add_u32 s16, s10, s2
	s_addc_u32 s2, s11, s3
	s_add_u32 s20, s16, s0
	s_addc_u32 s0, s2, s1
	s_mov_b32 s7, 0x20000
	s_and_b32 s21, s0, 0xffff
	s_and_b32 s0, s14, 0xffff
	;; [unrolled: 1-line block ×3, first 2 shown]
	s_mov_b32 s3, 0
	v_mov_b32_e32 v45, 0
	s_lshl_b32 s2, s0, 4
	v_lshlrev_b32_e32 v48, 6, v0
	s_lshl_b32 s28, s0, 6
	s_mov_b64 s[26:27], 0
	s_mov_b32 s15, s7
	s_mov_b32 s14, s6
	;; [unrolled: 1-line block ×7, first 2 shown]
	v_mov_b32_e32 v49, 0x7f800000
	s_mov_b32 s33, 0xc0e00000
	v_mov_b32_e32 v50, 0x40e00000
	s_mov_b32 s22, s6
	s_mov_b32 s23, s7
	;; [unrolled: 1-line block ×4, first 2 shown]
.LBB281_8:                              ; =>This Inner Loop Header: Depth=1
	buffer_load_dwordx4 v[38:41], v48, s[8:11], 0 offen
	buffer_load_dwordx4 v[52:55], v48, s[16:19], 0 offen
	;; [unrolled: 1-line block ×12, first 2 shown]
	v_lshl_add_u64 v[44:45], s[2:3], 0, v[44:45]
	s_waitcnt vmcnt(10)
	v_pk_add_f32 v[38:39], v[52:53], v[38:39]
	v_pk_add_f32 v[32:33], v[54:55], v[40:41]
	s_waitcnt vmcnt(8)
	v_pk_add_f32 v[12:13], v[12:13], v[56:57]
	v_min_f32_e32 v32, 0x40e00000, v32
	s_waitcnt vmcnt(6)
	v_pk_add_f32 v[28:29], v[28:29], v[34:35]
	v_min_f32_e32 v34, 0x40e00000, v38
	v_mul_f32_e32 v38, 0xbfd9db23, v34
	v_mul_f32_e32 v42, 0x3fb8aa3b, v38
	v_mul_f32_e32 v40, 0xbfd9db23, v32
	v_fma_f32 v51, v38, s29, -v42
	v_rndne_f32_e32 v52, v42
	v_mul_f32_e32 v46, 0x3fb8aa3b, v40
	v_fmac_f32_e32 v51, 0x32a5705f, v38
	v_sub_f32_e32 v42, v42, v52
	v_min_f32_e32 v35, 0x40e00000, v39
	v_fma_f32 v55, v40, s29, -v46
	v_add_f32_e32 v42, v42, v51
	v_rndne_f32_e32 v51, v46
	v_mul_f32_e32 v39, 0xbfd9db23, v35
	v_fmac_f32_e32 v55, 0x32a5705f, v40
	v_sub_f32_e32 v46, v46, v51
	v_min_f32_e32 v33, 0x40e00000, v33
	v_mul_f32_e32 v43, 0x3fb8aa3b, v39
	v_add_f32_e32 v55, v46, v55
	v_cvt_i32_f32_e32 v46, v52
	v_exp_f32_e32 v42, v42
	v_mul_f32_e32 v41, 0xbfd9db23, v33
	v_fma_f32 v53, v39, s29, -v43
	v_rndne_f32_e32 v54, v43
	v_mul_f32_e32 v47, 0x3fb8aa3b, v41
	v_fmac_f32_e32 v53, 0x32a5705f, v39
	v_sub_f32_e32 v43, v43, v54
	v_add_f32_e32 v43, v43, v53
	v_fma_f32 v53, v41, s29, -v47
	v_rndne_f32_e32 v56, v47
	v_fmac_f32_e32 v53, 0x32a5705f, v41
	v_sub_f32_e32 v47, v47, v56
	v_ldexp_f32 v42, v42, v46
	v_min_f32_e32 v46, 0x40e00000, v28
	v_cvt_i32_f32_e32 v28, v54
	v_exp_f32_e32 v43, v43
	v_add_f32_e32 v47, v47, v53
	v_cvt_i32_f32_e32 v51, v51
	v_exp_f32_e32 v53, v55
	v_cvt_i32_f32_e32 v52, v56
	v_exp_f32_e32 v47, v47
	v_cmp_ngt_f32_e32 vcc, s30, v38
	v_ldexp_f32 v28, v43, v28
	v_cmp_ngt_f32_e64 s[0:1], s30, v39
	v_cndmask_b32_e32 v42, 0, v42, vcc
	v_cmp_nlt_f32_e32 vcc, s31, v38
	v_ldexp_f32 v43, v53, v51
	v_cndmask_b32_e64 v28, 0, v28, s[0:1]
	v_cmp_ngt_f32_e64 s[0:1], s30, v40
	v_cndmask_b32_e32 v42, v49, v42, vcc
	v_cmp_nlt_f32_e32 vcc, s31, v39
	v_ldexp_f32 v47, v47, v52
	v_cndmask_b32_e64 v38, 0, v43, s[0:1]
	v_cmp_ngt_f32_e64 s[0:1], s30, v41
	v_cndmask_b32_e32 v28, v49, v28, vcc
	v_cmp_nlt_f32_e32 vcc, s31, v40
	v_cndmask_b32_e64 v43, 0, v47, s[0:1]
	v_add_f32_e32 v40, 1.0, v42
	v_cndmask_b32_e32 v38, v49, v38, vcc
	v_cmp_nlt_f32_e32 vcc, s31, v41
	v_add_f32_e32 v28, 1.0, v28
	v_add_f32_e32 v41, 1.0, v38
	v_cndmask_b32_e32 v39, v49, v43, vcc
	v_add_f32_e32 v42, 1.0, v39
	v_mul_f32_e32 v54, 0xbfd9db23, v46
	v_rcp_f32_e32 v38, v40
	v_rcp_f32_e32 v39, v28
	;; [unrolled: 1-line block ×4, first 2 shown]
	v_mul_f32_e32 v51, 0x3fb8aa3b, v54
	v_fma_f32 v52, v54, s29, -v51
	v_rndne_f32_e32 v55, v51
	v_fmac_f32_e32 v52, 0x32a5705f, v54
	v_sub_f32_e32 v28, v51, v55
	v_add_f32_e32 v28, v28, v52
	v_pk_mul_f32 v[38:39], v[34:35], v[38:39]
	v_pk_mul_f32 v[52:53], v[32:33], v[40:41]
	buffer_load_dwordx4 v[40:43], v48, s[8:11], 32 offen
	buffer_load_dwordx4 v[32:35], v48, s[8:11], 48 offen
	v_min_f32_e32 v47, 0x40e00000, v29
	v_med3_f32 v13, v13, s33, v50
	v_med3_f32 v12, v12, s33, v50
	v_mul_f32_e32 v29, 0xbfd9db23, v47
	v_pk_add_f32 v[12:13], v[12:13], 1.0 op_sel_hi:[1,0]
	v_exp_f32_e32 v28, v28
	v_cvt_i32_f32_e32 v51, v55
	v_pk_add_f32 v[30:31], v[30:31], v[36:37]
	v_mul_f32_e32 v36, 0x3fb8aa3b, v29
	v_pk_mul_f32 v[12:13], v[12:13], v[38:39]
	v_fma_f32 v37, v29, s29, -v36
	v_rndne_f32_e32 v38, v36
	v_fmac_f32_e32 v37, 0x32a5705f, v29
	v_sub_f32_e32 v36, v36, v38
	v_add_f32_e32 v36, v36, v37
	v_ldexp_f32 v28, v28, v51
	v_cmp_ngt_f32_e32 vcc, s30, v54
	v_exp_f32_e32 v36, v36
	v_cvt_i32_f32_e32 v37, v38
	v_pk_add_f32 v[14:15], v[14:15], v[58:59]
	v_cndmask_b32_e32 v28, 0, v28, vcc
	v_cmp_nlt_f32_e32 vcc, s31, v54
	v_med3_f32 v15, v15, s33, v50
	v_med3_f32 v14, v14, s33, v50
	v_cndmask_b32_e32 v28, v49, v28, vcc
	v_pk_add_f32 v[14:15], v[14:15], 1.0 op_sel_hi:[1,0]
	v_add_f32_e32 v28, 1.0, v28
	v_min_f32_e32 v54, 0x40e00000, v30
	v_pk_mul_f32 v[14:15], v[14:15], v[52:53]
	v_rcp_f32_e32 v52, v28
	v_ldexp_f32 v28, v36, v37
	v_cmp_ngt_f32_e32 vcc, s30, v29
	v_mul_f32_e32 v51, 0xbfd9db23, v54
	v_min_f32_e32 v55, 0x40e00000, v31
	v_cndmask_b32_e32 v28, 0, v28, vcc
	v_cmp_nlt_f32_e32 vcc, s31, v29
	v_mul_f32_e32 v29, 0x3fb8aa3b, v51
	v_fma_f32 v30, v51, s29, -v29
	v_rndne_f32_e32 v36, v29
	v_fmac_f32_e32 v30, 0x32a5705f, v51
	v_sub_f32_e32 v29, v29, v36
	v_add_f32_e32 v29, v29, v30
	v_exp_f32_e32 v29, v29
	v_cvt_i32_f32_e32 v30, v36
	v_cndmask_b32_e32 v28, v49, v28, vcc
	v_add_f32_e32 v28, 1.0, v28
	v_mul_f32_e32 v57, 0xbfd9db23, v55
	v_rcp_f32_e32 v53, v28
	v_mul_f32_e32 v28, 0x3fb8aa3b, v57
	v_ldexp_f32 v56, v29, v30
	v_fma_f32 v29, v57, s29, -v28
	v_rndne_f32_e32 v58, v28
	v_fmac_f32_e32 v29, 0x32a5705f, v57
	v_sub_f32_e32 v28, v28, v58
	v_add_f32_e32 v59, v28, v29
	buffer_load_dwordx4 v[36:39], v48, s[12:15], 32 offen
	buffer_load_dwordx4 v[28:31], v48, s[12:15], 48 offen
	v_cmp_ngt_f32_e32 vcc, s30, v51
	v_exp_f32_e32 v59, v59
	v_cvt_i32_f32_e32 v58, v58
	v_cndmask_b32_e32 v56, 0, v56, vcc
	v_cmp_nlt_f32_e32 vcc, s31, v51
	s_waitcnt vmcnt(4)
	v_pk_add_f32 v[22:23], v[22:23], v[26:27]
	v_pk_add_f32 v[20:21], v[20:21], v[24:25]
	v_cndmask_b32_e32 v51, v49, v56, vcc
	v_add_f32_e32 v51, 1.0, v51
	v_rcp_f32_e32 v56, v51
	v_ldexp_f32 v51, v59, v58
	v_cmp_ngt_f32_e32 vcc, s30, v57
	v_med3_f32 v23, v23, s33, v50
	v_med3_f32 v22, v22, s33, v50
	v_cndmask_b32_e32 v51, 0, v51, vcc
	v_cmp_nlt_f32_e32 vcc, s31, v57
	v_pk_add_f32 v[22:23], v[22:23], 1.0 op_sel_hi:[1,0]
	v_med3_f32 v21, v21, s33, v50
	v_cndmask_b32_e32 v51, v49, v51, vcc
	v_add_f32_e32 v51, 1.0, v51
	v_rcp_f32_e32 v57, v51
	v_med3_f32 v20, v20, s33, v50
	s_waitcnt vmcnt(3)
	v_pk_add_f32 v[16:17], v[16:17], v[40:41]
	v_pk_add_f32 v[20:21], v[20:21], 1.0 op_sel_hi:[1,0]
	v_pk_mul_f32 v[26:27], v[54:55], v[56:57]
	v_min_f32_e32 v16, 0x40e00000, v16
	v_pk_mul_f32 v[22:23], v[22:23], v[26:27]
	v_mul_f32_e32 v26, 0xbfd9db23, v16
	v_mul_f32_e32 v27, 0x3fb8aa3b, v26
	v_fma_f32 v40, v26, s29, -v27
	v_rndne_f32_e32 v41, v27
	v_fmac_f32_e32 v40, 0x32a5705f, v26
	v_sub_f32_e32 v27, v27, v41
	v_add_f32_e32 v27, v27, v40
	v_exp_f32_e32 v27, v27
	v_cvt_i32_f32_e32 v40, v41
	v_pk_mul_f32 v[24:25], v[46:47], v[52:53]
	v_min_f32_e32 v17, 0x40e00000, v17
	v_pk_mul_f32 v[20:21], v[20:21], v[24:25]
	v_mul_f32_e32 v25, 0xbfd9db23, v17
	v_ldexp_f32 v24, v27, v40
	v_mul_f32_e32 v27, 0x3fb8aa3b, v25
	v_fma_f32 v40, v25, s29, -v27
	v_rndne_f32_e32 v41, v27
	v_fmac_f32_e32 v40, 0x32a5705f, v25
	v_sub_f32_e32 v27, v27, v41
	v_add_f32_e32 v27, v27, v40
	v_exp_f32_e32 v27, v27
	v_cvt_i32_f32_e32 v40, v41
	v_cmp_ngt_f32_e32 vcc, s30, v26
	v_pk_add_f32 v[18:19], v[18:19], v[42:43]
	s_waitcnt vmcnt(2)
	v_pk_add_f32 v[4:5], v[4:5], v[32:33]
	v_cndmask_b32_e32 v24, 0, v24, vcc
	v_cmp_nlt_f32_e32 vcc, s31, v26
	v_ldexp_f32 v26, v27, v40
	v_min_f32_e32 v18, 0x40e00000, v18
	v_cndmask_b32_e32 v24, v49, v24, vcc
	v_cmp_ngt_f32_e32 vcc, s30, v25
	v_min_f32_e32 v19, 0x40e00000, v19
	v_add_f32_e32 v24, 1.0, v24
	v_cndmask_b32_e32 v26, 0, v26, vcc
	v_cmp_nlt_f32_e32 vcc, s31, v25
	v_rcp_f32_e32 v24, v24
	v_min_f32_e32 v4, 0x40e00000, v4
	v_cndmask_b32_e32 v25, v49, v26, vcc
	v_mul_f32_e32 v26, 0xbfd9db23, v18
	v_mul_f32_e32 v27, 0x3fb8aa3b, v26
	v_fma_f32 v40, v26, s29, -v27
	v_rndne_f32_e32 v41, v27
	v_fmac_f32_e32 v40, 0x32a5705f, v26
	v_sub_f32_e32 v27, v27, v41
	v_add_f32_e32 v27, v27, v40
	v_exp_f32_e32 v27, v27
	v_cvt_i32_f32_e32 v40, v41
	v_cmp_ngt_f32_e32 vcc, s30, v26
	v_add_f32_e32 v25, 1.0, v25
	v_rcp_f32_e32 v25, v25
	v_ldexp_f32 v27, v27, v40
	v_mul_f32_e32 v40, 0xbfd9db23, v19
	v_mul_f32_e32 v41, 0x3fb8aa3b, v40
	v_fma_f32 v42, v40, s29, -v41
	v_rndne_f32_e32 v43, v41
	v_fmac_f32_e32 v42, 0x32a5705f, v40
	v_sub_f32_e32 v41, v41, v43
	v_add_f32_e32 v41, v41, v42
	v_exp_f32_e32 v41, v41
	v_cvt_i32_f32_e32 v42, v43
	v_cndmask_b32_e32 v27, 0, v27, vcc
	v_cmp_nlt_f32_e32 vcc, s31, v26
	s_waitcnt vmcnt(1)
	v_pk_add_f32 v[10:11], v[10:11], v[38:39]
	v_pk_mul_f32 v[16:17], v[16:17], v[24:25]
	v_cndmask_b32_e32 v26, v49, v27, vcc
	v_ldexp_f32 v27, v41, v42
	v_cmp_ngt_f32_e32 vcc, s30, v40
	v_add_f32_e32 v26, 1.0, v26
	v_rcp_f32_e32 v26, v26
	v_cndmask_b32_e32 v27, 0, v27, vcc
	v_cmp_nlt_f32_e32 vcc, s31, v40
	v_med3_f32 v11, v11, s33, v50
	v_med3_f32 v10, v10, s33, v50
	v_cndmask_b32_e32 v27, v49, v27, vcc
	v_add_f32_e32 v27, 1.0, v27
	v_rcp_f32_e32 v27, v27
	v_pk_add_f32 v[10:11], v[10:11], 1.0 op_sel_hi:[1,0]
	v_pk_add_f32 v[8:9], v[8:9], v[36:37]
	v_min_f32_e32 v5, 0x40e00000, v5
	v_pk_mul_f32 v[18:19], v[18:19], v[26:27]
	v_med3_f32 v9, v9, s33, v50
	v_pk_mul_f32 v[10:11], v[10:11], v[18:19]
	v_mul_f32_e32 v18, 0xbfd9db23, v4
	v_mul_f32_e32 v19, 0x3fb8aa3b, v18
	v_fma_f32 v24, v18, s29, -v19
	v_rndne_f32_e32 v25, v19
	v_fmac_f32_e32 v24, 0x32a5705f, v18
	v_sub_f32_e32 v19, v19, v25
	v_add_f32_e32 v19, v19, v24
	v_exp_f32_e32 v19, v19
	v_cvt_i32_f32_e32 v24, v25
	v_med3_f32 v8, v8, s33, v50
	v_pk_add_f32 v[8:9], v[8:9], 1.0 op_sel_hi:[1,0]
	v_cmp_ngt_f32_e32 vcc, s30, v18
	v_pk_mul_f32 v[8:9], v[8:9], v[16:17]
	v_mul_f32_e32 v17, 0xbfd9db23, v5
	v_ldexp_f32 v16, v19, v24
	v_mul_f32_e32 v19, 0x3fb8aa3b, v17
	v_fma_f32 v24, v17, s29, -v19
	v_rndne_f32_e32 v25, v19
	v_fmac_f32_e32 v24, 0x32a5705f, v17
	v_sub_f32_e32 v19, v19, v25
	v_add_f32_e32 v19, v19, v24
	v_exp_f32_e32 v19, v19
	v_cvt_i32_f32_e32 v24, v25
	v_cndmask_b32_e32 v16, 0, v16, vcc
	v_cmp_nlt_f32_e32 vcc, s31, v18
	v_pk_add_f32 v[6:7], v[6:7], v[34:35]
	v_ldexp_f32 v18, v19, v24
	v_cndmask_b32_e32 v16, v49, v16, vcc
	v_cmp_ngt_f32_e32 vcc, s30, v17
	v_min_f32_e32 v6, 0x40e00000, v6
	v_min_f32_e32 v7, 0x40e00000, v7
	v_cndmask_b32_e32 v18, 0, v18, vcc
	v_cmp_nlt_f32_e32 vcc, s31, v17
	v_add_f32_e32 v16, 1.0, v16
	v_rcp_f32_e32 v16, v16
	v_cndmask_b32_e32 v17, v49, v18, vcc
	v_mul_f32_e32 v18, 0xbfd9db23, v6
	v_mul_f32_e32 v19, 0x3fb8aa3b, v18
	v_fma_f32 v24, v18, s29, -v19
	v_rndne_f32_e32 v25, v19
	v_fmac_f32_e32 v24, 0x32a5705f, v18
	v_sub_f32_e32 v19, v19, v25
	v_add_f32_e32 v19, v19, v24
	v_exp_f32_e32 v19, v19
	v_cvt_i32_f32_e32 v24, v25
	v_cmp_ngt_f32_e32 vcc, s30, v18
	v_add_f32_e32 v17, 1.0, v17
	v_rcp_f32_e32 v17, v17
	v_ldexp_f32 v19, v19, v24
	v_mul_f32_e32 v24, 0xbfd9db23, v7
	v_mul_f32_e32 v25, 0x3fb8aa3b, v24
	v_fma_f32 v26, v24, s29, -v25
	v_rndne_f32_e32 v27, v25
	v_fmac_f32_e32 v26, 0x32a5705f, v24
	v_sub_f32_e32 v25, v25, v27
	v_add_f32_e32 v25, v25, v26
	v_exp_f32_e32 v25, v25
	v_cvt_i32_f32_e32 v26, v27
	v_cndmask_b32_e32 v19, 0, v19, vcc
	v_cmp_nlt_f32_e32 vcc, s31, v18
	s_waitcnt vmcnt(0)
	v_pk_add_f32 v[2:3], v[2:3], v[30:31]
	v_pk_add_f32 v[0:1], v[0:1], v[28:29]
	v_cndmask_b32_e32 v18, v49, v19, vcc
	v_ldexp_f32 v19, v25, v26
	v_cmp_ngt_f32_e32 vcc, s30, v24
	v_add_f32_e32 v18, 1.0, v18
	v_rcp_f32_e32 v18, v18
	v_cndmask_b32_e32 v19, 0, v19, vcc
	v_cmp_nlt_f32_e32 vcc, s31, v24
	v_med3_f32 v3, v3, s33, v50
	v_med3_f32 v2, v2, s33, v50
	v_cndmask_b32_e32 v19, v49, v19, vcc
	v_add_f32_e32 v19, 1.0, v19
	v_rcp_f32_e32 v19, v19
	v_med3_f32 v1, v1, s33, v50
	v_med3_f32 v0, v0, s33, v50
	v_pk_add_f32 v[2:3], v[2:3], 1.0 op_sel_hi:[1,0]
	v_pk_add_f32 v[0:1], v[0:1], 1.0 op_sel_hi:[1,0]
	v_pk_mul_f32 v[4:5], v[4:5], v[16:17]
	v_pk_mul_f32 v[6:7], v[6:7], v[18:19]
	v_cmp_le_i64_e32 vcc, s[24:25], v[44:45]
	v_pk_mul_f32 v[2:3], v[2:3], v[6:7]
	v_pk_mul_f32 v[0:1], v[0:1], v[4:5]
	buffer_store_dwordx4 v[12:15], v48, s[4:7], 0 offen
	buffer_store_dwordx4 v[20:23], v48, s[4:7], 16 offen
	;; [unrolled: 1-line block ×4, first 2 shown]
	s_or_b64 s[26:27], vcc, s[26:27]
	v_add_u32_e32 v48, s28, v48
	s_andn2_b64 exec, exec, s[26:27]
	s_cbranch_execnz .LBB281_8
.LBB281_9:
	s_endpgm
	.section	.rodata,"a",@progbits
	.p2align	6, 0x0
	.amdhsa_kernel _ZN5aiter30swiglu_act_and_mul_bias_kernelIffsfLi16EEEvPT0_PKT_PKT1_PKT2_il
		.amdhsa_group_segment_fixed_size 0
		.amdhsa_private_segment_fixed_size 0
		.amdhsa_kernarg_size 304
		.amdhsa_user_sgpr_count 2
		.amdhsa_user_sgpr_dispatch_ptr 0
		.amdhsa_user_sgpr_queue_ptr 0
		.amdhsa_user_sgpr_kernarg_segment_ptr 1
		.amdhsa_user_sgpr_dispatch_id 0
		.amdhsa_user_sgpr_kernarg_preload_length 0
		.amdhsa_user_sgpr_kernarg_preload_offset 0
		.amdhsa_user_sgpr_private_segment_size 0
		.amdhsa_uses_dynamic_stack 0
		.amdhsa_enable_private_segment 0
		.amdhsa_system_sgpr_workgroup_id_x 1
		.amdhsa_system_sgpr_workgroup_id_y 0
		.amdhsa_system_sgpr_workgroup_id_z 0
		.amdhsa_system_sgpr_workgroup_info 0
		.amdhsa_system_vgpr_workitem_id 0
		.amdhsa_next_free_vgpr 60
		.amdhsa_next_free_sgpr 34
		.amdhsa_accum_offset 60
		.amdhsa_reserve_vcc 1
		.amdhsa_float_round_mode_32 0
		.amdhsa_float_round_mode_16_64 0
		.amdhsa_float_denorm_mode_32 3
		.amdhsa_float_denorm_mode_16_64 3
		.amdhsa_dx10_clamp 1
		.amdhsa_ieee_mode 1
		.amdhsa_fp16_overflow 0
		.amdhsa_tg_split 0
		.amdhsa_exception_fp_ieee_invalid_op 0
		.amdhsa_exception_fp_denorm_src 0
		.amdhsa_exception_fp_ieee_div_zero 0
		.amdhsa_exception_fp_ieee_overflow 0
		.amdhsa_exception_fp_ieee_underflow 0
		.amdhsa_exception_fp_ieee_inexact 0
		.amdhsa_exception_int_div_zero 0
	.end_amdhsa_kernel
	.section	.text._ZN5aiter30swiglu_act_and_mul_bias_kernelIffsfLi16EEEvPT0_PKT_PKT1_PKT2_il,"axG",@progbits,_ZN5aiter30swiglu_act_and_mul_bias_kernelIffsfLi16EEEvPT0_PKT_PKT1_PKT2_il,comdat
.Lfunc_end281:
	.size	_ZN5aiter30swiglu_act_and_mul_bias_kernelIffsfLi16EEEvPT0_PKT_PKT1_PKT2_il, .Lfunc_end281-_ZN5aiter30swiglu_act_and_mul_bias_kernelIffsfLi16EEEvPT0_PKT_PKT1_PKT2_il
                                        ; -- End function
	.section	.AMDGPU.csdata,"",@progbits
; Kernel info:
; codeLenInByte = 2760
; NumSgprs: 40
; NumVgprs: 60
; NumAgprs: 0
; TotalNumVgprs: 60
; ScratchSize: 0
; MemoryBound: 0
; FloatMode: 240
; IeeeMode: 1
; LDSByteSize: 0 bytes/workgroup (compile time only)
; SGPRBlocks: 4
; VGPRBlocks: 7
; NumSGPRsForWavesPerEU: 40
; NumVGPRsForWavesPerEU: 60
; AccumOffset: 60
; Occupancy: 8
; WaveLimiterHint : 0
; COMPUTE_PGM_RSRC2:SCRATCH_EN: 0
; COMPUTE_PGM_RSRC2:USER_SGPR: 2
; COMPUTE_PGM_RSRC2:TRAP_HANDLER: 0
; COMPUTE_PGM_RSRC2:TGID_X_EN: 1
; COMPUTE_PGM_RSRC2:TGID_Y_EN: 0
; COMPUTE_PGM_RSRC2:TGID_Z_EN: 0
; COMPUTE_PGM_RSRC2:TIDIG_COMP_CNT: 0
; COMPUTE_PGM_RSRC3_GFX90A:ACCUM_OFFSET: 14
; COMPUTE_PGM_RSRC3_GFX90A:TG_SPLIT: 0
	.section	.text._ZN5aiter30swiglu_act_and_mul_bias_kernelIffsfLi8EEEvPT0_PKT_PKT1_PKT2_il,"axG",@progbits,_ZN5aiter30swiglu_act_and_mul_bias_kernelIffsfLi8EEEvPT0_PKT_PKT1_PKT2_il,comdat
	.protected	_ZN5aiter30swiglu_act_and_mul_bias_kernelIffsfLi8EEEvPT0_PKT_PKT1_PKT2_il ; -- Begin function _ZN5aiter30swiglu_act_and_mul_bias_kernelIffsfLi8EEEvPT0_PKT_PKT1_PKT2_il
	.globl	_ZN5aiter30swiglu_act_and_mul_bias_kernelIffsfLi8EEEvPT0_PKT_PKT1_PKT2_il
	.p2align	8
	.type	_ZN5aiter30swiglu_act_and_mul_bias_kernelIffsfLi8EEEvPT0_PKT_PKT1_PKT2_il,@function
_ZN5aiter30swiglu_act_and_mul_bias_kernelIffsfLi8EEEvPT0_PKT_PKT1_PKT2_il: ; @_ZN5aiter30swiglu_act_and_mul_bias_kernelIffsfLi8EEEvPT0_PKT_PKT1_PKT2_il
; %bb.0:
	s_load_dword s20, s[0:1], 0x20
	s_load_dwordx2 s[4:5], s[0:1], 0x10
	s_load_dwordx2 s[6:7], s[0:1], 0x28
	s_mov_b32 s3, 0
	s_lshl_b64 s[8:9], s[2:3], 1
	s_waitcnt lgkmcnt(0)
	s_ashr_i32 s21, s20, 31
	s_add_u32 s4, s4, s8
	s_addc_u32 s5, s5, s9
	v_mov_b32_e32 v1, 0
	global_load_ushort v1, v1, s[4:5]
	s_load_dwordx2 s[4:5], s[0:1], 0x0
	s_mul_hi_u32 s3, s20, s2
	v_mov_b64_e32 v[2:3], s[6:7]
	s_mul_i32 s7, s21, s2
	s_mul_i32 s8, s20, s2
	s_add_i32 s9, s3, s7
	s_lshl_b64 s[12:13], s[8:9], 2
	s_lshl_b32 s6, s20, 2
	s_mov_b64 s[10:11], -1
	v_lshlrev_b32_e32 v16, 3, v0
	s_waitcnt vmcnt(0)
	v_readfirstlane_b32 s3, v1
	s_sext_i32_i16 s8, s3
	s_ashr_i32 s9, s8, 31
	s_waitcnt lgkmcnt(0)
	s_add_u32 s4, s4, s12
	s_addc_u32 s3, s5, s13
	s_and_b32 s5, s3, 0xffff
	s_cmp_gt_i32 s8, -1
	v_cmp_lt_i64_e32 vcc, s[8:9], v[2:3]
	s_cselect_b64 s[12:13], -1, 0
	s_and_b64 s[12:13], s[12:13], vcc
	s_and_b64 vcc, exec, s[12:13]
	s_cbranch_vccnz .LBB282_5
; %bb.1:
	v_cmp_gt_i32_e32 vcc, s20, v16
	s_and_saveexec_b64 s[10:11], vcc
	s_cbranch_execz .LBB282_4
; %bb.2:
	s_load_dword s3, s[0:1], 0x3c
	s_mov_b32 s13, 0
	s_mov_b32 s16, s13
	;; [unrolled: 1-line block ×3, first 2 shown]
	v_mov_b32_e32 v17, 0
	s_waitcnt lgkmcnt(0)
	s_and_b32 s3, s3, 0xffff
	s_mov_b32 s18, s13
	s_mov_b32 s19, s13
	v_mov_b64_e32 v[2:3], s[16:17]
	v_lshlrev_b32_e32 v1, 5, v0
	s_lshl_b32 s12, s3, 3
	s_lshl_b32 s3, s3, 5
	s_mov_b64 s[14:15], 0
	s_mov_b32 s7, 0x20000
	v_mov_b64_e32 v[4:5], s[18:19]
	v_mov_b64_e32 v[6:7], v[16:17]
.LBB282_3:                              ; =>This Inner Loop Header: Depth=1
	v_lshl_add_u64 v[6:7], s[12:13], 0, v[6:7]
	v_cmp_le_i64_e32 vcc, s[20:21], v[6:7]
	buffer_store_dwordx4 v[2:5], v1, s[4:7], 0 offen
	buffer_store_dwordx4 v[2:5], v1, s[4:7], 16 offen
	s_or_b64 s[14:15], vcc, s[14:15]
	v_add_u32_e32 v1, s3, v1
	s_andn2_b64 exec, exec, s[14:15]
	s_cbranch_execnz .LBB282_3
.LBB282_4:
	s_or_b64 exec, exec, s[10:11]
	s_mov_b64 s[10:11], 0
.LBB282_5:
	s_andn2_b64 vcc, exec, s[10:11]
	s_cbranch_vccnz .LBB282_9
; %bb.6:
	v_cmp_gt_i32_e32 vcc, s20, v16
	s_and_saveexec_b64 s[10:11], vcc
	s_cbranch_execz .LBB282_9
; %bb.7:
	s_load_dwordx2 s[10:11], s[0:1], 0x8
	s_load_dwordx2 s[12:13], s[0:1], 0x18
	s_mul_hi_i32 s9, s20, s8
	s_mul_i32 s8, s20, s8
	s_lshl_b64 s[8:9], s[8:9], 3
	s_load_dword s18, s[0:1], 0x3c
	s_waitcnt lgkmcnt(0)
	s_add_u32 s0, s12, s8
	s_addc_u32 s1, s13, s9
	s_lshl_b64 s[14:15], s[20:21], 2
	s_add_u32 s8, s0, s14
	s_addc_u32 s3, s1, s15
	s_and_b32 s9, s3, 0xffff
	s_mul_i32 s3, s2, s21
	s_mul_hi_u32 s12, s2, s20
	s_add_i32 s3, s12, s3
	s_mul_i32 s2, s2, s20
	s_and_b32 s1, s1, 0xffff
	s_lshl_b64 s[2:3], s[2:3], 3
	s_add_u32 s12, s10, s2
	s_addc_u32 s2, s11, s3
	s_add_u32 s16, s12, s14
	s_mov_b32 s7, 0x20000
	s_addc_u32 s3, s2, s15
	s_and_b32 s13, s2, 0xffff
	s_and_b32 s2, s18, 0xffff
	;; [unrolled: 1-line block ×3, first 2 shown]
	s_mov_b32 s23, 0
	v_mov_b32_e32 v17, 0
	s_lshl_b32 s22, s2, 3
	v_lshlrev_b32_e32 v18, 5, v0
	s_lshl_b32 s26, s2, 5
	s_mov_b64 s[24:25], 0
	s_mov_b32 s11, s7
	s_mov_b32 s10, s6
	s_mov_b32 s14, s6
	s_mov_b32 s15, s7
	s_mov_b32 s27, 0x3fb8aa3b
	s_mov_b32 s28, 0xc2ce8ed0
	s_mov_b32 s29, 0x42b17218
	v_mov_b32_e32 v19, 0x7f800000
	s_mov_b32 s30, 0xc0e00000
	v_mov_b32_e32 v20, 0x40e00000
	s_mov_b32 s18, s6
	s_mov_b32 s19, s7
	;; [unrolled: 1-line block ×4, first 2 shown]
.LBB282_8:                              ; =>This Inner Loop Header: Depth=1
	buffer_load_dwordx4 v[22:25], v18, s[0:3], 0 offen
	buffer_load_dwordx4 v[26:29], v18, s[12:15], 0 offen
	;; [unrolled: 1-line block ×8, first 2 shown]
	v_lshl_add_u64 v[16:17], s[22:23], 0, v[16:17]
	s_waitcnt vmcnt(6)
	v_pk_add_f32 v[22:23], v[26:27], v[22:23]
	v_pk_add_f32 v[24:25], v[28:29], v[24:25]
	s_waitcnt vmcnt(4)
	v_pk_add_f32 v[26:27], v[32:33], v[36:37]
	v_pk_add_f32 v[28:29], v[30:31], v[34:35]
	s_waitcnt vmcnt(2)
	v_pk_add_f32 v[8:9], v[8:9], v[12:13]
	v_min_f32_e32 v12, 0x40e00000, v22
	v_min_f32_e32 v13, 0x40e00000, v23
	v_mul_f32_e32 v21, 0xbfd9db23, v12
	v_min_f32_e32 v22, 0x40e00000, v24
	v_med3_f32 v24, v26, s30, v20
	v_med3_f32 v26, v28, s30, v20
	v_mul_f32_e32 v28, 0xbfd9db23, v13
	v_mul_f32_e32 v31, 0x3fb8aa3b, v21
	v_min_f32_e32 v23, 0x40e00000, v25
	v_med3_f32 v25, v27, s30, v20
	v_med3_f32 v27, v29, s30, v20
	v_mul_f32_e32 v29, 0xbfd9db23, v22
	v_mul_f32_e32 v33, 0x3fb8aa3b, v28
	v_fma_f32 v37, v21, s27, -v31
	v_rndne_f32_e32 v38, v31
	v_mul_f32_e32 v30, 0xbfd9db23, v23
	v_mul_f32_e32 v34, 0x3fb8aa3b, v29
	v_fma_f32 v39, v28, s27, -v33
	v_rndne_f32_e32 v40, v33
	v_fmac_f32_e32 v37, 0x32a5705f, v21
	v_sub_f32_e32 v31, v31, v38
	v_mul_f32_e32 v35, 0x3fb8aa3b, v30
	v_fma_f32 v41, v29, s27, -v34
	v_rndne_f32_e32 v42, v34
	v_fmac_f32_e32 v39, 0x32a5705f, v28
	v_sub_f32_e32 v33, v33, v40
	v_add_f32_e32 v31, v31, v37
	v_fma_f32 v43, v30, s27, -v35
	v_rndne_f32_e32 v44, v35
	v_cvt_i32_f32_e32 v38, v38
	v_fmac_f32_e32 v41, 0x32a5705f, v29
	v_sub_f32_e32 v34, v34, v42
	v_add_f32_e32 v33, v33, v39
	v_exp_f32_e32 v31, v31
	v_cvt_i32_f32_e32 v40, v40
	v_fmac_f32_e32 v43, 0x32a5705f, v30
	v_sub_f32_e32 v35, v35, v44
	v_add_f32_e32 v34, v34, v41
	v_exp_f32_e32 v33, v33
	v_cvt_i32_f32_e32 v42, v42
	v_add_f32_e32 v35, v35, v43
	v_exp_f32_e32 v34, v34
	v_cvt_i32_f32_e32 v44, v44
	v_exp_f32_e32 v35, v35
	v_ldexp_f32 v31, v31, v38
	v_cmp_ngt_f32_e32 vcc, s28, v21
	v_ldexp_f32 v33, v33, v40
	v_ldexp_f32 v34, v34, v42
	v_cndmask_b32_e32 v31, 0, v31, vcc
	v_cmp_ngt_f32_e32 vcc, s28, v28
	v_ldexp_f32 v35, v35, v44
	v_min_f32_e32 v8, 0x40e00000, v8
	v_cndmask_b32_e32 v33, 0, v33, vcc
	v_cmp_ngt_f32_e32 vcc, s28, v29
	v_mul_f32_e32 v32, 0xbfd9db23, v8
	v_mul_f32_e32 v36, 0x3fb8aa3b, v32
	v_cndmask_b32_e32 v34, 0, v34, vcc
	v_cmp_ngt_f32_e32 vcc, s28, v30
	v_fma_f32 v45, v32, s27, -v36
	v_rndne_f32_e32 v46, v36
	v_cndmask_b32_e32 v35, 0, v35, vcc
	v_cmp_nlt_f32_e32 vcc, s29, v21
	v_fmac_f32_e32 v45, 0x32a5705f, v32
	v_sub_f32_e32 v36, v36, v46
	v_cndmask_b32_e32 v21, v19, v31, vcc
	v_cmp_nlt_f32_e32 vcc, s29, v28
	v_add_f32_e32 v21, 1.0, v21
	v_cvt_i32_f32_e32 v46, v46
	v_cndmask_b32_e32 v28, v19, v33, vcc
	v_cmp_nlt_f32_e32 vcc, s29, v29
	v_add_f32_e32 v31, 1.0, v28
	v_rcp_f32_e32 v28, v21
	v_cndmask_b32_e32 v29, v19, v34, vcc
	v_cmp_nlt_f32_e32 vcc, s29, v30
	v_add_f32_e32 v33, 1.0, v29
	v_rcp_f32_e32 v29, v31
	v_cndmask_b32_e32 v30, v19, v35, vcc
	v_add_f32_e32 v34, 1.0, v30
	v_rcp_f32_e32 v30, v33
	v_rcp_f32_e32 v31, v34
	v_add_f32_e32 v21, v36, v45
	v_exp_f32_e32 v21, v21
	v_pk_add_f32 v[24:25], v[24:25], 1.0 op_sel_hi:[1,0]
	v_pk_add_f32 v[26:27], v[26:27], 1.0 op_sel_hi:[1,0]
	v_pk_mul_f32 v[12:13], v[12:13], v[28:29]
	v_pk_mul_f32 v[22:23], v[22:23], v[30:31]
	v_min_f32_e32 v9, 0x40e00000, v9
	v_pk_mul_f32 v[24:25], v[24:25], v[22:23]
	v_pk_mul_f32 v[22:23], v[26:27], v[12:13]
	v_mul_f32_e32 v13, 0xbfd9db23, v9
	v_pk_add_f32 v[10:11], v[10:11], v[14:15]
	v_mul_f32_e32 v14, 0x3fb8aa3b, v13
	v_ldexp_f32 v12, v21, v46
	v_fma_f32 v15, v13, s27, -v14
	v_rndne_f32_e32 v21, v14
	v_fmac_f32_e32 v15, 0x32a5705f, v13
	v_sub_f32_e32 v14, v14, v21
	v_add_f32_e32 v14, v14, v15
	v_exp_f32_e32 v14, v14
	v_cvt_i32_f32_e32 v15, v21
	v_cmp_ngt_f32_e32 vcc, s28, v32
	v_min_f32_e32 v10, 0x40e00000, v10
	v_min_f32_e32 v11, 0x40e00000, v11
	v_cndmask_b32_e32 v12, 0, v12, vcc
	v_cmp_nlt_f32_e32 vcc, s29, v32
	v_ldexp_f32 v14, v14, v15
	s_waitcnt vmcnt(0)
	v_pk_add_f32 v[2:3], v[2:3], v[6:7]
	v_cndmask_b32_e32 v12, v19, v12, vcc
	v_cmp_ngt_f32_e32 vcc, s28, v13
	v_add_f32_e32 v12, 1.0, v12
	v_rcp_f32_e32 v12, v12
	v_cndmask_b32_e32 v14, 0, v14, vcc
	v_cmp_nlt_f32_e32 vcc, s29, v13
	v_pk_add_f32 v[0:1], v[0:1], v[4:5]
	v_med3_f32 v3, v3, s30, v20
	v_cndmask_b32_e32 v13, v19, v14, vcc
	v_mul_f32_e32 v14, 0xbfd9db23, v10
	v_mul_f32_e32 v15, 0x3fb8aa3b, v14
	v_fma_f32 v21, v14, s27, -v15
	v_rndne_f32_e32 v26, v15
	v_fmac_f32_e32 v21, 0x32a5705f, v14
	v_sub_f32_e32 v15, v15, v26
	v_add_f32_e32 v15, v15, v21
	v_exp_f32_e32 v15, v15
	v_cvt_i32_f32_e32 v21, v26
	v_cmp_ngt_f32_e32 vcc, s28, v14
	v_add_f32_e32 v13, 1.0, v13
	v_rcp_f32_e32 v13, v13
	v_ldexp_f32 v15, v15, v21
	v_mul_f32_e32 v21, 0xbfd9db23, v11
	v_mul_f32_e32 v26, 0x3fb8aa3b, v21
	v_fma_f32 v27, v21, s27, -v26
	v_rndne_f32_e32 v28, v26
	v_fmac_f32_e32 v27, 0x32a5705f, v21
	v_sub_f32_e32 v26, v26, v28
	v_add_f32_e32 v26, v26, v27
	v_exp_f32_e32 v26, v26
	v_cvt_i32_f32_e32 v27, v28
	v_cndmask_b32_e32 v15, 0, v15, vcc
	v_cmp_nlt_f32_e32 vcc, s29, v14
	v_med3_f32 v2, v2, s30, v20
	v_med3_f32 v1, v1, s30, v20
	v_cndmask_b32_e32 v14, v19, v15, vcc
	v_ldexp_f32 v15, v26, v27
	v_cmp_ngt_f32_e32 vcc, s28, v21
	v_add_f32_e32 v14, 1.0, v14
	v_rcp_f32_e32 v14, v14
	v_cndmask_b32_e32 v15, 0, v15, vcc
	v_cmp_nlt_f32_e32 vcc, s29, v21
	v_med3_f32 v0, v0, s30, v20
	v_pk_add_f32 v[2:3], v[2:3], 1.0 op_sel_hi:[1,0]
	v_cndmask_b32_e32 v15, v19, v15, vcc
	v_add_f32_e32 v15, 1.0, v15
	v_rcp_f32_e32 v15, v15
	v_pk_add_f32 v[0:1], v[0:1], 1.0 op_sel_hi:[1,0]
	v_pk_mul_f32 v[4:5], v[8:9], v[12:13]
	v_cmp_le_i64_e32 vcc, s[20:21], v[16:17]
	v_pk_mul_f32 v[6:7], v[10:11], v[14:15]
	v_pk_mul_f32 v[0:1], v[0:1], v[4:5]
	;; [unrolled: 1-line block ×3, first 2 shown]
	buffer_store_dwordx4 v[22:25], v18, s[4:7], 0 offen
	buffer_store_dwordx4 v[0:3], v18, s[4:7], 16 offen
	s_or_b64 s[24:25], vcc, s[24:25]
	v_add_u32_e32 v18, s26, v18
	s_andn2_b64 exec, exec, s[24:25]
	s_cbranch_execnz .LBB282_8
.LBB282_9:
	s_endpgm
	.section	.rodata,"a",@progbits
	.p2align	6, 0x0
	.amdhsa_kernel _ZN5aiter30swiglu_act_and_mul_bias_kernelIffsfLi8EEEvPT0_PKT_PKT1_PKT2_il
		.amdhsa_group_segment_fixed_size 0
		.amdhsa_private_segment_fixed_size 0
		.amdhsa_kernarg_size 304
		.amdhsa_user_sgpr_count 2
		.amdhsa_user_sgpr_dispatch_ptr 0
		.amdhsa_user_sgpr_queue_ptr 0
		.amdhsa_user_sgpr_kernarg_segment_ptr 1
		.amdhsa_user_sgpr_dispatch_id 0
		.amdhsa_user_sgpr_kernarg_preload_length 0
		.amdhsa_user_sgpr_kernarg_preload_offset 0
		.amdhsa_user_sgpr_private_segment_size 0
		.amdhsa_uses_dynamic_stack 0
		.amdhsa_enable_private_segment 0
		.amdhsa_system_sgpr_workgroup_id_x 1
		.amdhsa_system_sgpr_workgroup_id_y 0
		.amdhsa_system_sgpr_workgroup_id_z 0
		.amdhsa_system_sgpr_workgroup_info 0
		.amdhsa_system_vgpr_workitem_id 0
		.amdhsa_next_free_vgpr 47
		.amdhsa_next_free_sgpr 31
		.amdhsa_accum_offset 48
		.amdhsa_reserve_vcc 1
		.amdhsa_float_round_mode_32 0
		.amdhsa_float_round_mode_16_64 0
		.amdhsa_float_denorm_mode_32 3
		.amdhsa_float_denorm_mode_16_64 3
		.amdhsa_dx10_clamp 1
		.amdhsa_ieee_mode 1
		.amdhsa_fp16_overflow 0
		.amdhsa_tg_split 0
		.amdhsa_exception_fp_ieee_invalid_op 0
		.amdhsa_exception_fp_denorm_src 0
		.amdhsa_exception_fp_ieee_div_zero 0
		.amdhsa_exception_fp_ieee_overflow 0
		.amdhsa_exception_fp_ieee_underflow 0
		.amdhsa_exception_fp_ieee_inexact 0
		.amdhsa_exception_int_div_zero 0
	.end_amdhsa_kernel
	.section	.text._ZN5aiter30swiglu_act_and_mul_bias_kernelIffsfLi8EEEvPT0_PKT_PKT1_PKT2_il,"axG",@progbits,_ZN5aiter30swiglu_act_and_mul_bias_kernelIffsfLi8EEEvPT0_PKT_PKT1_PKT2_il,comdat
.Lfunc_end282:
	.size	_ZN5aiter30swiglu_act_and_mul_bias_kernelIffsfLi8EEEvPT0_PKT_PKT1_PKT2_il, .Lfunc_end282-_ZN5aiter30swiglu_act_and_mul_bias_kernelIffsfLi8EEEvPT0_PKT_PKT1_PKT2_il
                                        ; -- End function
	.section	.AMDGPU.csdata,"",@progbits
; Kernel info:
; codeLenInByte = 1664
; NumSgprs: 37
; NumVgprs: 47
; NumAgprs: 0
; TotalNumVgprs: 47
; ScratchSize: 0
; MemoryBound: 0
; FloatMode: 240
; IeeeMode: 1
; LDSByteSize: 0 bytes/workgroup (compile time only)
; SGPRBlocks: 4
; VGPRBlocks: 5
; NumSGPRsForWavesPerEU: 37
; NumVGPRsForWavesPerEU: 47
; AccumOffset: 48
; Occupancy: 8
; WaveLimiterHint : 0
; COMPUTE_PGM_RSRC2:SCRATCH_EN: 0
; COMPUTE_PGM_RSRC2:USER_SGPR: 2
; COMPUTE_PGM_RSRC2:TRAP_HANDLER: 0
; COMPUTE_PGM_RSRC2:TGID_X_EN: 1
; COMPUTE_PGM_RSRC2:TGID_Y_EN: 0
; COMPUTE_PGM_RSRC2:TGID_Z_EN: 0
; COMPUTE_PGM_RSRC2:TIDIG_COMP_CNT: 0
; COMPUTE_PGM_RSRC3_GFX90A:ACCUM_OFFSET: 11
; COMPUTE_PGM_RSRC3_GFX90A:TG_SPLIT: 0
	.section	.text._ZN5aiter30swiglu_act_and_mul_bias_kernelIffsfLi4EEEvPT0_PKT_PKT1_PKT2_il,"axG",@progbits,_ZN5aiter30swiglu_act_and_mul_bias_kernelIffsfLi4EEEvPT0_PKT_PKT1_PKT2_il,comdat
	.protected	_ZN5aiter30swiglu_act_and_mul_bias_kernelIffsfLi4EEEvPT0_PKT_PKT1_PKT2_il ; -- Begin function _ZN5aiter30swiglu_act_and_mul_bias_kernelIffsfLi4EEEvPT0_PKT_PKT1_PKT2_il
	.globl	_ZN5aiter30swiglu_act_and_mul_bias_kernelIffsfLi4EEEvPT0_PKT_PKT1_PKT2_il
	.p2align	8
	.type	_ZN5aiter30swiglu_act_and_mul_bias_kernelIffsfLi4EEEvPT0_PKT_PKT1_PKT2_il,@function
_ZN5aiter30swiglu_act_and_mul_bias_kernelIffsfLi4EEEvPT0_PKT_PKT1_PKT2_il: ; @_ZN5aiter30swiglu_act_and_mul_bias_kernelIffsfLi4EEEvPT0_PKT_PKT1_PKT2_il
; %bb.0:
	s_load_dword s20, s[0:1], 0x20
	s_load_dwordx2 s[4:5], s[0:1], 0x10
	s_load_dwordx2 s[6:7], s[0:1], 0x28
	s_mov_b32 s3, 0
	s_lshl_b64 s[8:9], s[2:3], 1
	s_waitcnt lgkmcnt(0)
	s_ashr_i32 s21, s20, 31
	s_add_u32 s4, s4, s8
	s_addc_u32 s5, s5, s9
	v_mov_b32_e32 v1, 0
	global_load_ushort v1, v1, s[4:5]
	s_load_dwordx2 s[4:5], s[0:1], 0x0
	s_mul_hi_u32 s3, s20, s2
	v_mov_b64_e32 v[2:3], s[6:7]
	s_mul_i32 s7, s21, s2
	s_mul_i32 s8, s20, s2
	s_add_i32 s9, s3, s7
	s_lshl_b64 s[12:13], s[8:9], 2
	s_lshl_b32 s6, s20, 2
	s_mov_b64 s[10:11], -1
	v_lshlrev_b32_e32 v16, 2, v0
	s_waitcnt vmcnt(0)
	v_readfirstlane_b32 s3, v1
	s_sext_i32_i16 s8, s3
	s_ashr_i32 s9, s8, 31
	s_waitcnt lgkmcnt(0)
	s_add_u32 s4, s4, s12
	s_addc_u32 s3, s5, s13
	s_and_b32 s5, s3, 0xffff
	s_cmp_gt_i32 s8, -1
	v_cmp_lt_i64_e32 vcc, s[8:9], v[2:3]
	s_cselect_b64 s[12:13], -1, 0
	s_and_b64 s[12:13], s[12:13], vcc
	s_and_b64 vcc, exec, s[12:13]
	s_cbranch_vccnz .LBB283_5
; %bb.1:
	v_cmp_gt_i32_e32 vcc, s20, v16
	s_and_saveexec_b64 s[10:11], vcc
	s_cbranch_execz .LBB283_4
; %bb.2:
	s_load_dword s3, s[0:1], 0x3c
	v_mov_b32_e32 v17, 0
	s_mov_b32 s13, 0
	v_lshlrev_b32_e32 v1, 4, v0
	s_mov_b64 s[14:15], 0
	s_waitcnt lgkmcnt(0)
	s_and_b32 s3, s3, 0xffff
	s_lshl_b32 s12, s3, 2
	s_lshl_b32 s3, s3, 4
	s_mov_b32 s7, 0x20000
	v_mov_b32_e32 v2, v17
	v_mov_b32_e32 v3, v17
	;; [unrolled: 1-line block ×4, first 2 shown]
	v_mov_b64_e32 v[6:7], v[16:17]
.LBB283_3:                              ; =>This Inner Loop Header: Depth=1
	v_lshl_add_u64 v[6:7], s[12:13], 0, v[6:7]
	v_cmp_le_i64_e32 vcc, s[20:21], v[6:7]
	buffer_store_dwordx4 v[2:5], v1, s[4:7], 0 offen
	s_or_b64 s[14:15], vcc, s[14:15]
	v_add_u32_e32 v1, s3, v1
	s_andn2_b64 exec, exec, s[14:15]
	s_cbranch_execnz .LBB283_3
.LBB283_4:
	s_or_b64 exec, exec, s[10:11]
	s_mov_b64 s[10:11], 0
.LBB283_5:
	s_andn2_b64 vcc, exec, s[10:11]
	s_cbranch_vccnz .LBB283_9
; %bb.6:
	v_cmp_gt_i32_e32 vcc, s20, v16
	s_and_saveexec_b64 s[10:11], vcc
	s_cbranch_execz .LBB283_9
; %bb.7:
	s_load_dwordx2 s[10:11], s[0:1], 0x8
	s_load_dwordx2 s[12:13], s[0:1], 0x18
	s_mul_hi_i32 s9, s20, s8
	s_mul_i32 s8, s20, s8
	s_lshl_b64 s[8:9], s[8:9], 3
	s_load_dword s18, s[0:1], 0x3c
	s_waitcnt lgkmcnt(0)
	s_add_u32 s0, s12, s8
	s_addc_u32 s1, s13, s9
	s_lshl_b64 s[14:15], s[20:21], 2
	s_add_u32 s8, s0, s14
	s_addc_u32 s3, s1, s15
	s_and_b32 s9, s3, 0xffff
	s_mul_i32 s3, s2, s21
	s_mul_hi_u32 s12, s2, s20
	s_add_i32 s3, s12, s3
	s_mul_i32 s2, s2, s20
	s_and_b32 s1, s1, 0xffff
	s_lshl_b64 s[2:3], s[2:3], 3
	s_add_u32 s12, s10, s2
	s_addc_u32 s2, s11, s3
	s_add_u32 s16, s12, s14
	s_mov_b32 s7, 0x20000
	s_addc_u32 s3, s2, s15
	s_and_b32 s13, s2, 0xffff
	s_and_b32 s2, s18, 0xffff
	;; [unrolled: 1-line block ×3, first 2 shown]
	s_mov_b32 s23, 0
	v_mov_b32_e32 v17, 0
	s_lshl_b32 s22, s2, 2
	v_lshlrev_b32_e32 v18, 4, v0
	s_lshl_b32 s26, s2, 4
	s_mov_b64 s[24:25], 0
	s_mov_b32 s11, s7
	s_mov_b32 s10, s6
	;; [unrolled: 1-line block ×7, first 2 shown]
	v_mov_b32_e32 v19, 0x7f800000
	s_mov_b32 s30, 0xc0e00000
	v_mov_b32_e32 v20, 0x40e00000
	s_mov_b32 s18, s6
	s_mov_b32 s19, s7
	;; [unrolled: 1-line block ×4, first 2 shown]
.LBB283_8:                              ; =>This Inner Loop Header: Depth=1
	buffer_load_dwordx4 v[4:7], v18, s[0:3], 0 offen
	buffer_load_dwordx4 v[8:11], v18, s[12:15], 0 offen
	;; [unrolled: 1-line block ×4, first 2 shown]
	v_lshl_add_u64 v[16:17], s[22:23], 0, v[16:17]
	v_cmp_le_i64_e32 vcc, s[20:21], v[16:17]
	s_or_b64 s[24:25], vcc, s[24:25]
	s_waitcnt vmcnt(2)
	v_pk_add_f32 v[4:5], v[8:9], v[4:5]
	s_nop 0
	v_min_f32_e32 v4, 0x40e00000, v4
	v_pk_add_f32 v[6:7], v[10:11], v[6:7]
	v_min_f32_e32 v5, 0x40e00000, v5
	v_mul_f32_e32 v8, 0xbfd9db23, v4
	s_waitcnt vmcnt(0)
	v_pk_add_f32 v[0:1], v[0:1], v[12:13]
	v_min_f32_e32 v6, 0x40e00000, v6
	v_mul_f32_e32 v9, 0xbfd9db23, v5
	v_mul_f32_e32 v12, 0x3fb8aa3b, v8
	v_min_f32_e32 v7, 0x40e00000, v7
	v_mul_f32_e32 v10, 0xbfd9db23, v6
	v_mul_f32_e32 v13, 0x3fb8aa3b, v9
	v_fma_f32 v21, v8, s27, -v12
	v_rndne_f32_e32 v22, v12
	v_pk_add_f32 v[2:3], v[2:3], v[14:15]
	v_mul_f32_e32 v11, 0xbfd9db23, v7
	v_mul_f32_e32 v14, 0x3fb8aa3b, v10
	v_fma_f32 v23, v9, s27, -v13
	v_rndne_f32_e32 v24, v13
	v_fmac_f32_e32 v21, 0x32a5705f, v8
	v_sub_f32_e32 v12, v12, v22
	v_mul_f32_e32 v15, 0x3fb8aa3b, v11
	v_fma_f32 v25, v10, s27, -v14
	v_rndne_f32_e32 v26, v14
	v_fmac_f32_e32 v23, 0x32a5705f, v9
	v_sub_f32_e32 v13, v13, v24
	v_add_f32_e32 v12, v12, v21
	v_fma_f32 v27, v11, s27, -v15
	v_rndne_f32_e32 v28, v15
	v_cvt_i32_f32_e32 v22, v22
	v_fmac_f32_e32 v25, 0x32a5705f, v10
	v_sub_f32_e32 v14, v14, v26
	v_add_f32_e32 v13, v13, v23
	v_exp_f32_e32 v12, v12
	v_cvt_i32_f32_e32 v24, v24
	v_fmac_f32_e32 v27, 0x32a5705f, v11
	v_sub_f32_e32 v15, v15, v28
	v_add_f32_e32 v14, v14, v25
	v_exp_f32_e32 v13, v13
	v_cvt_i32_f32_e32 v26, v26
	v_add_f32_e32 v15, v15, v27
	v_exp_f32_e32 v14, v14
	v_cvt_i32_f32_e32 v28, v28
	v_exp_f32_e32 v15, v15
	v_ldexp_f32 v12, v12, v22
	v_cmp_ngt_f32_e32 vcc, s28, v8
	v_ldexp_f32 v13, v13, v24
	v_ldexp_f32 v14, v14, v26
	v_cndmask_b32_e32 v12, 0, v12, vcc
	v_cmp_ngt_f32_e32 vcc, s28, v9
	v_ldexp_f32 v15, v15, v28
	v_med3_f32 v3, v3, s30, v20
	v_cndmask_b32_e32 v13, 0, v13, vcc
	v_cmp_ngt_f32_e32 vcc, s28, v10
	v_med3_f32 v2, v2, s30, v20
	v_med3_f32 v1, v1, s30, v20
	v_cndmask_b32_e32 v14, 0, v14, vcc
	v_cmp_ngt_f32_e32 vcc, s28, v11
	v_med3_f32 v0, v0, s30, v20
	v_pk_add_f32 v[2:3], v[2:3], 1.0 op_sel_hi:[1,0]
	v_cndmask_b32_e32 v15, 0, v15, vcc
	v_cmp_nlt_f32_e32 vcc, s29, v8
	v_pk_add_f32 v[0:1], v[0:1], 1.0 op_sel_hi:[1,0]
	s_nop 0
	v_cndmask_b32_e32 v8, v19, v12, vcc
	v_cmp_nlt_f32_e32 vcc, s29, v9
	v_add_f32_e32 v8, 1.0, v8
	v_rcp_f32_e32 v8, v8
	v_cndmask_b32_e32 v9, v19, v13, vcc
	v_cmp_nlt_f32_e32 vcc, s29, v10
	v_add_f32_e32 v9, 1.0, v9
	v_rcp_f32_e32 v9, v9
	;; [unrolled: 4-line block ×3, first 2 shown]
	v_cndmask_b32_e32 v11, v19, v15, vcc
	v_add_f32_e32 v11, 1.0, v11
	v_rcp_f32_e32 v11, v11
	v_pk_mul_f32 v[4:5], v[4:5], v[8:9]
	v_pk_mul_f32 v[6:7], v[6:7], v[10:11]
	s_nop 0
	v_pk_mul_f32 v[2:3], v[2:3], v[6:7]
	v_pk_mul_f32 v[0:1], v[0:1], v[4:5]
	buffer_store_dwordx4 v[0:3], v18, s[4:7], 0 offen
	v_add_u32_e32 v18, s26, v18
	s_andn2_b64 exec, exec, s[24:25]
	s_cbranch_execnz .LBB283_8
.LBB283_9:
	s_endpgm
	.section	.rodata,"a",@progbits
	.p2align	6, 0x0
	.amdhsa_kernel _ZN5aiter30swiglu_act_and_mul_bias_kernelIffsfLi4EEEvPT0_PKT_PKT1_PKT2_il
		.amdhsa_group_segment_fixed_size 0
		.amdhsa_private_segment_fixed_size 0
		.amdhsa_kernarg_size 304
		.amdhsa_user_sgpr_count 2
		.amdhsa_user_sgpr_dispatch_ptr 0
		.amdhsa_user_sgpr_queue_ptr 0
		.amdhsa_user_sgpr_kernarg_segment_ptr 1
		.amdhsa_user_sgpr_dispatch_id 0
		.amdhsa_user_sgpr_kernarg_preload_length 0
		.amdhsa_user_sgpr_kernarg_preload_offset 0
		.amdhsa_user_sgpr_private_segment_size 0
		.amdhsa_uses_dynamic_stack 0
		.amdhsa_enable_private_segment 0
		.amdhsa_system_sgpr_workgroup_id_x 1
		.amdhsa_system_sgpr_workgroup_id_y 0
		.amdhsa_system_sgpr_workgroup_id_z 0
		.amdhsa_system_sgpr_workgroup_info 0
		.amdhsa_system_vgpr_workitem_id 0
		.amdhsa_next_free_vgpr 29
		.amdhsa_next_free_sgpr 31
		.amdhsa_accum_offset 32
		.amdhsa_reserve_vcc 1
		.amdhsa_float_round_mode_32 0
		.amdhsa_float_round_mode_16_64 0
		.amdhsa_float_denorm_mode_32 3
		.amdhsa_float_denorm_mode_16_64 3
		.amdhsa_dx10_clamp 1
		.amdhsa_ieee_mode 1
		.amdhsa_fp16_overflow 0
		.amdhsa_tg_split 0
		.amdhsa_exception_fp_ieee_invalid_op 0
		.amdhsa_exception_fp_denorm_src 0
		.amdhsa_exception_fp_ieee_div_zero 0
		.amdhsa_exception_fp_ieee_overflow 0
		.amdhsa_exception_fp_ieee_underflow 0
		.amdhsa_exception_fp_ieee_inexact 0
		.amdhsa_exception_int_div_zero 0
	.end_amdhsa_kernel
	.section	.text._ZN5aiter30swiglu_act_and_mul_bias_kernelIffsfLi4EEEvPT0_PKT_PKT1_PKT2_il,"axG",@progbits,_ZN5aiter30swiglu_act_and_mul_bias_kernelIffsfLi4EEEvPT0_PKT_PKT1_PKT2_il,comdat
.Lfunc_end283:
	.size	_ZN5aiter30swiglu_act_and_mul_bias_kernelIffsfLi4EEEvPT0_PKT_PKT1_PKT2_il, .Lfunc_end283-_ZN5aiter30swiglu_act_and_mul_bias_kernelIffsfLi4EEEvPT0_PKT_PKT1_PKT2_il
                                        ; -- End function
	.section	.AMDGPU.csdata,"",@progbits
; Kernel info:
; codeLenInByte = 1132
; NumSgprs: 37
; NumVgprs: 29
; NumAgprs: 0
; TotalNumVgprs: 29
; ScratchSize: 0
; MemoryBound: 0
; FloatMode: 240
; IeeeMode: 1
; LDSByteSize: 0 bytes/workgroup (compile time only)
; SGPRBlocks: 4
; VGPRBlocks: 3
; NumSGPRsForWavesPerEU: 37
; NumVGPRsForWavesPerEU: 29
; AccumOffset: 32
; Occupancy: 8
; WaveLimiterHint : 0
; COMPUTE_PGM_RSRC2:SCRATCH_EN: 0
; COMPUTE_PGM_RSRC2:USER_SGPR: 2
; COMPUTE_PGM_RSRC2:TRAP_HANDLER: 0
; COMPUTE_PGM_RSRC2:TGID_X_EN: 1
; COMPUTE_PGM_RSRC2:TGID_Y_EN: 0
; COMPUTE_PGM_RSRC2:TGID_Z_EN: 0
; COMPUTE_PGM_RSRC2:TIDIG_COMP_CNT: 0
; COMPUTE_PGM_RSRC3_GFX90A:ACCUM_OFFSET: 7
; COMPUTE_PGM_RSRC3_GFX90A:TG_SPLIT: 0
	.section	.text._ZN5aiter30swiglu_act_and_mul_bias_kernelIffsfLi2EEEvPT0_PKT_PKT1_PKT2_il,"axG",@progbits,_ZN5aiter30swiglu_act_and_mul_bias_kernelIffsfLi2EEEvPT0_PKT_PKT1_PKT2_il,comdat
	.protected	_ZN5aiter30swiglu_act_and_mul_bias_kernelIffsfLi2EEEvPT0_PKT_PKT1_PKT2_il ; -- Begin function _ZN5aiter30swiglu_act_and_mul_bias_kernelIffsfLi2EEEvPT0_PKT_PKT1_PKT2_il
	.globl	_ZN5aiter30swiglu_act_and_mul_bias_kernelIffsfLi2EEEvPT0_PKT_PKT1_PKT2_il
	.p2align	8
	.type	_ZN5aiter30swiglu_act_and_mul_bias_kernelIffsfLi2EEEvPT0_PKT_PKT1_PKT2_il,@function
_ZN5aiter30swiglu_act_and_mul_bias_kernelIffsfLi2EEEvPT0_PKT_PKT1_PKT2_il: ; @_ZN5aiter30swiglu_act_and_mul_bias_kernelIffsfLi2EEEvPT0_PKT_PKT1_PKT2_il
; %bb.0:
	s_load_dword s20, s[0:1], 0x20
	s_load_dwordx2 s[4:5], s[0:1], 0x10
	s_load_dwordx2 s[6:7], s[0:1], 0x28
	s_mov_b32 s3, 0
	s_lshl_b64 s[8:9], s[2:3], 1
	s_waitcnt lgkmcnt(0)
	s_ashr_i32 s21, s20, 31
	s_add_u32 s4, s4, s8
	s_addc_u32 s5, s5, s9
	v_mov_b32_e32 v1, 0
	global_load_ushort v1, v1, s[4:5]
	s_load_dwordx2 s[4:5], s[0:1], 0x0
	s_mul_hi_u32 s3, s20, s2
	v_mov_b64_e32 v[2:3], s[6:7]
	s_mul_i32 s7, s21, s2
	s_mul_i32 s8, s20, s2
	s_add_i32 s9, s3, s7
	s_lshl_b64 s[12:13], s[8:9], 2
	s_lshl_b32 s6, s20, 2
	s_mov_b64 s[10:11], -1
	s_waitcnt vmcnt(0)
	v_readfirstlane_b32 s3, v1
	s_sext_i32_i16 s8, s3
	s_ashr_i32 s9, s8, 31
	s_waitcnt lgkmcnt(0)
	s_add_u32 s4, s4, s12
	s_addc_u32 s3, s5, s13
	s_and_b32 s5, s3, 0xffff
	s_cmp_gt_i32 s8, -1
	v_cmp_lt_i64_e32 vcc, s[8:9], v[2:3]
	s_cselect_b64 s[12:13], -1, 0
	s_and_b64 s[12:13], s[12:13], vcc
	s_and_b64 vcc, exec, s[12:13]
	v_lshlrev_b32_e32 v2, 1, v0
	s_cbranch_vccnz .LBB284_5
; %bb.1:
	v_cmp_gt_i32_e32 vcc, s20, v2
	s_and_saveexec_b64 s[10:11], vcc
	s_cbranch_execz .LBB284_4
; %bb.2:
	s_load_dword s3, s[0:1], 0x3c
	v_mov_b32_e32 v3, 0
	s_mov_b32 s13, 0
	v_lshlrev_b32_e32 v1, 3, v0
	s_mov_b64 s[14:15], 0
	s_waitcnt lgkmcnt(0)
	s_and_b32 s3, s3, 0xffff
	s_lshl_b32 s12, s3, 1
	s_lshl_b32 s3, s3, 3
	s_mov_b32 s7, 0x20000
	v_mov_b32_e32 v4, v3
	v_mov_b32_e32 v5, v3
	v_mov_b64_e32 v[6:7], v[2:3]
.LBB284_3:                              ; =>This Inner Loop Header: Depth=1
	v_lshl_add_u64 v[6:7], s[12:13], 0, v[6:7]
	v_cmp_le_i64_e32 vcc, s[20:21], v[6:7]
	buffer_store_dwordx2 v[4:5], v1, s[4:7], 0 offen
	s_or_b64 s[14:15], vcc, s[14:15]
	v_add_u32_e32 v1, s3, v1
	s_andn2_b64 exec, exec, s[14:15]
	s_cbranch_execnz .LBB284_3
.LBB284_4:
	s_or_b64 exec, exec, s[10:11]
	s_mov_b64 s[10:11], 0
.LBB284_5:
	s_andn2_b64 vcc, exec, s[10:11]
	s_cbranch_vccnz .LBB284_9
; %bb.6:
	v_cmp_gt_i32_e32 vcc, s20, v2
	s_and_saveexec_b64 s[10:11], vcc
	s_cbranch_execz .LBB284_9
; %bb.7:
	s_load_dwordx2 s[10:11], s[0:1], 0x8
	s_load_dwordx2 s[12:13], s[0:1], 0x18
	s_mul_hi_i32 s9, s20, s8
	s_mul_i32 s8, s20, s8
	s_lshl_b64 s[8:9], s[8:9], 3
	s_load_dword s18, s[0:1], 0x3c
	s_waitcnt lgkmcnt(0)
	s_add_u32 s0, s12, s8
	s_addc_u32 s1, s13, s9
	s_lshl_b64 s[14:15], s[20:21], 2
	s_add_u32 s8, s0, s14
	s_addc_u32 s3, s1, s15
	s_and_b32 s9, s3, 0xffff
	s_mul_i32 s3, s2, s21
	s_mul_hi_u32 s12, s2, s20
	s_add_i32 s3, s12, s3
	s_mul_i32 s2, s2, s20
	s_and_b32 s1, s1, 0xffff
	s_lshl_b64 s[2:3], s[2:3], 3
	s_add_u32 s12, s10, s2
	s_addc_u32 s2, s11, s3
	s_add_u32 s16, s12, s14
	s_mov_b32 s7, 0x20000
	s_addc_u32 s3, s2, s15
	s_and_b32 s13, s2, 0xffff
	s_and_b32 s2, s18, 0xffff
	;; [unrolled: 1-line block ×3, first 2 shown]
	s_mov_b32 s23, 0
	v_mov_b32_e32 v3, 0
	s_lshl_b32 s22, s2, 1
	v_lshlrev_b32_e32 v0, 3, v0
	s_lshl_b32 s26, s2, 3
	s_mov_b64 s[24:25], 0
	s_mov_b32 s11, s7
	s_mov_b32 s10, s6
	;; [unrolled: 1-line block ×7, first 2 shown]
	v_mov_b32_e32 v1, 0x7f800000
	s_mov_b32 s30, 0xc0e00000
	v_mov_b32_e32 v4, 0x40e00000
	s_mov_b32 s18, s6
	s_mov_b32 s19, s7
	;; [unrolled: 1-line block ×4, first 2 shown]
.LBB284_8:                              ; =>This Inner Loop Header: Depth=1
	buffer_load_dwordx2 v[6:7], v0, s[0:3], 0 offen
	buffer_load_dwordx2 v[8:9], v0, s[12:15], 0 offen
	buffer_load_dwordx2 v[10:11], v0, s[16:19], 0 offen
	buffer_load_dwordx2 v[12:13], v0, s[8:11], 0 offen
	v_lshl_add_u64 v[2:3], s[22:23], 0, v[2:3]
	v_cmp_le_i64_e32 vcc, s[20:21], v[2:3]
	s_or_b64 s[24:25], vcc, s[24:25]
	s_waitcnt vmcnt(2)
	v_pk_add_f32 v[6:7], v[8:9], v[6:7]
	s_nop 0
	v_min_f32_e32 v6, 0x40e00000, v6
	v_min_f32_e32 v7, 0x40e00000, v7
	v_mul_f32_e32 v5, 0xbfd9db23, v6
	v_mul_f32_e32 v14, 0xbfd9db23, v7
	;; [unrolled: 1-line block ×4, first 2 shown]
	v_fma_f32 v15, v5, s27, -v8
	v_rndne_f32_e32 v16, v8
	v_fma_f32 v17, v14, s27, -v9
	v_rndne_f32_e32 v18, v9
	v_fmac_f32_e32 v15, 0x32a5705f, v5
	v_sub_f32_e32 v8, v8, v16
	v_fmac_f32_e32 v17, 0x32a5705f, v14
	v_sub_f32_e32 v9, v9, v18
	v_add_f32_e32 v8, v8, v15
	v_cvt_i32_f32_e32 v16, v16
	v_add_f32_e32 v9, v9, v17
	v_exp_f32_e32 v15, v8
	v_cvt_i32_f32_e32 v18, v18
	v_exp_f32_e32 v17, v9
	s_waitcnt vmcnt(0)
	v_pk_add_f32 v[8:9], v[10:11], v[12:13]
	v_ldexp_f32 v10, v15, v16
	v_cmp_ngt_f32_e32 vcc, s28, v5
	v_ldexp_f32 v11, v17, v18
	v_med3_f32 v9, v9, s30, v4
	v_cndmask_b32_e32 v10, 0, v10, vcc
	v_cmp_ngt_f32_e32 vcc, s28, v14
	v_med3_f32 v8, v8, s30, v4
	v_pk_add_f32 v[8:9], v[8:9], 1.0 op_sel_hi:[1,0]
	v_cndmask_b32_e32 v11, 0, v11, vcc
	v_cmp_nlt_f32_e32 vcc, s29, v5
	s_nop 1
	v_cndmask_b32_e32 v5, v1, v10, vcc
	v_cmp_nlt_f32_e32 vcc, s29, v14
	v_add_f32_e32 v5, 1.0, v5
	s_nop 0
	v_cndmask_b32_e32 v10, v1, v11, vcc
	v_add_f32_e32 v11, 1.0, v10
	v_rcp_f32_e32 v10, v5
	v_rcp_f32_e32 v11, v11
	s_nop 0
	v_pk_mul_f32 v[6:7], v[6:7], v[10:11]
	s_nop 0
	v_pk_mul_f32 v[6:7], v[8:9], v[6:7]
	buffer_store_dwordx2 v[6:7], v0, s[4:7], 0 offen
	v_add_u32_e32 v0, s26, v0
	s_andn2_b64 exec, exec, s[24:25]
	s_cbranch_execnz .LBB284_8
.LBB284_9:
	s_endpgm
	.section	.rodata,"a",@progbits
	.p2align	6, 0x0
	.amdhsa_kernel _ZN5aiter30swiglu_act_and_mul_bias_kernelIffsfLi2EEEvPT0_PKT_PKT1_PKT2_il
		.amdhsa_group_segment_fixed_size 0
		.amdhsa_private_segment_fixed_size 0
		.amdhsa_kernarg_size 304
		.amdhsa_user_sgpr_count 2
		.amdhsa_user_sgpr_dispatch_ptr 0
		.amdhsa_user_sgpr_queue_ptr 0
		.amdhsa_user_sgpr_kernarg_segment_ptr 1
		.amdhsa_user_sgpr_dispatch_id 0
		.amdhsa_user_sgpr_kernarg_preload_length 0
		.amdhsa_user_sgpr_kernarg_preload_offset 0
		.amdhsa_user_sgpr_private_segment_size 0
		.amdhsa_uses_dynamic_stack 0
		.amdhsa_enable_private_segment 0
		.amdhsa_system_sgpr_workgroup_id_x 1
		.amdhsa_system_sgpr_workgroup_id_y 0
		.amdhsa_system_sgpr_workgroup_id_z 0
		.amdhsa_system_sgpr_workgroup_info 0
		.amdhsa_system_vgpr_workitem_id 0
		.amdhsa_next_free_vgpr 19
		.amdhsa_next_free_sgpr 31
		.amdhsa_accum_offset 20
		.amdhsa_reserve_vcc 1
		.amdhsa_float_round_mode_32 0
		.amdhsa_float_round_mode_16_64 0
		.amdhsa_float_denorm_mode_32 3
		.amdhsa_float_denorm_mode_16_64 3
		.amdhsa_dx10_clamp 1
		.amdhsa_ieee_mode 1
		.amdhsa_fp16_overflow 0
		.amdhsa_tg_split 0
		.amdhsa_exception_fp_ieee_invalid_op 0
		.amdhsa_exception_fp_denorm_src 0
		.amdhsa_exception_fp_ieee_div_zero 0
		.amdhsa_exception_fp_ieee_overflow 0
		.amdhsa_exception_fp_ieee_underflow 0
		.amdhsa_exception_fp_ieee_inexact 0
		.amdhsa_exception_int_div_zero 0
	.end_amdhsa_kernel
	.section	.text._ZN5aiter30swiglu_act_and_mul_bias_kernelIffsfLi2EEEvPT0_PKT_PKT1_PKT2_il,"axG",@progbits,_ZN5aiter30swiglu_act_and_mul_bias_kernelIffsfLi2EEEvPT0_PKT_PKT1_PKT2_il,comdat
.Lfunc_end284:
	.size	_ZN5aiter30swiglu_act_and_mul_bias_kernelIffsfLi2EEEvPT0_PKT_PKT1_PKT2_il, .Lfunc_end284-_ZN5aiter30swiglu_act_and_mul_bias_kernelIffsfLi2EEEvPT0_PKT_PKT1_PKT2_il
                                        ; -- End function
	.section	.AMDGPU.csdata,"",@progbits
; Kernel info:
; codeLenInByte = 892
; NumSgprs: 37
; NumVgprs: 19
; NumAgprs: 0
; TotalNumVgprs: 19
; ScratchSize: 0
; MemoryBound: 0
; FloatMode: 240
; IeeeMode: 1
; LDSByteSize: 0 bytes/workgroup (compile time only)
; SGPRBlocks: 4
; VGPRBlocks: 2
; NumSGPRsForWavesPerEU: 37
; NumVGPRsForWavesPerEU: 19
; AccumOffset: 20
; Occupancy: 8
; WaveLimiterHint : 0
; COMPUTE_PGM_RSRC2:SCRATCH_EN: 0
; COMPUTE_PGM_RSRC2:USER_SGPR: 2
; COMPUTE_PGM_RSRC2:TRAP_HANDLER: 0
; COMPUTE_PGM_RSRC2:TGID_X_EN: 1
; COMPUTE_PGM_RSRC2:TGID_Y_EN: 0
; COMPUTE_PGM_RSRC2:TGID_Z_EN: 0
; COMPUTE_PGM_RSRC2:TIDIG_COMP_CNT: 0
; COMPUTE_PGM_RSRC3_GFX90A:ACCUM_OFFSET: 4
; COMPUTE_PGM_RSRC3_GFX90A:TG_SPLIT: 0
	.section	.text._ZN5aiter30swiglu_act_and_mul_bias_kernelIffsfLi1EEEvPT0_PKT_PKT1_PKT2_il,"axG",@progbits,_ZN5aiter30swiglu_act_and_mul_bias_kernelIffsfLi1EEEvPT0_PKT_PKT1_PKT2_il,comdat
	.protected	_ZN5aiter30swiglu_act_and_mul_bias_kernelIffsfLi1EEEvPT0_PKT_PKT1_PKT2_il ; -- Begin function _ZN5aiter30swiglu_act_and_mul_bias_kernelIffsfLi1EEEvPT0_PKT_PKT1_PKT2_il
	.globl	_ZN5aiter30swiglu_act_and_mul_bias_kernelIffsfLi1EEEvPT0_PKT_PKT1_PKT2_il
	.p2align	8
	.type	_ZN5aiter30swiglu_act_and_mul_bias_kernelIffsfLi1EEEvPT0_PKT_PKT1_PKT2_il,@function
_ZN5aiter30swiglu_act_and_mul_bias_kernelIffsfLi1EEEvPT0_PKT_PKT1_PKT2_il: ; @_ZN5aiter30swiglu_act_and_mul_bias_kernelIffsfLi1EEEvPT0_PKT_PKT1_PKT2_il
; %bb.0:
	s_load_dword s20, s[0:1], 0x20
	s_load_dwordx2 s[4:5], s[0:1], 0x10
	s_load_dwordx2 s[6:7], s[0:1], 0x28
	s_mov_b32 s3, 0
	s_lshl_b64 s[8:9], s[2:3], 1
	s_waitcnt lgkmcnt(0)
	s_ashr_i32 s21, s20, 31
	s_add_u32 s4, s4, s8
	s_addc_u32 s5, s5, s9
	v_mov_b32_e32 v1, 0
	global_load_ushort v1, v1, s[4:5]
	s_load_dwordx2 s[4:5], s[0:1], 0x0
	s_mul_hi_u32 s3, s20, s2
	v_mov_b64_e32 v[2:3], s[6:7]
	s_mul_i32 s6, s21, s2
	s_add_i32 s9, s3, s6
	s_mul_i32 s8, s20, s2
	s_lshl_b32 s10, s20, 2
	s_lshl_b64 s[8:9], s[8:9], 2
	s_mov_b64 s[12:13], -1
	s_waitcnt vmcnt(0)
	v_readfirstlane_b32 s3, v1
	s_sext_i32_i16 s6, s3
	s_ashr_i32 s7, s6, 31
	s_waitcnt lgkmcnt(0)
	s_add_u32 s8, s4, s8
	s_addc_u32 s3, s5, s9
	s_and_b32 s9, s3, 0xffff
	s_cmp_gt_i32 s6, -1
	v_cmp_lt_i64_e32 vcc, s[6:7], v[2:3]
	s_cselect_b64 s[4:5], -1, 0
	s_and_b64 s[4:5], s[4:5], vcc
	s_and_b64 vcc, exec, s[4:5]
	v_cmp_gt_i32_e64 s[4:5], s20, v0
	s_cbranch_vccnz .LBB285_5
; %bb.1:
	s_and_saveexec_b64 s[12:13], s[4:5]
	s_cbranch_execz .LBB285_4
; %bb.2:
	s_load_dword s3, s[0:1], 0x3c
	v_mov_b32_e32 v1, 0
	s_mov_b32 s5, 0
	v_lshlrev_b32_e32 v4, 2, v0
	s_mov_b64 s[14:15], 0
	s_waitcnt lgkmcnt(0)
	s_and_b32 s4, s3, 0xffff
	s_lshl_b32 s3, s4, 2
	s_mov_b32 s11, 0x20000
	v_mov_b64_e32 v[2:3], v[0:1]
.LBB285_3:                              ; =>This Inner Loop Header: Depth=1
	v_lshl_add_u64 v[2:3], v[2:3], 0, s[4:5]
	v_cmp_le_i64_e32 vcc, s[20:21], v[2:3]
	buffer_store_dword v1, v4, s[8:11], 0 offen
	s_or_b64 s[14:15], vcc, s[14:15]
	v_add_u32_e32 v4, s3, v4
	s_andn2_b64 exec, exec, s[14:15]
	s_cbranch_execnz .LBB285_3
.LBB285_4:
	s_or_b64 exec, exec, s[12:13]
	s_mov_b64 s[12:13], 0
.LBB285_5:
	s_andn2_b64 vcc, exec, s[12:13]
	s_cbranch_vccnz .LBB285_9
; %bb.6:
	v_cmp_gt_i32_e32 vcc, s20, v0
	s_and_saveexec_b64 s[4:5], vcc
	s_cbranch_execz .LBB285_9
; %bb.7:
	s_load_dwordx2 s[12:13], s[0:1], 0x8
	s_load_dwordx2 s[4:5], s[0:1], 0x18
	s_mul_hi_i32 s7, s20, s6
	s_mul_i32 s6, s20, s6
	s_lshl_b64 s[6:7], s[6:7], 3
	s_load_dword s14, s[0:1], 0x3c
	s_waitcnt lgkmcnt(0)
	s_add_u32 s0, s4, s6
	s_addc_u32 s1, s5, s7
	s_lshl_b64 s[6:7], s[20:21], 2
	s_add_u32 s4, s0, s6
	s_addc_u32 s3, s1, s7
	s_and_b32 s5, s3, 0xffff
	s_mul_i32 s3, s2, s21
	s_mul_hi_u32 s15, s2, s20
	s_add_i32 s3, s15, s3
	s_mul_i32 s2, s2, s20
	s_and_b32 s1, s1, 0xffff
	s_lshl_b64 s[2:3], s[2:3], 3
	s_add_u32 s12, s12, s2
	s_addc_u32 s2, s13, s3
	s_add_u32 s16, s12, s6
	s_mov_b32 s11, 0x20000
	s_addc_u32 s3, s2, s7
	s_and_b32 s22, s14, 0xffff
	s_and_b32 s13, s2, 0xffff
	;; [unrolled: 1-line block ×3, first 2 shown]
	s_mov_b32 s23, 0
	v_mov_b32_e32 v1, 0
	v_lshlrev_b32_e32 v2, 2, v0
	s_lshl_b32 s26, s22, 2
	s_mov_b64 s[24:25], 0
	s_mov_b32 s7, s11
	s_mov_b32 s6, s10
	;; [unrolled: 1-line block ×7, first 2 shown]
	v_mov_b32_e32 v3, 0x7f800000
	s_mov_b32 s18, s10
	s_mov_b32 s19, s11
	;; [unrolled: 1-line block ×4, first 2 shown]
.LBB285_8:                              ; =>This Inner Loop Header: Depth=1
	buffer_load_dword v4, v2, s[0:3], 0 offen
	buffer_load_dword v5, v2, s[12:15], 0 offen
	;; [unrolled: 1-line block ×4, first 2 shown]
	v_lshl_add_u64 v[0:1], v[0:1], 0, s[22:23]
	v_cmp_le_i64_e32 vcc, s[20:21], v[0:1]
	s_or_b64 s[24:25], vcc, s[24:25]
	s_waitcnt vmcnt(2)
	v_add_f32_e32 v4, v5, v4
	v_min_f32_e32 v4, 0x40e00000, v4
	v_mul_f32_e32 v5, 0xbfd9db23, v4
	v_mul_f32_e32 v8, 0x3fb8aa3b, v5
	v_fma_f32 v9, v5, s27, -v8
	v_rndne_f32_e32 v10, v8
	v_fmac_f32_e32 v9, 0x32a5705f, v5
	v_sub_f32_e32 v8, v8, v10
	v_add_f32_e32 v8, v8, v9
	v_cvt_i32_f32_e32 v10, v10
	v_exp_f32_e32 v8, v8
	s_waitcnt vmcnt(0)
	v_add_f32_e32 v6, v6, v7
	v_cmp_ngt_f32_e32 vcc, s28, v5
	v_max_f32_e32 v6, 0xc0e00000, v6
	v_ldexp_f32 v7, v8, v10
	v_cndmask_b32_e32 v7, 0, v7, vcc
	v_cmp_nlt_f32_e32 vcc, s29, v5
	v_min_f32_e32 v6, 0x40e00000, v6
	v_add_f32_e32 v6, 1.0, v6
	v_cndmask_b32_e32 v5, v3, v7, vcc
	v_add_f32_e32 v5, 1.0, v5
	v_rcp_f32_e32 v5, v5
	s_nop 0
	v_mul_f32_e32 v4, v4, v5
	v_mul_f32_e32 v4, v6, v4
	buffer_store_dword v4, v2, s[8:11], 0 offen
	v_add_u32_e32 v2, s26, v2
	s_andn2_b64 exec, exec, s[24:25]
	s_cbranch_execnz .LBB285_8
.LBB285_9:
	s_endpgm
	.section	.rodata,"a",@progbits
	.p2align	6, 0x0
	.amdhsa_kernel _ZN5aiter30swiglu_act_and_mul_bias_kernelIffsfLi1EEEvPT0_PKT_PKT1_PKT2_il
		.amdhsa_group_segment_fixed_size 0
		.amdhsa_private_segment_fixed_size 0
		.amdhsa_kernarg_size 304
		.amdhsa_user_sgpr_count 2
		.amdhsa_user_sgpr_dispatch_ptr 0
		.amdhsa_user_sgpr_queue_ptr 0
		.amdhsa_user_sgpr_kernarg_segment_ptr 1
		.amdhsa_user_sgpr_dispatch_id 0
		.amdhsa_user_sgpr_kernarg_preload_length 0
		.amdhsa_user_sgpr_kernarg_preload_offset 0
		.amdhsa_user_sgpr_private_segment_size 0
		.amdhsa_uses_dynamic_stack 0
		.amdhsa_enable_private_segment 0
		.amdhsa_system_sgpr_workgroup_id_x 1
		.amdhsa_system_sgpr_workgroup_id_y 0
		.amdhsa_system_sgpr_workgroup_id_z 0
		.amdhsa_system_sgpr_workgroup_info 0
		.amdhsa_system_vgpr_workitem_id 0
		.amdhsa_next_free_vgpr 11
		.amdhsa_next_free_sgpr 30
		.amdhsa_accum_offset 12
		.amdhsa_reserve_vcc 1
		.amdhsa_float_round_mode_32 0
		.amdhsa_float_round_mode_16_64 0
		.amdhsa_float_denorm_mode_32 3
		.amdhsa_float_denorm_mode_16_64 3
		.amdhsa_dx10_clamp 1
		.amdhsa_ieee_mode 1
		.amdhsa_fp16_overflow 0
		.amdhsa_tg_split 0
		.amdhsa_exception_fp_ieee_invalid_op 0
		.amdhsa_exception_fp_denorm_src 0
		.amdhsa_exception_fp_ieee_div_zero 0
		.amdhsa_exception_fp_ieee_overflow 0
		.amdhsa_exception_fp_ieee_underflow 0
		.amdhsa_exception_fp_ieee_inexact 0
		.amdhsa_exception_int_div_zero 0
	.end_amdhsa_kernel
	.section	.text._ZN5aiter30swiglu_act_and_mul_bias_kernelIffsfLi1EEEvPT0_PKT_PKT1_PKT2_il,"axG",@progbits,_ZN5aiter30swiglu_act_and_mul_bias_kernelIffsfLi1EEEvPT0_PKT_PKT1_PKT2_il,comdat
.Lfunc_end285:
	.size	_ZN5aiter30swiglu_act_and_mul_bias_kernelIffsfLi1EEEvPT0_PKT_PKT1_PKT2_il, .Lfunc_end285-_ZN5aiter30swiglu_act_and_mul_bias_kernelIffsfLi1EEEvPT0_PKT_PKT1_PKT2_il
                                        ; -- End function
	.section	.AMDGPU.csdata,"",@progbits
; Kernel info:
; codeLenInByte = 732
; NumSgprs: 36
; NumVgprs: 11
; NumAgprs: 0
; TotalNumVgprs: 11
; ScratchSize: 0
; MemoryBound: 0
; FloatMode: 240
; IeeeMode: 1
; LDSByteSize: 0 bytes/workgroup (compile time only)
; SGPRBlocks: 4
; VGPRBlocks: 1
; NumSGPRsForWavesPerEU: 36
; NumVGPRsForWavesPerEU: 11
; AccumOffset: 12
; Occupancy: 8
; WaveLimiterHint : 0
; COMPUTE_PGM_RSRC2:SCRATCH_EN: 0
; COMPUTE_PGM_RSRC2:USER_SGPR: 2
; COMPUTE_PGM_RSRC2:TRAP_HANDLER: 0
; COMPUTE_PGM_RSRC2:TGID_X_EN: 1
; COMPUTE_PGM_RSRC2:TGID_Y_EN: 0
; COMPUTE_PGM_RSRC2:TGID_Z_EN: 0
; COMPUTE_PGM_RSRC2:TIDIG_COMP_CNT: 0
; COMPUTE_PGM_RSRC3_GFX90A:ACCUM_OFFSET: 2
; COMPUTE_PGM_RSRC3_GFX90A:TG_SPLIT: 0
	.section	.text._ZN5aiter30swiglu_act_and_mul_bias_kernelIDF16_DF16_sfLi32EEEvPT0_PKT_PKT1_PKT2_il,"axG",@progbits,_ZN5aiter30swiglu_act_and_mul_bias_kernelIDF16_DF16_sfLi32EEEvPT0_PKT_PKT1_PKT2_il,comdat
	.protected	_ZN5aiter30swiglu_act_and_mul_bias_kernelIDF16_DF16_sfLi32EEEvPT0_PKT_PKT1_PKT2_il ; -- Begin function _ZN5aiter30swiglu_act_and_mul_bias_kernelIDF16_DF16_sfLi32EEEvPT0_PKT_PKT1_PKT2_il
	.globl	_ZN5aiter30swiglu_act_and_mul_bias_kernelIDF16_DF16_sfLi32EEEvPT0_PKT_PKT1_PKT2_il
	.p2align	8
	.type	_ZN5aiter30swiglu_act_and_mul_bias_kernelIDF16_DF16_sfLi32EEEvPT0_PKT_PKT1_PKT2_il,@function
_ZN5aiter30swiglu_act_and_mul_bias_kernelIDF16_DF16_sfLi32EEEvPT0_PKT_PKT1_PKT2_il: ; @_ZN5aiter30swiglu_act_and_mul_bias_kernelIDF16_DF16_sfLi32EEEvPT0_PKT_PKT1_PKT2_il
; %bb.0:
	s_load_dword s24, s[0:1], 0x20
	s_load_dwordx2 s[4:5], s[0:1], 0x10
	s_load_dwordx2 s[6:7], s[0:1], 0x28
	s_mov_b32 s3, 0
	s_lshl_b64 s[8:9], s[2:3], 1
	s_waitcnt lgkmcnt(0)
	s_ashr_i32 s25, s24, 31
	s_add_u32 s4, s4, s8
	s_addc_u32 s5, s5, s9
	v_mov_b32_e32 v1, 0
	global_load_ushort v1, v1, s[4:5]
	s_mul_hi_u32 s3, s24, s2
	v_mov_b64_e32 v[2:3], s[6:7]
	s_mul_i32 s6, s25, s2
	s_add_i32 s7, s24, 1
	s_add_i32 s9, s3, s6
	s_lshr_b32 s3, s7, 31
	s_load_dwordx2 s[4:5], s[0:1], 0x0
	s_add_i32 s7, s7, s3
	s_lshl_b32 s3, s7, 1
	s_mul_i32 s8, s24, s2
	s_and_b32 s6, s3, -4
	s_lshl_b64 s[12:13], s[8:9], 1
	s_mov_b64 s[10:11], -1
	v_lshlrev_b32_e32 v42, 5, v0
	s_waitcnt vmcnt(0)
	v_readfirstlane_b32 s3, v1
	s_sext_i32_i16 s8, s3
	s_ashr_i32 s9, s8, 31
	s_waitcnt lgkmcnt(0)
	s_add_u32 s4, s4, s12
	s_addc_u32 s3, s5, s13
	s_and_b32 s5, s3, 0xffff
	s_cmp_gt_i32 s8, -1
	v_cmp_lt_i64_e32 vcc, s[8:9], v[2:3]
	s_cselect_b64 s[12:13], -1, 0
	s_and_b64 s[12:13], s[12:13], vcc
	s_and_b64 vcc, exec, s[12:13]
	s_cbranch_vccnz .LBB286_5
; %bb.1:
	v_cmp_gt_i32_e32 vcc, s24, v42
	s_and_saveexec_b64 s[10:11], vcc
	s_cbranch_execz .LBB286_4
; %bb.2:
	s_load_dword s3, s[0:1], 0x3c
	s_mov_b32 s13, 0
	s_mov_b32 s16, s13
	;; [unrolled: 1-line block ×3, first 2 shown]
	v_mov_b32_e32 v43, 0
	s_waitcnt lgkmcnt(0)
	s_and_b32 s3, s3, 0xffff
	s_mov_b32 s18, s13
	s_mov_b32 s19, s13
	v_mov_b64_e32 v[2:3], s[16:17]
	v_lshlrev_b32_e32 v1, 6, v0
	s_lshl_b32 s12, s3, 5
	s_lshl_b32 s3, s3, 6
	s_mov_b64 s[14:15], 0
	s_mov_b32 s7, 0x20000
	v_mov_b64_e32 v[4:5], s[18:19]
	v_mov_b64_e32 v[6:7], v[42:43]
.LBB286_3:                              ; =>This Inner Loop Header: Depth=1
	v_lshl_add_u64 v[6:7], s[12:13], 0, v[6:7]
	v_cmp_le_i64_e32 vcc, s[24:25], v[6:7]
	buffer_store_dwordx4 v[2:5], v1, s[4:7], 0 offen
	buffer_store_dwordx4 v[2:5], v1, s[4:7], 16 offen
	;; [unrolled: 1-line block ×4, first 2 shown]
	s_or_b64 s[14:15], vcc, s[14:15]
	v_add_u32_e32 v1, s3, v1
	s_andn2_b64 exec, exec, s[14:15]
	s_cbranch_execnz .LBB286_3
.LBB286_4:
	s_or_b64 exec, exec, s[10:11]
	s_mov_b64 s[10:11], 0
.LBB286_5:
	s_andn2_b64 vcc, exec, s[10:11]
	s_cbranch_vccnz .LBB286_9
; %bb.6:
	v_cmp_gt_i32_e32 vcc, s24, v42
	s_and_saveexec_b64 s[10:11], vcc
	s_cbranch_execz .LBB286_9
; %bb.7:
	s_load_dwordx2 s[14:15], s[0:1], 0x8
	s_load_dwordx2 s[10:11], s[0:1], 0x18
	s_mul_hi_i32 s9, s24, s8
	s_mul_i32 s8, s24, s8
	s_lshl_b64 s[8:9], s[8:9], 3
	s_load_dword s18, s[0:1], 0x3c
	s_waitcnt lgkmcnt(0)
	s_add_u32 s8, s10, s8
	s_addc_u32 s3, s11, s9
	s_lshl_b64 s[0:1], s[24:25], 2
	s_add_u32 s12, s8, s0
	s_addc_u32 s0, s3, s1
	s_and_b32 s13, s0, 0xffff
	s_mul_i32 s0, s2, s25
	s_mul_hi_u32 s1, s2, s24
	s_add_i32 s1, s1, s0
	s_mul_i32 s0, s2, s24
	s_lshl_b32 s10, s24, 2
	s_and_b32 s9, s3, 0xffff
	s_lshl_b64 s[0:1], s[0:1], 2
	s_add_u32 s16, s14, s0
	s_addc_u32 s2, s15, s1
	s_lshl_b64 s[0:1], s[24:25], 1
	s_add_u32 s20, s16, s0
	s_addc_u32 s0, s2, s1
	s_mov_b32 s7, 0x20000
	s_and_b32 s21, s0, 0xffff
	s_and_b32 s0, s18, 0xffff
	s_mov_b32 s11, s7
	s_and_b32 s17, s2, 0xffff
	s_mov_b64 s[22:23], s[6:7]
	s_mov_b32 s3, 0
	v_mov_b32_e32 v43, 0
	s_lshl_b32 s2, s0, 5
	v_lshlrev_b32_e32 v50, 7, v0
	s_lshl_b32 s28, s0, 7
	v_lshlrev_b32_e32 v51, 6, v0
	s_lshl_b32 s29, s0, 6
	s_mov_b64 s[26:27], 0
	s_movk_i32 s30, 0x50
	s_movk_i32 s31, 0x60
	;; [unrolled: 1-line block ×3, first 2 shown]
	s_mov_b32 s34, 0x3fb8aa3b
	s_mov_b32 s35, 0xc2ce8ed0
	;; [unrolled: 1-line block ×3, first 2 shown]
	v_mov_b32_e32 v52, 0x7f800000
	s_mov_b32 s37, 0xc0e00000
	v_mov_b32_e32 v53, 0x40e00000
	s_mov_b32 s18, s6
	s_mov_b32 s19, s7
.LBB286_8:                              ; =>This Inner Loop Header: Depth=1
	buffer_load_dwordx4 v[22:25], v51, s[16:19], 0 offen
	buffer_load_dwordx4 v[10:13], v51, s[20:23], 0 offen
	;; [unrolled: 1-line block ×3, first 2 shown]
	s_mov_b32 s14, s10
	s_mov_b32 s15, s11
	buffer_load_dwordx4 v[44:47], v50, s[12:15], 0 offen
	buffer_load_dwordx4 v[18:21], v51, s[16:19], 16 offen
	;; [unrolled: 1-line block ×7, first 2 shown]
	v_lshl_add_u64 v[42:43], s[2:3], 0, v[42:43]
	s_waitcnt vmcnt(9)
	v_cvt_f32_f16_e32 v8, v22
	v_cvt_f32_f16_sdwa v9, v22 dst_sel:DWORD dst_unused:UNUSED_PAD src0_sel:WORD_1
	v_cvt_f32_f16_e32 v22, v23
	v_cvt_f32_f16_sdwa v23, v23 dst_sel:DWORD dst_unused:UNUSED_PAD src0_sel:WORD_1
	s_waitcnt vmcnt(8)
	v_cvt_f32_f16_e32 v30, v10
	v_cvt_f32_f16_sdwa v31, v10 dst_sel:DWORD dst_unused:UNUSED_PAD src0_sel:WORD_1
	v_cvt_f32_f16_e32 v10, v11
	v_cvt_f32_f16_sdwa v11, v11 dst_sel:DWORD dst_unused:UNUSED_PAD src0_sel:WORD_1
	s_waitcnt vmcnt(7)
	v_pk_add_f32 v[8:9], v[36:37], v[8:9]
	v_pk_add_f32 v[22:23], v[38:39], v[22:23]
	v_min_f32_e32 v37, 0x40e00000, v9
	v_min_f32_e32 v36, 0x40e00000, v8
	v_min_f32_e32 v22, 0x40e00000, v22
	v_mul_f32_e32 v38, 0xbfd9db23, v36
	v_mul_f32_e32 v39, 0xbfd9db23, v37
	s_waitcnt vmcnt(6)
	v_pk_add_f32 v[10:11], v[46:47], v[10:11]
	v_min_f32_e32 v23, 0x40e00000, v23
	v_mul_f32_e32 v40, 0xbfd9db23, v22
	v_mul_f32_e32 v8, 0x3fb8aa3b, v38
	v_mul_f32_e32 v9, 0x3fb8aa3b, v39
	v_pk_add_f32 v[30:31], v[44:45], v[30:31]
	v_med3_f32 v44, v10, s37, v53
	v_mul_f32_e32 v41, 0xbfd9db23, v23
	v_mul_f32_e32 v10, 0x3fb8aa3b, v40
	v_fma_f32 v46, v38, s34, -v8
	v_rndne_f32_e32 v47, v8
	v_fma_f32 v48, v39, s34, -v9
	v_rndne_f32_e32 v49, v9
	v_med3_f32 v45, v11, s37, v53
	v_mul_f32_e32 v11, 0x3fb8aa3b, v41
	v_fma_f32 v54, v40, s34, -v10
	v_rndne_f32_e32 v55, v10
	v_fmac_f32_e32 v46, 0x32a5705f, v38
	v_sub_f32_e32 v8, v8, v47
	v_fmac_f32_e32 v48, 0x32a5705f, v39
	v_sub_f32_e32 v9, v9, v49
	v_add_f32_e32 v8, v8, v46
	v_fma_f32 v46, v41, s34, -v11
	v_add_f32_e32 v9, v9, v48
	v_rndne_f32_e32 v48, v11
	v_fmac_f32_e32 v54, 0x32a5705f, v40
	v_sub_f32_e32 v10, v10, v55
	v_cvt_i32_f32_e32 v47, v47
	v_fmac_f32_e32 v46, 0x32a5705f, v41
	v_sub_f32_e32 v11, v11, v48
	v_add_f32_e32 v10, v10, v54
	v_exp_f32_e32 v8, v8
	v_cvt_i32_f32_e32 v49, v49
	v_cvt_i32_f32_e32 v55, v55
	v_add_f32_e32 v11, v11, v46
	v_exp_f32_e32 v9, v9
	v_exp_f32_e32 v46, v10
	v_cvt_i32_f32_e32 v48, v48
	v_exp_f32_e32 v54, v11
	v_ldexp_f32 v56, v8, v47
	v_cmp_ngt_f32_e32 vcc, s35, v38
	v_ldexp_f32 v49, v9, v49
	v_ldexp_f32 v55, v46, v55
	v_cvt_f32_f16_e32 v46, v24
	v_cvt_f32_f16_sdwa v47, v24 dst_sel:DWORD dst_unused:UNUSED_PAD src0_sel:WORD_1
	v_cndmask_b32_e32 v24, 0, v56, vcc
	v_cmp_ngt_f32_e32 vcc, s35, v39
	v_ldexp_f32 v48, v54, v48
	s_waitcnt vmcnt(1)
	v_pk_add_f32 v[32:33], v[32:33], v[46:47]
	v_cndmask_b32_e32 v49, 0, v49, vcc
	v_cmp_ngt_f32_e32 vcc, s35, v40
	v_med3_f32 v31, v31, s37, v53
	v_med3_f32 v30, v30, s37, v53
	v_cndmask_b32_e32 v54, 0, v55, vcc
	v_cmp_ngt_f32_e32 vcc, s35, v41
	v_min_f32_e32 v46, 0x40e00000, v32
	v_pk_add_f32 v[30:31], v[30:31], 1.0 op_sel_hi:[1,0]
	v_cndmask_b32_e32 v48, 0, v48, vcc
	v_cmp_nlt_f32_e32 vcc, s36, v38
	v_min_f32_e32 v47, 0x40e00000, v33
	buffer_load_dwordx4 v[8:11], v51, s[20:23], 32 offen
	v_cndmask_b32_e32 v24, v52, v24, vcc
	v_cmp_nlt_f32_e32 vcc, s36, v39
	v_add_f32_e32 v24, 1.0, v24
	s_nop 0
	v_cndmask_b32_e32 v38, v52, v49, vcc
	v_cmp_nlt_f32_e32 vcc, s36, v40
	v_add_f32_e32 v38, 1.0, v38
	v_rcp_f32_e32 v49, v38
	v_cndmask_b32_e32 v39, v52, v54, vcc
	v_cmp_nlt_f32_e32 vcc, s36, v41
	v_add_f32_e32 v39, 1.0, v39
	v_rcp_f32_e32 v54, v39
	v_cndmask_b32_e32 v40, v52, v48, vcc
	v_rcp_f32_e32 v48, v24
	v_add_f32_e32 v40, 1.0, v40
	v_rcp_f32_e32 v55, v40
	buffer_load_dwordx4 v[38:41], v50, s[8:11], 32 offen
	v_pk_mul_f32 v[36:37], v[36:37], v[48:49]
	v_mul_f32_e32 v24, 0xbfd9db23, v46
	v_pk_mul_f32 v[36:37], v[30:31], v[36:37]
	v_mul_f32_e32 v30, 0x3fb8aa3b, v24
	v_fma_f32 v31, v24, s34, -v30
	v_rndne_f32_e32 v32, v30
	v_fmac_f32_e32 v31, 0x32a5705f, v24
	v_sub_f32_e32 v30, v30, v32
	v_add_f32_e32 v30, v30, v31
	v_exp_f32_e32 v48, v30
	v_cvt_i32_f32_e32 v32, v32
	v_pk_mul_f32 v[22:23], v[22:23], v[54:55]
	v_pk_add_f32 v[30:31], v[44:45], 1.0 op_sel_hi:[1,0]
	v_cmp_ngt_f32_e32 vcc, s35, v24
	v_pk_mul_f32 v[44:45], v[30:31], v[22:23]
	v_ldexp_f32 v22, v48, v32
	v_cndmask_b32_e32 v22, 0, v22, vcc
	v_cmp_nlt_f32_e32 vcc, s36, v24
	v_cvt_f32_f16_sdwa v23, v12 dst_sel:DWORD dst_unused:UNUSED_PAD src0_sel:WORD_1
	v_cvt_f16_f32_e32 v54, v37
	v_cndmask_b32_e32 v24, v52, v22, vcc
	v_cvt_f32_f16_e32 v22, v12
	v_mul_f32_e32 v12, 0xbfd9db23, v47
	v_mul_f32_e32 v30, 0x3fb8aa3b, v12
	v_fma_f32 v31, v12, s34, -v30
	v_rndne_f32_e32 v32, v30
	v_fmac_f32_e32 v31, 0x32a5705f, v12
	v_sub_f32_e32 v30, v30, v32
	v_add_f32_e32 v30, v30, v31
	v_exp_f32_e32 v30, v30
	v_cvt_i32_f32_e32 v31, v32
	v_add_f32_e32 v24, 1.0, v24
	v_rcp_f32_e32 v48, v24
	v_cmp_ngt_f32_e32 vcc, s35, v12
	v_ldexp_f32 v24, v30, v31
	buffer_load_dwordx4 v[30:33], v50, s[8:11], 48 offen
	v_cndmask_b32_e32 v24, 0, v24, vcc
	v_cmp_nlt_f32_e32 vcc, s36, v12
	s_waitcnt vmcnt(3)
	v_pk_add_f32 v[22:23], v[26:27], v[22:23]
	v_cvt_f16_f32_e32 v55, v36
	v_cndmask_b32_e32 v12, v52, v24, vcc
	v_add_f32_e32 v12, 1.0, v12
	v_rcp_f32_e32 v49, v12
	v_med3_f32 v23, v23, s37, v53
	v_med3_f32 v22, v22, s37, v53
	v_pk_add_f32 v[22:23], v[22:23], 1.0 op_sel_hi:[1,0]
	v_pk_mul_f32 v[46:47], v[46:47], v[48:49]
	v_cvt_f32_f16_e32 v48, v25
	v_cvt_f32_f16_sdwa v49, v25 dst_sel:DWORD dst_unused:UNUSED_PAD src0_sel:WORD_1
	buffer_load_dwordx4 v[24:27], v50, s[12:15], 32 offen
	v_pk_mul_f32 v[46:47], v[22:23], v[46:47]
	v_pk_add_f32 v[22:23], v[34:35], v[48:49]
	s_nop 0
	v_min_f32_e32 v22, 0x40e00000, v22
	v_mul_f32_e32 v12, 0xbfd9db23, v22
	v_mul_f32_e32 v34, 0x3fb8aa3b, v12
	v_fma_f32 v35, v12, s34, -v34
	v_rndne_f32_e32 v48, v34
	v_fmac_f32_e32 v35, 0x32a5705f, v12
	v_sub_f32_e32 v34, v34, v48
	v_add_f32_e32 v34, v34, v35
	v_exp_f32_e32 v34, v34
	v_cvt_i32_f32_e32 v35, v48
	v_min_f32_e32 v23, 0x40e00000, v23
	v_cmp_ngt_f32_e32 vcc, s35, v12
	v_mul_f32_e32 v49, 0xbfd9db23, v23
	v_ldexp_f32 v34, v34, v35
	v_cndmask_b32_e32 v48, 0, v34, vcc
	v_mul_f32_e32 v34, 0x3fb8aa3b, v49
	v_fma_f32 v35, v49, s34, -v34
	v_rndne_f32_e32 v56, v34
	v_fmac_f32_e32 v35, 0x32a5705f, v49
	v_sub_f32_e32 v34, v34, v56
	v_add_f32_e32 v57, v34, v35
	buffer_load_dwordx4 v[34:37], v50, s[12:15], 48 offen
	v_cmp_nlt_f32_e32 vcc, s36, v12
	v_cvt_f32_f16_e32 v12, v13
	v_cvt_f32_f16_sdwa v13, v13 dst_sel:DWORD dst_unused:UNUSED_PAD src0_sel:WORD_1
	v_exp_f32_e32 v57, v57
	v_cvt_i32_f32_e32 v56, v56
	v_cndmask_b32_e32 v48, v52, v48, vcc
	v_pk_add_f32 v[12:13], v[28:29], v[12:13]
	v_cmp_ngt_f32_e32 vcc, s35, v49
	v_ldexp_f32 v29, v57, v56
	v_add_f32_e32 v48, 1.0, v48
	v_cndmask_b32_e32 v29, 0, v29, vcc
	v_cmp_nlt_f32_e32 vcc, s36, v49
	v_rcp_f32_e32 v28, v48
	v_cvt_f32_f16_e32 v48, v18
	v_cndmask_b32_e32 v29, v52, v29, vcc
	v_add_f32_e32 v29, 1.0, v29
	v_rcp_f32_e32 v29, v29
	v_cvt_f32_f16_sdwa v49, v18 dst_sel:DWORD dst_unused:UNUSED_PAD src0_sel:WORD_1
	v_med3_f32 v13, v13, s37, v53
	v_med3_f32 v12, v12, s37, v53
	v_pk_mul_f32 v[22:23], v[22:23], v[28:29]
	s_waitcnt vmcnt(3)
	v_pk_add_f32 v[28:29], v[38:39], v[48:49]
	v_pk_add_f32 v[12:13], v[12:13], 1.0 op_sel_hi:[1,0]
	v_min_f32_e32 v28, 0x40e00000, v28
	v_mul_f32_e32 v18, 0xbfd9db23, v28
	v_mul_f32_e32 v38, 0x3fb8aa3b, v18
	v_fma_f32 v39, v18, s34, -v38
	v_rndne_f32_e32 v48, v38
	v_fmac_f32_e32 v39, 0x32a5705f, v18
	v_sub_f32_e32 v38, v38, v48
	v_add_f32_e32 v38, v38, v39
	v_exp_f32_e32 v38, v38
	v_cvt_i32_f32_e32 v39, v48
	v_min_f32_e32 v29, 0x40e00000, v29
	v_pk_mul_f32 v[48:49], v[12:13], v[22:23]
	v_cmp_ngt_f32_e32 vcc, s35, v18
	v_ldexp_f32 v12, v38, v39
	v_mul_f32_e32 v13, 0xbfd9db23, v29
	v_cndmask_b32_e32 v12, 0, v12, vcc
	v_cmp_nlt_f32_e32 vcc, s36, v18
	v_mul_f32_e32 v18, 0x3fb8aa3b, v13
	v_fma_f32 v22, v13, s34, -v18
	v_rndne_f32_e32 v23, v18
	v_fmac_f32_e32 v22, 0x32a5705f, v13
	v_sub_f32_e32 v18, v18, v23
	v_add_f32_e32 v18, v18, v22
	v_exp_f32_e32 v18, v18
	v_cvt_i32_f32_e32 v38, v23
	v_cndmask_b32_e32 v12, v52, v12, vcc
	v_cvt_f32_f16_e32 v22, v14
	v_cvt_f32_f16_sdwa v23, v14 dst_sel:DWORD dst_unused:UNUSED_PAD src0_sel:WORD_1
	v_ldexp_f32 v14, v18, v38
	v_cmp_ngt_f32_e32 vcc, s35, v13
	v_add_f32_e32 v12, 1.0, v12
	v_rcp_f32_e32 v12, v12
	v_cndmask_b32_e32 v14, 0, v14, vcc
	v_cmp_nlt_f32_e32 vcc, s36, v13
	s_waitcnt vmcnt(1)
	v_pk_add_f32 v[22:23], v[24:25], v[22:23]
	v_cndmask_b32_e32 v13, v52, v14, vcc
	v_add_f32_e32 v13, 1.0, v13
	v_rcp_f32_e32 v13, v13
	v_med3_f32 v39, v23, s37, v53
	v_med3_f32 v38, v22, s37, v53
	buffer_load_dwordx4 v[22:25], v50, s[8:11], 64 offen
	v_pk_mul_f32 v[12:13], v[28:29], v[12:13]
	v_cvt_f32_f16_e32 v28, v19
	v_cvt_f32_f16_sdwa v29, v19 dst_sel:DWORD dst_unused:UNUSED_PAD src0_sel:WORD_1
	v_pk_add_f32 v[18:19], v[38:39], 1.0 op_sel_hi:[1,0]
	s_nop 0
	v_pk_mul_f32 v[18:19], v[18:19], v[12:13]
	v_pk_add_f32 v[12:13], v[40:41], v[28:29]
	s_nop 0
	v_min_f32_e32 v12, 0x40e00000, v12
	v_mul_f32_e32 v28, 0xbfd9db23, v12
	v_mul_f32_e32 v14, 0x3fb8aa3b, v28
	v_fma_f32 v29, v28, s34, -v14
	v_rndne_f32_e32 v38, v14
	v_fmac_f32_e32 v29, 0x32a5705f, v28
	v_sub_f32_e32 v14, v14, v38
	v_add_f32_e32 v14, v14, v29
	v_exp_f32_e32 v29, v14
	v_cvt_i32_f32_e32 v38, v38
	v_cvt_f32_f16_e32 v14, v15
	v_cvt_f32_f16_sdwa v15, v15 dst_sel:DWORD dst_unused:UNUSED_PAD src0_sel:WORD_1
	v_min_f32_e32 v13, 0x40e00000, v13
	v_mul_f32_e32 v39, 0xbfd9db23, v13
	v_ldexp_f32 v29, v29, v38
	v_cmp_ngt_f32_e32 vcc, s35, v28
	v_pk_add_f32 v[14:15], v[26:27], v[14:15]
	v_mul_f32_e32 v26, 0x3fb8aa3b, v39
	v_cndmask_b32_e32 v38, 0, v29, vcc
	v_fma_f32 v27, v39, s34, -v26
	v_rndne_f32_e32 v29, v26
	v_fmac_f32_e32 v27, 0x32a5705f, v39
	v_sub_f32_e32 v26, v26, v29
	v_add_f32_e32 v26, v26, v27
	v_exp_f32_e32 v40, v26
	v_cvt_i32_f32_e32 v41, v29
	v_cmp_nlt_f32_e32 vcc, s36, v28
	buffer_load_dwordx4 v[26:29], v50, s[12:15], 64 offen
	v_med3_f32 v15, v15, s37, v53
	v_cndmask_b32_e32 v38, v52, v38, vcc
	v_ldexp_f32 v40, v40, v41
	v_cmp_ngt_f32_e32 vcc, s35, v39
	v_add_f32_e32 v38, 1.0, v38
	v_rcp_f32_e32 v38, v38
	v_cndmask_b32_e32 v40, 0, v40, vcc
	v_cmp_nlt_f32_e32 vcc, s36, v39
	v_cvt_f32_f16_sdwa v41, v20 dst_sel:DWORD dst_unused:UNUSED_PAD src0_sel:WORD_1
	v_med3_f32 v14, v14, s37, v53
	v_cndmask_b32_e32 v39, v52, v40, vcc
	v_add_f32_e32 v39, 1.0, v39
	v_rcp_f32_e32 v39, v39
	v_cvt_f32_f16_e32 v40, v20
	v_pk_add_f32 v[14:15], v[14:15], 1.0 op_sel_hi:[1,0]
	v_pk_mul_f32 v[12:13], v[12:13], v[38:39]
	s_nop 0
	v_pk_mul_f32 v[38:39], v[14:15], v[12:13]
	v_pk_add_f32 v[12:13], v[30:31], v[40:41]
	v_cvt_f16_f32_e32 v40, v45
	v_min_f32_e32 v12, 0x40e00000, v12
	v_mul_f32_e32 v14, 0xbfd9db23, v12
	v_mul_f32_e32 v15, 0x3fb8aa3b, v14
	v_min_f32_e32 v13, 0x40e00000, v13
	v_fma_f32 v20, v14, s34, -v15
	v_rndne_f32_e32 v30, v15
	v_fmac_f32_e32 v20, 0x32a5705f, v14
	v_sub_f32_e32 v15, v15, v30
	v_cvt_f16_f32_e32 v45, v46
	v_mul_f32_e32 v46, 0xbfd9db23, v13
	v_add_f32_e32 v15, v15, v20
	v_cvt_i32_f32_e32 v20, v30
	v_mul_f32_e32 v30, 0x3fb8aa3b, v46
	v_exp_f32_e32 v15, v15
	v_cvt_f16_f32_e32 v41, v44
	v_cvt_f16_f32_e32 v44, v47
	v_fma_f32 v31, v46, s34, -v30
	v_rndne_f32_e32 v47, v30
	v_fmac_f32_e32 v31, 0x32a5705f, v46
	v_sub_f32_e32 v30, v30, v47
	v_add_f32_e32 v30, v30, v31
	v_exp_f32_e32 v30, v30
	v_cvt_i32_f32_e32 v31, v47
	v_ldexp_f32 v15, v15, v20
	v_cvt_f32_f16_e32 v20, v21
	v_cvt_f32_f16_sdwa v21, v21 dst_sel:DWORD dst_unused:UNUSED_PAD src0_sel:WORD_1
	v_cmp_ngt_f32_e32 vcc, s35, v14
	v_cvt_f16_f32_e32 v47, v48
	v_pk_add_f32 v[20:21], v[32:33], v[20:21]
	v_cndmask_b32_e32 v15, 0, v15, vcc
	v_cmp_nlt_f32_e32 vcc, s36, v14
	v_min_f32_e32 v20, 0x40e00000, v20
	v_mul_f32_e32 v60, 0xbfd9db23, v20
	v_cndmask_b32_e32 v14, v52, v15, vcc
	v_ldexp_f32 v15, v30, v31
	v_cvt_f32_f16_e32 v30, v16
	v_cvt_f32_f16_sdwa v31, v16 dst_sel:DWORD dst_unused:UNUSED_PAD src0_sel:WORD_1
	v_mul_f32_e32 v16, 0x3fb8aa3b, v60
	v_min_f32_e32 v21, 0x40e00000, v21
	v_cmp_ngt_f32_e32 vcc, s35, v46
	s_waitcnt vmcnt(2)
	v_pk_add_f32 v[30:31], v[34:35], v[30:31]
	v_cvt_f16_f32_e32 v35, v18
	v_med3_f32 v57, v31, s37, v53
	v_med3_f32 v56, v30, s37, v53
	v_fma_f32 v30, v60, s34, -v16
	v_rndne_f32_e32 v31, v16
	v_fmac_f32_e32 v30, 0x32a5705f, v60
	v_sub_f32_e32 v16, v16, v31
	v_add_f32_e32 v16, v16, v30
	v_exp_f32_e32 v16, v16
	v_cvt_i32_f32_e32 v30, v31
	v_cvt_f16_f32_e32 v34, v19
	v_cndmask_b32_e32 v15, 0, v15, vcc
	v_cmp_nlt_f32_e32 vcc, s36, v46
	v_ldexp_f32 v18, v16, v30
	v_cvt_f32_f16_e32 v16, v17
	v_cvt_f32_f16_sdwa v17, v17 dst_sel:DWORD dst_unused:UNUSED_PAD src0_sel:WORD_1
	buffer_load_dwordx4 v[30:33], v50, s[8:11], s30 offen
	v_cndmask_b32_e32 v15, v52, v15, vcc
	v_cmp_ngt_f32_e32 vcc, s35, v60
	v_pk_add_f32 v[36:37], v[36:37], v[16:17]
	v_mul_f32_e32 v16, 0xbfd9db23, v21
	v_mul_f32_e32 v17, 0x3fb8aa3b, v16
	v_fma_f32 v19, v16, s34, -v17
	v_rndne_f32_e32 v48, v17
	v_fmac_f32_e32 v19, 0x32a5705f, v16
	v_sub_f32_e32 v17, v17, v48
	v_add_f32_e32 v17, v17, v19
	v_exp_f32_e32 v17, v17
	v_cvt_i32_f32_e32 v19, v48
	v_cndmask_b32_e32 v18, 0, v18, vcc
	v_cmp_nlt_f32_e32 vcc, s36, v60
	v_cvt_f16_f32_e32 v46, v49
	v_ldexp_f32 v17, v17, v19
	v_cndmask_b32_e32 v18, v52, v18, vcc
	v_cmp_ngt_f32_e32 vcc, s35, v16
	v_add_f32_e32 v18, 1.0, v18
	v_rcp_f32_e32 v48, v18
	v_cndmask_b32_e32 v17, 0, v17, vcc
	v_cmp_nlt_f32_e32 vcc, s36, v16
	v_add_f32_e32 v14, 1.0, v14
	v_add_f32_e32 v15, 1.0, v15
	v_cndmask_b32_e32 v16, v52, v17, vcc
	v_add_f32_e32 v16, 1.0, v16
	v_rcp_f32_e32 v49, v16
	buffer_load_dwordx4 v[16:19], v50, s[12:15], s30 offen
	v_rcp_f32_e32 v14, v14
	v_rcp_f32_e32 v15, v15
	v_pk_mul_f32 v[20:21], v[20:21], v[48:49]
	v_cvt_f32_f16_e32 v48, v4
	v_cvt_f32_f16_sdwa v49, v4 dst_sel:DWORD dst_unused:UNUSED_PAD src0_sel:WORD_1
	v_med3_f32 v37, v37, s37, v53
	v_med3_f32 v36, v36, s37, v53
	v_pk_add_f32 v[36:37], v[36:37], 1.0 op_sel_hi:[1,0]
	v_pk_mul_f32 v[58:59], v[12:13], v[14:15]
	buffer_load_dwordx4 v[12:15], v51, s[20:23], 48 offen
	v_pk_mul_f32 v[20:21], v[36:37], v[20:21]
	v_cvt_f32_f16_e32 v36, v8
	v_cvt_f32_f16_sdwa v37, v8 dst_sel:DWORD dst_unused:UNUSED_PAD src0_sel:WORD_1
	s_waitcnt vmcnt(4)
	v_pk_add_f32 v[22:23], v[22:23], v[48:49]
	v_pk_add_f32 v[56:57], v[56:57], 1.0 op_sel_hi:[1,0]
	v_min_f32_e32 v22, 0x40e00000, v22
	v_mul_f32_e32 v4, 0xbfd9db23, v22
	v_mul_f32_e32 v8, 0x3fb8aa3b, v4
	s_waitcnt vmcnt(3)
	v_pk_add_f32 v[26:27], v[26:27], v[36:37]
	v_fma_f32 v36, v4, s34, -v8
	v_rndne_f32_e32 v37, v8
	v_fmac_f32_e32 v36, 0x32a5705f, v4
	v_sub_f32_e32 v8, v8, v37
	v_add_f32_e32 v8, v8, v36
	v_exp_f32_e32 v8, v8
	v_cvt_i32_f32_e32 v36, v37
	v_min_f32_e32 v23, 0x40e00000, v23
	v_cmp_ngt_f32_e64 s[0:1], s35, v4
	v_med3_f32 v27, v27, s37, v53
	v_ldexp_f32 v8, v8, v36
	v_mul_f32_e32 v36, 0xbfd9db23, v23
	v_mul_f32_e32 v37, 0x3fb8aa3b, v36
	v_fma_f32 v48, v36, s34, -v37
	v_rndne_f32_e32 v49, v37
	v_fmac_f32_e32 v48, 0x32a5705f, v36
	v_sub_f32_e32 v37, v37, v49
	v_add_f32_e32 v37, v37, v48
	v_exp_f32_e32 v37, v37
	v_cvt_i32_f32_e32 v48, v49
	v_cmp_ngt_f32_e32 vcc, s35, v36
	v_cndmask_b32_e64 v8, 0, v8, s[0:1]
	v_cmp_nlt_f32_e64 s[0:1], s36, v4
	v_ldexp_f32 v37, v37, v48
	v_cndmask_b32_e32 v37, 0, v37, vcc
	v_cmp_nlt_f32_e32 vcc, s36, v36
	v_cndmask_b32_e64 v4, v52, v8, s[0:1]
	v_add_f32_e32 v4, 1.0, v4
	v_cndmask_b32_e32 v8, v52, v37, vcc
	v_add_f32_e32 v8, 1.0, v8
	v_rcp_f32_e32 v48, v4
	v_rcp_f32_e32 v49, v8
	v_med3_f32 v26, v26, s37, v53
	v_pk_mul_f32 v[56:57], v[56:57], v[58:59]
	v_cvt_f16_f32_e32 v36, v39
	v_pk_mul_f32 v[22:23], v[22:23], v[48:49]
	v_cvt_f32_f16_e32 v48, v5
	v_cvt_f32_f16_sdwa v49, v5 dst_sel:DWORD dst_unused:UNUSED_PAD src0_sel:WORD_1
	v_pk_add_f32 v[4:5], v[26:27], 1.0 op_sel_hi:[1,0]
	v_cvt_f16_f32_e32 v37, v38
	v_pk_mul_f32 v[4:5], v[4:5], v[22:23]
	v_pk_add_f32 v[22:23], v[24:25], v[48:49]
	v_cvt_f16_f32_e32 v48, v21
	v_min_f32_e32 v22, 0x40e00000, v22
	v_mul_f32_e32 v8, 0xbfd9db23, v22
	v_mul_f32_e32 v24, 0x3fb8aa3b, v8
	v_fma_f32 v25, v8, s34, -v24
	v_rndne_f32_e32 v26, v24
	v_fmac_f32_e32 v25, 0x32a5705f, v8
	v_sub_f32_e32 v24, v24, v26
	v_add_f32_e32 v24, v24, v25
	v_exp_f32_e32 v24, v24
	v_cvt_i32_f32_e32 v25, v26
	v_min_f32_e32 v23, 0x40e00000, v23
	v_cvt_f16_f32_e32 v49, v20
	v_cmp_ngt_f32_e32 vcc, s35, v8
	v_ldexp_f32 v20, v24, v25
	v_mul_f32_e32 v21, 0xbfd9db23, v23
	v_cndmask_b32_e32 v20, 0, v20, vcc
	v_cmp_nlt_f32_e32 vcc, s36, v8
	v_mul_f32_e32 v8, 0x3fb8aa3b, v21
	v_fma_f32 v24, v21, s34, -v8
	v_rndne_f32_e32 v25, v8
	v_fmac_f32_e32 v24, 0x32a5705f, v21
	v_sub_f32_e32 v8, v8, v25
	v_add_f32_e32 v24, v8, v24
	v_exp_f32_e32 v24, v24
	v_cvt_i32_f32_e32 v25, v25
	v_cndmask_b32_e32 v20, v52, v20, vcc
	v_cmp_ngt_f32_e32 vcc, s35, v21
	v_add_f32_e32 v20, 1.0, v20
	v_ldexp_f32 v24, v24, v25
	v_cndmask_b32_e32 v24, 0, v24, vcc
	v_cmp_nlt_f32_e32 vcc, s36, v21
	v_rcp_f32_e32 v20, v20
	v_cvt_f32_f16_sdwa v25, v6 dst_sel:DWORD dst_unused:UNUSED_PAD src0_sel:WORD_1
	v_cndmask_b32_e32 v21, v52, v24, vcc
	v_add_f32_e32 v21, 1.0, v21
	v_rcp_f32_e32 v21, v21
	v_cvt_f32_f16_e32 v24, v6
	v_cvt_f32_f16_e32 v8, v9
	v_cvt_f32_f16_sdwa v9, v9 dst_sel:DWORD dst_unused:UNUSED_PAD src0_sel:WORD_1
	v_pk_mul_f32 v[20:21], v[22:23], v[20:21]
	s_waitcnt vmcnt(2)
	v_pk_add_f32 v[22:23], v[30:31], v[24:25]
	v_cvt_f16_f32_e32 v38, v57
	v_min_f32_e32 v22, 0x40e00000, v22
	v_mul_f32_e32 v6, 0xbfd9db23, v22
	v_mul_f32_e32 v24, 0x3fb8aa3b, v6
	v_fma_f32 v25, v6, s34, -v24
	v_rndne_f32_e32 v26, v24
	v_fmac_f32_e32 v25, 0x32a5705f, v6
	v_sub_f32_e32 v24, v24, v26
	v_add_f32_e32 v24, v24, v25
	v_exp_f32_e32 v24, v24
	v_cvt_i32_f32_e32 v25, v26
	v_pk_add_f32 v[8:9], v[28:29], v[8:9]
	v_min_f32_e32 v23, 0x40e00000, v23
	v_med3_f32 v9, v9, s37, v53
	v_med3_f32 v8, v8, s37, v53
	v_pk_add_f32 v[8:9], v[8:9], 1.0 op_sel_hi:[1,0]
	v_cmp_ngt_f32_e32 vcc, s35, v6
	v_pk_mul_f32 v[8:9], v[8:9], v[20:21]
	v_ldexp_f32 v20, v24, v25
	v_cndmask_b32_e32 v20, 0, v20, vcc
	v_cmp_nlt_f32_e32 vcc, s36, v6
	v_mul_f32_e32 v21, 0xbfd9db23, v23
	v_cvt_f16_f32_e32 v39, v56
	v_cndmask_b32_e32 v6, v52, v20, vcc
	v_mul_f32_e32 v20, 0x3fb8aa3b, v21
	v_fma_f32 v24, v21, s34, -v20
	v_rndne_f32_e32 v25, v20
	v_fmac_f32_e32 v24, 0x32a5705f, v21
	v_sub_f32_e32 v20, v20, v25
	v_add_f32_e32 v20, v20, v24
	v_exp_f32_e32 v26, v20
	v_cvt_i32_f32_e32 v27, v25
	v_add_f32_e32 v6, 1.0, v6
	v_rcp_f32_e32 v20, v6
	v_cvt_f32_f16_e32 v24, v10
	v_cvt_f32_f16_sdwa v25, v10 dst_sel:DWORD dst_unused:UNUSED_PAD src0_sel:WORD_1
	v_ldexp_f32 v6, v26, v27
	v_cmp_ngt_f32_e32 vcc, s35, v21
	v_cvt_f16_f32_e32 v28, v9
	s_waitcnt vmcnt(1)
	v_pk_add_f32 v[16:17], v[16:17], v[24:25]
	v_cndmask_b32_e32 v6, 0, v6, vcc
	v_cmp_nlt_f32_e32 vcc, s36, v21
	buffer_load_dwordx4 v[24:27], v50, s[8:11], s31 offen
	v_med3_f32 v31, v17, s37, v53
	v_cndmask_b32_e32 v6, v52, v6, vcc
	v_add_f32_e32 v6, 1.0, v6
	v_rcp_f32_e32 v21, v6
	v_cvt_f32_f16_e32 v6, v7
	v_cvt_f32_f16_sdwa v7, v7 dst_sel:DWORD dst_unused:UNUSED_PAD src0_sel:WORD_1
	v_med3_f32 v30, v16, s37, v53
	v_pk_mul_f32 v[56:57], v[22:23], v[20:21]
	buffer_load_dwordx4 v[20:23], v50, s[12:15], s31 offen
	v_pk_add_f32 v[6:7], v[32:33], v[6:7]
	v_cvt_f16_f32_e32 v16, v5
	v_min_f32_e32 v32, 0x40e00000, v6
	v_mul_f32_e32 v6, 0xbfd9db23, v32
	v_min_f32_e32 v33, 0x40e00000, v7
	v_mul_f32_e32 v7, 0x3fb8aa3b, v6
	v_fma_f32 v10, v6, s34, -v7
	v_rndne_f32_e32 v17, v7
	v_fmac_f32_e32 v10, 0x32a5705f, v6
	v_sub_f32_e32 v7, v7, v17
	v_add_f32_e32 v7, v7, v10
	v_exp_f32_e32 v5, v7
	v_cvt_i32_f32_e32 v7, v17
	v_cvt_f16_f32_e32 v17, v4
	v_cvt_f16_f32_e32 v29, v8
	v_cvt_f32_f16_e32 v4, v11
	v_ldexp_f32 v7, v5, v7
	v_cvt_f32_f16_sdwa v5, v11 dst_sel:DWORD dst_unused:UNUSED_PAD src0_sel:WORD_1
	buffer_load_dwordx4 v[8:11], v50, s[8:11], s33 offen
	v_cmp_ngt_f32_e32 vcc, s35, v6
	v_pk_add_f32 v[30:31], v[30:31], 1.0 op_sel_hi:[1,0]
	v_pk_add_f32 v[18:19], v[18:19], v[4:5]
	v_mul_f32_e32 v4, 0xbfd9db23, v33
	v_mul_f32_e32 v5, 0x3fb8aa3b, v4
	v_fma_f32 v58, v4, s34, -v5
	v_rndne_f32_e32 v59, v5
	v_fmac_f32_e32 v58, 0x32a5705f, v4
	v_sub_f32_e32 v5, v5, v59
	v_add_f32_e32 v5, v5, v58
	v_exp_f32_e32 v5, v5
	v_cvt_i32_f32_e32 v59, v59
	v_cndmask_b32_e32 v7, 0, v7, vcc
	v_cmp_nlt_f32_e32 vcc, s36, v6
	v_pk_mul_f32 v[30:31], v[30:31], v[56:57]
	v_ldexp_f32 v5, v5, v59
	v_cndmask_b32_e32 v6, v52, v7, vcc
	v_cmp_ngt_f32_e32 vcc, s35, v4
	v_add_f32_e32 v6, 1.0, v6
	v_rcp_f32_e32 v58, v6
	v_cndmask_b32_e32 v5, 0, v5, vcc
	v_cmp_nlt_f32_e32 vcc, s36, v4
	v_cvt_f32_f16_e32 v56, v0
	v_cvt_f32_f16_sdwa v57, v0 dst_sel:DWORD dst_unused:UNUSED_PAD src0_sel:WORD_1
	v_cndmask_b32_e32 v4, v52, v5, vcc
	v_add_f32_e32 v4, 1.0, v4
	v_rcp_f32_e32 v59, v4
	buffer_load_dwordx4 v[4:7], v50, s[12:15], s33 offen
	v_med3_f32 v19, v19, s37, v53
	v_med3_f32 v18, v18, s37, v53
	v_pk_mul_f32 v[32:33], v[32:33], v[58:59]
	v_pk_add_f32 v[18:19], v[18:19], 1.0 op_sel_hi:[1,0]
	v_cvt_f16_f32_e32 v31, v31
	v_pk_mul_f32 v[18:19], v[18:19], v[32:33]
	s_waitcnt vmcnt(4)
	v_cvt_f32_f16_e32 v32, v12
	v_cvt_f32_f16_sdwa v33, v12 dst_sel:DWORD dst_unused:UNUSED_PAD src0_sel:WORD_1
	v_cvt_f16_f32_e32 v30, v30
	v_add_u32_e32 v50, s28, v50
	s_waitcnt vmcnt(3)
	v_pk_add_f32 v[24:25], v[24:25], v[56:57]
	s_nop 0
	v_min_f32_e32 v24, 0x40e00000, v24
	v_mul_f32_e32 v0, 0xbfd9db23, v24
	v_mul_f32_e32 v12, 0x3fb8aa3b, v0
	v_min_f32_e32 v25, 0x40e00000, v25
	v_cmp_ngt_f32_e64 s[0:1], s35, v0
	s_waitcnt vmcnt(2)
	v_pk_add_f32 v[20:21], v[20:21], v[32:33]
	v_fma_f32 v32, v0, s34, -v12
	v_rndne_f32_e32 v33, v12
	v_fmac_f32_e32 v32, 0x32a5705f, v0
	v_sub_f32_e32 v12, v12, v33
	v_add_f32_e32 v12, v12, v32
	v_exp_f32_e32 v12, v12
	v_cvt_i32_f32_e32 v32, v33
	v_med3_f32 v21, v21, s37, v53
	v_med3_f32 v20, v20, s37, v53
	v_pk_add_f32 v[20:21], v[20:21], 1.0 op_sel_hi:[1,0]
	v_ldexp_f32 v12, v12, v32
	v_mul_f32_e32 v32, 0xbfd9db23, v25
	v_mul_f32_e32 v33, 0x3fb8aa3b, v32
	v_fma_f32 v56, v32, s34, -v33
	v_rndne_f32_e32 v57, v33
	v_fmac_f32_e32 v56, 0x32a5705f, v32
	v_sub_f32_e32 v33, v33, v57
	v_add_f32_e32 v33, v33, v56
	v_exp_f32_e32 v33, v33
	v_cvt_i32_f32_e32 v56, v57
	v_cndmask_b32_e64 v12, 0, v12, s[0:1]
	v_cmp_nlt_f32_e64 s[0:1], s36, v0
	v_cmp_ngt_f32_e32 vcc, s35, v32
	v_ldexp_f32 v33, v33, v56
	v_cndmask_b32_e64 v0, v52, v12, s[0:1]
	v_cndmask_b32_e32 v33, 0, v33, vcc
	v_cmp_nlt_f32_e32 vcc, s36, v32
	v_add_f32_e32 v0, 1.0, v0
	v_rcp_f32_e32 v32, v0
	v_cndmask_b32_e32 v12, v52, v33, vcc
	v_cvt_f32_f16_e32 v0, v1
	v_cvt_f32_f16_sdwa v1, v1 dst_sel:DWORD dst_unused:UNUSED_PAD src0_sel:WORD_1
	v_add_f32_e32 v12, 1.0, v12
	v_rcp_f32_e32 v33, v12
	v_cvt_f16_f32_e32 v56, v19
	v_pk_add_f32 v[0:1], v[26:27], v[0:1]
	v_cvt_f16_f32_e32 v57, v18
	v_min_f32_e32 v0, 0x40e00000, v0
	v_pk_mul_f32 v[18:19], v[24:25], v[32:33]
	v_mul_f32_e32 v12, 0xbfd9db23, v0
	v_pk_mul_f32 v[18:19], v[20:21], v[18:19]
	v_mul_f32_e32 v20, 0x3fb8aa3b, v12
	v_fma_f32 v21, v12, s34, -v20
	v_rndne_f32_e32 v24, v20
	v_fmac_f32_e32 v21, 0x32a5705f, v12
	v_sub_f32_e32 v20, v20, v24
	v_add_f32_e32 v20, v20, v21
	v_exp_f32_e32 v20, v20
	v_cvt_i32_f32_e32 v21, v24
	v_min_f32_e32 v1, 0x40e00000, v1
	v_cvt_f16_f32_e32 v24, v19
	v_cvt_f16_f32_e32 v25, v18
	v_ldexp_f32 v18, v20, v21
	v_cmp_ngt_f32_e32 vcc, s35, v12
	v_mul_f32_e32 v19, 0xbfd9db23, v1
	s_nop 0
	v_cndmask_b32_e32 v18, 0, v18, vcc
	v_cmp_nlt_f32_e32 vcc, s36, v12
	v_mul_f32_e32 v12, 0x3fb8aa3b, v19
	v_fma_f32 v20, v19, s34, -v12
	v_rndne_f32_e32 v21, v12
	v_fmac_f32_e32 v20, 0x32a5705f, v19
	v_sub_f32_e32 v12, v12, v21
	v_add_f32_e32 v20, v12, v20
	v_exp_f32_e32 v20, v20
	v_cvt_i32_f32_e32 v21, v21
	v_cndmask_b32_e32 v18, v52, v18, vcc
	v_cmp_ngt_f32_e32 vcc, s35, v19
	v_cvt_f32_f16_e32 v12, v13
	v_ldexp_f32 v20, v20, v21
	v_cndmask_b32_e32 v20, 0, v20, vcc
	v_cmp_nlt_f32_e32 vcc, s36, v19
	v_cvt_f32_f16_sdwa v13, v13 dst_sel:DWORD dst_unused:UNUSED_PAD src0_sel:WORD_1
	v_cvt_f32_f16_sdwa v21, v2 dst_sel:DWORD dst_unused:UNUSED_PAD src0_sel:WORD_1
	v_cndmask_b32_e32 v19, v52, v20, vcc
	v_cvt_f32_f16_e32 v20, v2
	v_add_f32_e32 v18, 1.0, v18
	v_add_f32_e32 v19, 1.0, v19
	v_rcp_f32_e32 v18, v18
	v_rcp_f32_e32 v19, v19
	v_pk_add_f32 v[12:13], v[22:23], v[12:13]
	s_waitcnt vmcnt(1)
	v_pk_add_f32 v[8:9], v[8:9], v[20:21]
	v_med3_f32 v13, v13, s37, v53
	v_med3_f32 v12, v12, s37, v53
	v_min_f32_e32 v8, 0x40e00000, v8
	v_pk_mul_f32 v[0:1], v[0:1], v[18:19]
	v_pk_add_f32 v[12:13], v[12:13], 1.0 op_sel_hi:[1,0]
	v_mul_f32_e32 v2, 0xbfd9db23, v8
	v_pk_mul_f32 v[0:1], v[12:13], v[0:1]
	v_mul_f32_e32 v12, 0x3fb8aa3b, v2
	v_fma_f32 v13, v2, s34, -v12
	v_rndne_f32_e32 v18, v12
	v_fmac_f32_e32 v13, 0x32a5705f, v2
	v_sub_f32_e32 v12, v12, v18
	v_add_f32_e32 v12, v12, v13
	v_exp_f32_e32 v12, v12
	v_cvt_i32_f32_e32 v13, v18
	v_min_f32_e32 v9, 0x40e00000, v9
	v_cvt_f16_f32_e32 v19, v0
	v_cmp_ngt_f32_e32 vcc, s35, v2
	v_ldexp_f32 v0, v12, v13
	v_mul_f32_e32 v13, 0xbfd9db23, v9
	v_cndmask_b32_e32 v0, 0, v0, vcc
	v_cmp_nlt_f32_e32 vcc, s36, v2
	v_mul_f32_e32 v12, 0x3fb8aa3b, v13
	v_cvt_f16_f32_e32 v18, v1
	v_cndmask_b32_e32 v2, v52, v0, vcc
	v_cvt_f32_f16_e32 v0, v14
	v_cvt_f32_f16_sdwa v1, v14 dst_sel:DWORD dst_unused:UNUSED_PAD src0_sel:WORD_1
	v_fma_f32 v14, v13, s34, -v12
	v_rndne_f32_e32 v20, v12
	v_fmac_f32_e32 v14, 0x32a5705f, v13
	v_sub_f32_e32 v12, v12, v20
	v_add_f32_e32 v12, v12, v14
	v_exp_f32_e32 v14, v12
	v_cvt_i32_f32_e32 v20, v20
	v_add_f32_e32 v2, 1.0, v2
	v_rcp_f32_e32 v12, v2
	v_cmp_ngt_f32_e32 vcc, s35, v13
	v_ldexp_f32 v2, v14, v20
	s_waitcnt vmcnt(0)
	v_pk_add_f32 v[0:1], v[4:5], v[0:1]
	v_cndmask_b32_e32 v2, 0, v2, vcc
	v_cmp_nlt_f32_e32 vcc, s36, v13
	v_med3_f32 v1, v1, s37, v53
	v_med3_f32 v0, v0, s37, v53
	v_cndmask_b32_e32 v2, v52, v2, vcc
	v_add_f32_e32 v2, 1.0, v2
	v_rcp_f32_e32 v13, v2
	v_cvt_f32_f16_e32 v2, v3
	v_cvt_f32_f16_sdwa v3, v3 dst_sel:DWORD dst_unused:UNUSED_PAD src0_sel:WORD_1
	v_pk_add_f32 v[0:1], v[0:1], 1.0 op_sel_hi:[1,0]
	v_pk_mul_f32 v[4:5], v[8:9], v[12:13]
	v_pk_add_f32 v[2:3], v[10:11], v[2:3]
	s_nop 0
	v_min_f32_e32 v2, 0x40e00000, v2
	v_pk_mul_f32 v[0:1], v[0:1], v[4:5]
	v_mul_f32_e32 v4, 0xbfd9db23, v2
	v_mul_f32_e32 v5, 0x3fb8aa3b, v4
	v_fma_f32 v8, v4, s34, -v5
	v_rndne_f32_e32 v9, v5
	v_fmac_f32_e32 v8, 0x32a5705f, v4
	v_sub_f32_e32 v5, v5, v9
	v_add_f32_e32 v5, v5, v8
	v_exp_f32_e32 v5, v5
	v_cvt_i32_f32_e32 v8, v9
	v_min_f32_e32 v3, 0x40e00000, v3
	v_cvt_f16_f32_e32 v9, v1
	v_cvt_f16_f32_e32 v10, v0
	v_ldexp_f32 v0, v5, v8
	v_cmp_ngt_f32_e32 vcc, s35, v4
	v_mul_f32_e32 v1, 0xbfd9db23, v3
	s_nop 0
	v_cndmask_b32_e32 v0, 0, v0, vcc
	v_cmp_nlt_f32_e32 vcc, s36, v4
	v_mul_f32_e32 v4, 0x3fb8aa3b, v1
	v_fma_f32 v5, v1, s34, -v4
	v_rndne_f32_e32 v8, v4
	v_fmac_f32_e32 v5, 0x32a5705f, v1
	v_sub_f32_e32 v4, v4, v8
	v_add_f32_e32 v4, v4, v5
	v_exp_f32_e32 v11, v4
	v_cvt_i32_f32_e32 v8, v8
	v_cndmask_b32_e32 v0, v52, v0, vcc
	v_cmp_ngt_f32_e32 vcc, s35, v1
	v_cvt_f32_f16_e32 v4, v15
	v_ldexp_f32 v8, v11, v8
	v_cndmask_b32_e32 v8, 0, v8, vcc
	v_cmp_nlt_f32_e32 vcc, s36, v1
	v_cvt_f32_f16_sdwa v5, v15 dst_sel:DWORD dst_unused:UNUSED_PAD src0_sel:WORD_1
	v_add_f32_e32 v0, 1.0, v0
	v_cndmask_b32_e32 v1, v52, v8, vcc
	v_add_f32_e32 v1, 1.0, v1
	v_rcp_f32_e32 v0, v0
	v_rcp_f32_e32 v1, v1
	v_pk_add_f32 v[4:5], v[6:7], v[4:5]
	v_cmp_le_i64_e32 vcc, s[24:25], v[42:43]
	v_med3_f32 v5, v5, s37, v53
	v_med3_f32 v4, v4, s37, v53
	v_pk_mul_f32 v[0:1], v[2:3], v[0:1]
	v_pk_add_f32 v[2:3], v[4:5], 1.0 op_sel_hi:[1,0]
	s_or_b64 s[26:27], vcc, s[26:27]
	v_pk_mul_f32 v[0:1], v[2:3], v[0:1]
	v_pack_b32_f16 v3, v47, v46
	v_cvt_f16_f32_e32 v4, v1
	v_cvt_f16_f32_e32 v5, v0
	v_pack_b32_f16 v1, v41, v40
	v_pack_b32_f16 v2, v45, v44
	v_pack_b32_f16 v0, v55, v54
	buffer_store_dwordx4 v[0:3], v51, s[4:7], 0 offen
	s_nop 1
	v_pack_b32_f16 v3, v49, v48
	v_pack_b32_f16 v1, v37, v36
	v_pack_b32_f16 v2, v39, v38
	v_pack_b32_f16 v0, v35, v34
	buffer_store_dwordx4 v[0:3], v51, s[4:7], 16 offen
	s_nop 1
	v_pack_b32_f16 v3, v57, v56
	;; [unrolled: 6-line block ×3, first 2 shown]
	v_pack_b32_f16 v1, v19, v18
	v_pack_b32_f16 v2, v10, v9
	;; [unrolled: 1-line block ×3, first 2 shown]
	buffer_store_dwordx4 v[0:3], v51, s[4:7], 48 offen
	v_add_u32_e32 v51, s29, v51
	s_andn2_b64 exec, exec, s[26:27]
	s_cbranch_execnz .LBB286_8
.LBB286_9:
	s_endpgm
	.section	.rodata,"a",@progbits
	.p2align	6, 0x0
	.amdhsa_kernel _ZN5aiter30swiglu_act_and_mul_bias_kernelIDF16_DF16_sfLi32EEEvPT0_PKT_PKT1_PKT2_il
		.amdhsa_group_segment_fixed_size 0
		.amdhsa_private_segment_fixed_size 0
		.amdhsa_kernarg_size 304
		.amdhsa_user_sgpr_count 2
		.amdhsa_user_sgpr_dispatch_ptr 0
		.amdhsa_user_sgpr_queue_ptr 0
		.amdhsa_user_sgpr_kernarg_segment_ptr 1
		.amdhsa_user_sgpr_dispatch_id 0
		.amdhsa_user_sgpr_kernarg_preload_length 0
		.amdhsa_user_sgpr_kernarg_preload_offset 0
		.amdhsa_user_sgpr_private_segment_size 0
		.amdhsa_uses_dynamic_stack 0
		.amdhsa_enable_private_segment 0
		.amdhsa_system_sgpr_workgroup_id_x 1
		.amdhsa_system_sgpr_workgroup_id_y 0
		.amdhsa_system_sgpr_workgroup_id_z 0
		.amdhsa_system_sgpr_workgroup_info 0
		.amdhsa_system_vgpr_workitem_id 0
		.amdhsa_next_free_vgpr 61
		.amdhsa_next_free_sgpr 38
		.amdhsa_accum_offset 64
		.amdhsa_reserve_vcc 1
		.amdhsa_float_round_mode_32 0
		.amdhsa_float_round_mode_16_64 0
		.amdhsa_float_denorm_mode_32 3
		.amdhsa_float_denorm_mode_16_64 3
		.amdhsa_dx10_clamp 1
		.amdhsa_ieee_mode 1
		.amdhsa_fp16_overflow 0
		.amdhsa_tg_split 0
		.amdhsa_exception_fp_ieee_invalid_op 0
		.amdhsa_exception_fp_denorm_src 0
		.amdhsa_exception_fp_ieee_div_zero 0
		.amdhsa_exception_fp_ieee_overflow 0
		.amdhsa_exception_fp_ieee_underflow 0
		.amdhsa_exception_fp_ieee_inexact 0
		.amdhsa_exception_int_div_zero 0
	.end_amdhsa_kernel
	.section	.text._ZN5aiter30swiglu_act_and_mul_bias_kernelIDF16_DF16_sfLi32EEEvPT0_PKT_PKT1_PKT2_il,"axG",@progbits,_ZN5aiter30swiglu_act_and_mul_bias_kernelIDF16_DF16_sfLi32EEEvPT0_PKT_PKT1_PKT2_il,comdat
.Lfunc_end286:
	.size	_ZN5aiter30swiglu_act_and_mul_bias_kernelIDF16_DF16_sfLi32EEEvPT0_PKT_PKT1_PKT2_il, .Lfunc_end286-_ZN5aiter30swiglu_act_and_mul_bias_kernelIDF16_DF16_sfLi32EEEvPT0_PKT_PKT1_PKT2_il
                                        ; -- End function
	.section	.AMDGPU.csdata,"",@progbits
; Kernel info:
; codeLenInByte = 5520
; NumSgprs: 44
; NumVgprs: 61
; NumAgprs: 0
; TotalNumVgprs: 61
; ScratchSize: 0
; MemoryBound: 0
; FloatMode: 240
; IeeeMode: 1
; LDSByteSize: 0 bytes/workgroup (compile time only)
; SGPRBlocks: 5
; VGPRBlocks: 7
; NumSGPRsForWavesPerEU: 44
; NumVGPRsForWavesPerEU: 61
; AccumOffset: 64
; Occupancy: 8
; WaveLimiterHint : 0
; COMPUTE_PGM_RSRC2:SCRATCH_EN: 0
; COMPUTE_PGM_RSRC2:USER_SGPR: 2
; COMPUTE_PGM_RSRC2:TRAP_HANDLER: 0
; COMPUTE_PGM_RSRC2:TGID_X_EN: 1
; COMPUTE_PGM_RSRC2:TGID_Y_EN: 0
; COMPUTE_PGM_RSRC2:TGID_Z_EN: 0
; COMPUTE_PGM_RSRC2:TIDIG_COMP_CNT: 0
; COMPUTE_PGM_RSRC3_GFX90A:ACCUM_OFFSET: 15
; COMPUTE_PGM_RSRC3_GFX90A:TG_SPLIT: 0
	.section	.text._ZN5aiter30swiglu_act_and_mul_bias_kernelIDF16_DF16_sfLi16EEEvPT0_PKT_PKT1_PKT2_il,"axG",@progbits,_ZN5aiter30swiglu_act_and_mul_bias_kernelIDF16_DF16_sfLi16EEEvPT0_PKT_PKT1_PKT2_il,comdat
	.protected	_ZN5aiter30swiglu_act_and_mul_bias_kernelIDF16_DF16_sfLi16EEEvPT0_PKT_PKT1_PKT2_il ; -- Begin function _ZN5aiter30swiglu_act_and_mul_bias_kernelIDF16_DF16_sfLi16EEEvPT0_PKT_PKT1_PKT2_il
	.globl	_ZN5aiter30swiglu_act_and_mul_bias_kernelIDF16_DF16_sfLi16EEEvPT0_PKT_PKT1_PKT2_il
	.p2align	8
	.type	_ZN5aiter30swiglu_act_and_mul_bias_kernelIDF16_DF16_sfLi16EEEvPT0_PKT_PKT1_PKT2_il,@function
_ZN5aiter30swiglu_act_and_mul_bias_kernelIDF16_DF16_sfLi16EEEvPT0_PKT_PKT1_PKT2_il: ; @_ZN5aiter30swiglu_act_and_mul_bias_kernelIDF16_DF16_sfLi16EEEvPT0_PKT_PKT1_PKT2_il
; %bb.0:
	s_load_dword s24, s[0:1], 0x20
	s_load_dwordx2 s[4:5], s[0:1], 0x10
	s_load_dwordx2 s[6:7], s[0:1], 0x28
	s_mov_b32 s3, 0
	s_lshl_b64 s[8:9], s[2:3], 1
	s_waitcnt lgkmcnt(0)
	s_ashr_i32 s25, s24, 31
	s_add_u32 s4, s4, s8
	s_addc_u32 s5, s5, s9
	v_mov_b32_e32 v1, 0
	global_load_ushort v1, v1, s[4:5]
	s_mul_hi_u32 s3, s24, s2
	v_mov_b64_e32 v[2:3], s[6:7]
	s_mul_i32 s6, s25, s2
	s_add_i32 s7, s24, 1
	s_add_i32 s9, s3, s6
	s_lshr_b32 s3, s7, 31
	s_load_dwordx2 s[4:5], s[0:1], 0x0
	s_add_i32 s7, s7, s3
	s_lshl_b32 s3, s7, 1
	s_mul_i32 s8, s24, s2
	s_and_b32 s6, s3, -4
	s_lshl_b64 s[12:13], s[8:9], 1
	s_mov_b64 s[10:11], -1
	v_lshlrev_b32_e32 v40, 4, v0
	s_waitcnt vmcnt(0)
	v_readfirstlane_b32 s3, v1
	s_sext_i32_i16 s8, s3
	s_ashr_i32 s9, s8, 31
	s_waitcnt lgkmcnt(0)
	s_add_u32 s4, s4, s12
	s_addc_u32 s3, s5, s13
	s_and_b32 s5, s3, 0xffff
	s_cmp_gt_i32 s8, -1
	v_cmp_lt_i64_e32 vcc, s[8:9], v[2:3]
	s_cselect_b64 s[12:13], -1, 0
	s_and_b64 s[12:13], s[12:13], vcc
	s_and_b64 vcc, exec, s[12:13]
	s_cbranch_vccnz .LBB287_5
; %bb.1:
	v_cmp_gt_i32_e32 vcc, s24, v40
	s_and_saveexec_b64 s[10:11], vcc
	s_cbranch_execz .LBB287_4
; %bb.2:
	s_load_dword s3, s[0:1], 0x3c
	s_mov_b32 s13, 0
	s_mov_b32 s16, s13
	;; [unrolled: 1-line block ×3, first 2 shown]
	v_mov_b32_e32 v41, 0
	s_waitcnt lgkmcnt(0)
	s_and_b32 s3, s3, 0xffff
	s_mov_b32 s18, s13
	s_mov_b32 s19, s13
	v_mov_b64_e32 v[2:3], s[16:17]
	v_lshlrev_b32_e32 v1, 5, v0
	s_lshl_b32 s12, s3, 4
	s_lshl_b32 s3, s3, 5
	s_mov_b64 s[14:15], 0
	s_mov_b32 s7, 0x20000
	v_mov_b64_e32 v[4:5], s[18:19]
	v_mov_b64_e32 v[6:7], v[40:41]
.LBB287_3:                              ; =>This Inner Loop Header: Depth=1
	v_lshl_add_u64 v[6:7], s[12:13], 0, v[6:7]
	v_cmp_le_i64_e32 vcc, s[24:25], v[6:7]
	buffer_store_dwordx4 v[2:5], v1, s[4:7], 0 offen
	buffer_store_dwordx4 v[2:5], v1, s[4:7], 16 offen
	s_or_b64 s[14:15], vcc, s[14:15]
	v_add_u32_e32 v1, s3, v1
	s_andn2_b64 exec, exec, s[14:15]
	s_cbranch_execnz .LBB287_3
.LBB287_4:
	s_or_b64 exec, exec, s[10:11]
	s_mov_b64 s[10:11], 0
.LBB287_5:
	s_andn2_b64 vcc, exec, s[10:11]
	s_cbranch_vccnz .LBB287_9
; %bb.6:
	v_cmp_gt_i32_e32 vcc, s24, v40
	s_and_saveexec_b64 s[10:11], vcc
	s_cbranch_execz .LBB287_9
; %bb.7:
	s_load_dwordx2 s[14:15], s[0:1], 0x8
	s_load_dwordx2 s[10:11], s[0:1], 0x18
	s_mul_hi_i32 s9, s24, s8
	s_mul_i32 s8, s24, s8
	s_lshl_b64 s[8:9], s[8:9], 3
	s_load_dword s3, s[0:1], 0x3c
	s_waitcnt lgkmcnt(0)
	s_add_u32 s8, s10, s8
	s_addc_u32 s7, s11, s9
	s_lshl_b64 s[0:1], s[24:25], 2
	s_add_u32 s12, s8, s0
	s_addc_u32 s0, s7, s1
	s_and_b32 s13, s0, 0xffff
	s_mul_i32 s0, s2, s25
	s_mul_hi_u32 s1, s2, s24
	s_add_i32 s1, s1, s0
	s_mul_i32 s0, s2, s24
	s_lshl_b32 s10, s24, 2
	s_and_b32 s9, s7, 0xffff
	s_lshl_b64 s[0:1], s[0:1], 2
	s_add_u32 s16, s14, s0
	s_addc_u32 s2, s15, s1
	s_lshl_b64 s[0:1], s[24:25], 1
	s_add_u32 s20, s16, s0
	s_addc_u32 s0, s2, s1
	s_mov_b32 s7, 0x20000
	s_and_b32 s21, s0, 0xffff
	s_and_b32 s0, s3, 0xffff
	s_mov_b32 s11, s7
	s_and_b32 s17, s2, 0xffff
	s_mov_b32 s27, 0
	v_mov_b32_e32 v41, 0
	s_lshl_b32 s26, s0, 4
	v_lshlrev_b32_e32 v42, 6, v0
	s_lshl_b32 s30, s0, 6
	v_lshlrev_b32_e32 v43, 5, v0
	s_lshl_b32 s31, s0, 5
	s_mov_b64 s[28:29], 0
	s_mov_b32 s33, 0x3fb8aa3b
	s_mov_b32 s34, 0xc2ce8ed0
	;; [unrolled: 1-line block ×3, first 2 shown]
	v_mov_b32_e32 v44, 0x7f800000
	s_mov_b32 s36, 0xc0e00000
	v_mov_b32_e32 v45, 0x40e00000
	s_mov_b32 s18, s6
	s_mov_b32 s19, s7
	s_mov_b32 s22, s6
	s_mov_b32 s23, s7
.LBB287_8:                              ; =>This Inner Loop Header: Depth=1
	buffer_load_dwordx4 v[28:31], v43, s[16:19], 0 offen
	buffer_load_dwordx4 v[20:23], v43, s[20:23], 0 offen
	;; [unrolled: 1-line block ×3, first 2 shown]
	s_mov_b32 s14, s10
	s_mov_b32 s15, s11
	buffer_load_dwordx4 v[32:35], v42, s[12:15], 0 offen
	buffer_load_dwordx4 v[8:11], v43, s[16:19], 16 offen
	;; [unrolled: 1-line block ×7, first 2 shown]
	v_lshl_add_u64 v[40:41], s[26:27], 0, v[40:41]
	s_waitcnt vmcnt(9)
	v_cvt_f32_f16_e32 v46, v28
	v_cvt_f32_f16_sdwa v47, v28 dst_sel:DWORD dst_unused:UNUSED_PAD src0_sel:WORD_1
	v_cvt_f32_f16_e32 v28, v29
	v_cvt_f32_f16_sdwa v29, v29 dst_sel:DWORD dst_unused:UNUSED_PAD src0_sel:WORD_1
	s_waitcnt vmcnt(8)
	v_cvt_f32_f16_e32 v48, v20
	v_cvt_f32_f16_sdwa v49, v20 dst_sel:DWORD dst_unused:UNUSED_PAD src0_sel:WORD_1
	v_cvt_f32_f16_e32 v20, v21
	v_cvt_f32_f16_sdwa v21, v21 dst_sel:DWORD dst_unused:UNUSED_PAD src0_sel:WORD_1
	s_waitcnt vmcnt(7)
	v_pk_add_f32 v[12:13], v[12:13], v[46:47]
	v_pk_add_f32 v[14:15], v[14:15], v[28:29]
	v_min_f32_e32 v29, 0x40e00000, v13
	v_min_f32_e32 v28, 0x40e00000, v12
	s_waitcnt vmcnt(6)
	v_pk_add_f32 v[32:33], v[32:33], v[48:49]
	v_pk_add_f32 v[20:21], v[34:35], v[20:21]
	v_min_f32_e32 v48, 0x40e00000, v14
	v_mul_f32_e32 v12, 0xbfd9db23, v28
	v_mul_f32_e32 v13, 0xbfd9db23, v29
	v_min_f32_e32 v49, 0x40e00000, v15
	v_med3_f32 v50, v20, s36, v45
	v_mul_f32_e32 v20, 0xbfd9db23, v48
	v_mul_f32_e32 v14, 0x3fb8aa3b, v12
	;; [unrolled: 1-line block ×3, first 2 shown]
	v_med3_f32 v46, v32, s36, v45
	v_med3_f32 v51, v21, s36, v45
	v_mul_f32_e32 v21, 0xbfd9db23, v49
	v_mul_f32_e32 v32, 0x3fb8aa3b, v20
	v_fma_f32 v34, v12, s33, -v14
	v_rndne_f32_e32 v35, v14
	v_fma_f32 v52, v13, s33, -v15
	v_rndne_f32_e32 v53, v15
	v_med3_f32 v47, v33, s36, v45
	v_mul_f32_e32 v33, 0x3fb8aa3b, v21
	v_fma_f32 v54, v20, s33, -v32
	v_rndne_f32_e32 v55, v32
	v_fmac_f32_e32 v34, 0x32a5705f, v12
	v_sub_f32_e32 v14, v14, v35
	v_fmac_f32_e32 v52, 0x32a5705f, v13
	v_sub_f32_e32 v15, v15, v53
	v_add_f32_e32 v14, v14, v34
	v_fma_f32 v34, v21, s33, -v33
	v_add_f32_e32 v15, v15, v52
	v_rndne_f32_e32 v52, v33
	v_fmac_f32_e32 v54, 0x32a5705f, v20
	v_sub_f32_e32 v32, v32, v55
	v_cvt_i32_f32_e32 v35, v35
	v_fmac_f32_e32 v34, 0x32a5705f, v21
	v_sub_f32_e32 v33, v33, v52
	v_add_f32_e32 v32, v32, v54
	v_exp_f32_e32 v14, v14
	v_cvt_i32_f32_e32 v53, v53
	v_cvt_i32_f32_e32 v55, v55
	v_add_f32_e32 v33, v33, v34
	v_exp_f32_e32 v15, v15
	v_exp_f32_e32 v32, v32
	v_cvt_i32_f32_e32 v52, v52
	v_exp_f32_e32 v33, v33
	v_ldexp_f32 v14, v14, v35
	v_cmp_ngt_f32_e32 vcc, s34, v12
	v_ldexp_f32 v15, v15, v53
	v_ldexp_f32 v53, v32, v55
	v_cndmask_b32_e32 v54, 0, v14, vcc
	v_cmp_nlt_f32_e32 vcc, s35, v12
	v_cmp_ngt_f32_e64 s[2:3], s34, v20
	v_ldexp_f32 v52, v33, v52
	v_cmp_ngt_f32_e64 s[0:1], s34, v13
	v_cndmask_b32_e64 v53, 0, v53, s[2:3]
	v_cmp_ngt_f32_e64 s[2:3], s34, v21
	v_cndmask_b32_e32 v54, v44, v54, vcc
	v_cmp_nlt_f32_e32 vcc, s35, v20
	v_cndmask_b32_e64 v55, 0, v15, s[0:1]
	v_cmp_nlt_f32_e64 s[0:1], s35, v13
	v_cndmask_b32_e64 v52, 0, v52, s[2:3]
	v_cndmask_b32_e32 v20, v44, v53, vcc
	v_cmp_nlt_f32_e32 vcc, s35, v21
	v_cndmask_b32_e64 v55, v44, v55, s[0:1]
	v_add_f32_e32 v53, 1.0, v55
	v_cndmask_b32_e32 v21, v44, v52, vcc
	v_add_f32_e32 v52, 1.0, v54
	v_add_f32_e32 v54, 1.0, v20
	;; [unrolled: 1-line block ×3, first 2 shown]
	v_rcp_f32_e32 v20, v52
	v_rcp_f32_e32 v21, v53
	;; [unrolled: 1-line block ×4, first 2 shown]
	v_cvt_f32_f16_e32 v54, v30
	v_cvt_f32_f16_sdwa v55, v30 dst_sel:DWORD dst_unused:UNUSED_PAD src0_sel:WORD_1
	buffer_load_dwordx4 v[32:35], v42, s[12:15], 32 offen
	buffer_load_dwordx4 v[12:15], v42, s[12:15], 48 offen
	v_pk_add_f32 v[46:47], v[46:47], 1.0 op_sel_hi:[1,0]
	v_pk_mul_f32 v[20:21], v[28:29], v[20:21]
	s_waitcnt vmcnt(5)
	v_pk_add_f32 v[36:37], v[36:37], v[54:55]
	v_pk_mul_f32 v[46:47], v[46:47], v[20:21]
	v_min_f32_e32 v36, 0x40e00000, v36
	v_pk_mul_f32 v[28:29], v[48:49], v[52:53]
	v_cvt_f16_f32_e32 v20, v47
	v_cvt_f16_f32_e32 v21, v46
	v_pk_add_f32 v[46:47], v[50:51], 1.0 op_sel_hi:[1,0]
	v_mul_f32_e32 v30, 0xbfd9db23, v36
	v_pk_mul_f32 v[46:47], v[46:47], v[28:29]
	v_mul_f32_e32 v28, 0x3fb8aa3b, v30
	v_fma_f32 v29, v30, s33, -v28
	v_rndne_f32_e32 v48, v28
	v_fmac_f32_e32 v29, 0x32a5705f, v30
	v_sub_f32_e32 v28, v28, v48
	v_add_f32_e32 v28, v28, v29
	v_exp_f32_e32 v49, v28
	v_cvt_i32_f32_e32 v48, v48
	v_cvt_f16_f32_e32 v29, v46
	v_cmp_ngt_f32_e32 vcc, s34, v30
	v_min_f32_e32 v37, 0x40e00000, v37
	v_ldexp_f32 v46, v49, v48
	v_cndmask_b32_e32 v46, 0, v46, vcc
	v_cmp_nlt_f32_e32 vcc, s35, v30
	v_cvt_f16_f32_e32 v28, v47
	v_cvt_f32_f16_sdwa v47, v22 dst_sel:DWORD dst_unused:UNUSED_PAD src0_sel:WORD_1
	v_cndmask_b32_e32 v30, v44, v46, vcc
	v_cvt_f32_f16_e32 v46, v22
	v_mul_f32_e32 v22, 0xbfd9db23, v37
	v_mul_f32_e32 v48, 0x3fb8aa3b, v22
	v_fma_f32 v49, v22, s33, -v48
	v_rndne_f32_e32 v50, v48
	v_fmac_f32_e32 v49, 0x32a5705f, v22
	v_sub_f32_e32 v48, v48, v50
	v_add_f32_e32 v48, v48, v49
	v_exp_f32_e32 v49, v48
	v_cvt_i32_f32_e32 v50, v50
	v_add_f32_e32 v30, 1.0, v30
	v_rcp_f32_e32 v48, v30
	v_cmp_ngt_f32_e32 vcc, s34, v22
	v_ldexp_f32 v30, v49, v50
	s_waitcnt vmcnt(2)
	v_pk_add_f32 v[24:25], v[24:25], v[46:47]
	v_cndmask_b32_e32 v30, 0, v30, vcc
	v_cmp_nlt_f32_e32 vcc, s35, v22
	v_med3_f32 v25, v25, s36, v45
	v_med3_f32 v24, v24, s36, v45
	v_cndmask_b32_e32 v22, v44, v30, vcc
	v_add_f32_e32 v22, 1.0, v22
	v_cvt_f32_f16_e32 v30, v31
	v_cvt_f32_f16_sdwa v31, v31 dst_sel:DWORD dst_unused:UNUSED_PAD src0_sel:WORD_1
	v_rcp_f32_e32 v49, v22
	v_pk_add_f32 v[24:25], v[24:25], 1.0 op_sel_hi:[1,0]
	v_add_u32_e32 v42, s30, v42
	v_pk_add_f32 v[30:31], v[38:39], v[30:31]
	v_pk_mul_f32 v[36:37], v[36:37], v[48:49]
	v_min_f32_e32 v30, 0x40e00000, v30
	v_pk_mul_f32 v[24:25], v[24:25], v[36:37]
	v_mul_f32_e32 v36, 0xbfd9db23, v30
	v_mul_f32_e32 v22, 0x3fb8aa3b, v36
	v_fma_f32 v37, v36, s33, -v22
	v_rndne_f32_e32 v38, v22
	v_fmac_f32_e32 v37, 0x32a5705f, v36
	v_sub_f32_e32 v22, v22, v38
	v_add_f32_e32 v22, v22, v37
	v_exp_f32_e32 v37, v22
	v_cvt_i32_f32_e32 v38, v38
	v_cvt_f16_f32_e32 v22, v25
	v_min_f32_e32 v31, 0x40e00000, v31
	v_cmp_ngt_f32_e32 vcc, s34, v36
	v_ldexp_f32 v25, v37, v38
	v_cvt_f32_f16_sdwa v37, v23 dst_sel:DWORD dst_unused:UNUSED_PAD src0_sel:WORD_1
	v_cndmask_b32_e32 v25, 0, v25, vcc
	v_cmp_nlt_f32_e32 vcc, s35, v36
	v_cvt_f32_f16_e32 v36, v23
	v_mul_f32_e32 v23, 0xbfd9db23, v31
	v_mul_f32_e32 v38, 0x3fb8aa3b, v23
	v_fma_f32 v39, v23, s33, -v38
	v_rndne_f32_e32 v46, v38
	v_fmac_f32_e32 v39, 0x32a5705f, v23
	v_sub_f32_e32 v38, v38, v46
	v_add_f32_e32 v38, v38, v39
	v_exp_f32_e32 v39, v38
	v_cvt_i32_f32_e32 v46, v46
	v_cndmask_b32_e32 v25, v44, v25, vcc
	v_add_f32_e32 v25, 1.0, v25
	v_rcp_f32_e32 v38, v25
	v_ldexp_f32 v25, v39, v46
	v_cmp_ngt_f32_e32 vcc, s34, v23
	v_pk_add_f32 v[26:27], v[26:27], v[36:37]
	v_cvt_f32_f16_e32 v36, v8
	v_cndmask_b32_e32 v25, 0, v25, vcc
	v_cmp_nlt_f32_e32 vcc, s35, v23
	v_cvt_f32_f16_sdwa v37, v8 dst_sel:DWORD dst_unused:UNUSED_PAD src0_sel:WORD_1
	v_med3_f32 v27, v27, s36, v45
	v_cndmask_b32_e32 v23, v44, v25, vcc
	v_add_f32_e32 v23, 1.0, v23
	v_rcp_f32_e32 v39, v23
	v_med3_f32 v26, v26, s36, v45
	v_pk_add_f32 v[26:27], v[26:27], 1.0 op_sel_hi:[1,0]
	v_pk_add_f32 v[16:17], v[16:17], v[36:37]
	v_pk_mul_f32 v[30:31], v[30:31], v[38:39]
	v_cvt_f16_f32_e32 v24, v24
	v_pk_mul_f32 v[26:27], v[26:27], v[30:31]
	v_min_f32_e32 v30, 0x40e00000, v16
	v_mul_f32_e32 v23, 0xbfd9db23, v30
	v_mul_f32_e32 v8, 0x3fb8aa3b, v23
	v_fma_f32 v16, v23, s33, -v8
	v_rndne_f32_e32 v25, v8
	v_fmac_f32_e32 v16, 0x32a5705f, v23
	v_sub_f32_e32 v8, v8, v25
	v_add_f32_e32 v8, v8, v16
	v_exp_f32_e32 v36, v8
	v_cvt_i32_f32_e32 v25, v25
	v_min_f32_e32 v31, 0x40e00000, v17
	v_cvt_f16_f32_e32 v8, v27
	v_cvt_f16_f32_e32 v16, v26
	v_ldexp_f32 v17, v36, v25
	v_cmp_ngt_f32_e32 vcc, s34, v23
	v_cvt_f32_f16_e32 v26, v0
	v_cvt_f32_f16_sdwa v27, v0 dst_sel:DWORD dst_unused:UNUSED_PAD src0_sel:WORD_1
	v_mul_f32_e32 v0, 0xbfd9db23, v31
	v_cndmask_b32_e32 v17, 0, v17, vcc
	v_cmp_nlt_f32_e32 vcc, s35, v23
	v_mul_f32_e32 v23, 0x3fb8aa3b, v0
	v_fma_f32 v25, v0, s33, -v23
	v_rndne_f32_e32 v36, v23
	v_fmac_f32_e32 v25, 0x32a5705f, v0
	v_sub_f32_e32 v23, v23, v36
	v_add_f32_e32 v23, v23, v25
	v_exp_f32_e32 v23, v23
	v_cvt_i32_f32_e32 v25, v36
	v_cndmask_b32_e32 v17, v44, v17, vcc
	s_waitcnt vmcnt(1)
	v_pk_add_f32 v[26:27], v[32:33], v[26:27]
	v_cvt_f32_f16_e32 v32, v9
	v_cvt_f32_f16_sdwa v33, v9 dst_sel:DWORD dst_unused:UNUSED_PAD src0_sel:WORD_1
	v_add_f32_e32 v17, 1.0, v17
	v_rcp_f32_e32 v36, v17
	v_ldexp_f32 v17, v23, v25
	v_cmp_ngt_f32_e32 vcc, s34, v0
	v_pk_add_f32 v[18:19], v[18:19], v[32:33]
	v_med3_f32 v27, v27, s36, v45
	v_cndmask_b32_e32 v17, 0, v17, vcc
	v_cmp_nlt_f32_e32 vcc, s35, v0
	v_min_f32_e32 v18, 0x40e00000, v18
	v_med3_f32 v26, v26, s36, v45
	v_cndmask_b32_e32 v0, v44, v17, vcc
	v_add_f32_e32 v0, 1.0, v0
	v_rcp_f32_e32 v37, v0
	v_mul_f32_e32 v0, 0xbfd9db23, v18
	v_mul_f32_e32 v9, 0x3fb8aa3b, v0
	v_fma_f32 v17, v0, s33, -v9
	v_rndne_f32_e32 v23, v9
	v_fmac_f32_e32 v17, 0x32a5705f, v0
	v_sub_f32_e32 v9, v9, v23
	v_add_f32_e32 v9, v9, v17
	v_exp_f32_e32 v9, v9
	v_cvt_i32_f32_e32 v17, v23
	v_pk_mul_f32 v[30:31], v[30:31], v[36:37]
	v_pk_add_f32 v[26:27], v[26:27], 1.0 op_sel_hi:[1,0]
	v_min_f32_e32 v19, 0x40e00000, v19
	v_pk_mul_f32 v[26:27], v[26:27], v[30:31]
	v_ldexp_f32 v9, v9, v17
	v_mul_f32_e32 v17, 0xbfd9db23, v19
	v_cvt_f16_f32_e32 v25, v26
	v_mul_f32_e32 v26, 0x3fb8aa3b, v17
	v_cvt_f16_f32_e32 v23, v27
	v_fma_f32 v27, v17, s33, -v26
	v_rndne_f32_e32 v30, v26
	v_fmac_f32_e32 v27, 0x32a5705f, v17
	v_sub_f32_e32 v26, v26, v30
	v_add_f32_e32 v26, v26, v27
	v_cmp_ngt_f32_e32 vcc, s34, v0
	v_exp_f32_e32 v27, v26
	v_cvt_i32_f32_e32 v30, v30
	v_cndmask_b32_e32 v9, 0, v9, vcc
	v_cmp_nlt_f32_e32 vcc, s35, v0
	v_cvt_f32_f16_sdwa v31, v10 dst_sel:DWORD dst_unused:UNUSED_PAD src0_sel:WORD_1
	s_nop 0
	v_cndmask_b32_e32 v0, v44, v9, vcc
	v_add_f32_e32 v9, 1.0, v0
	v_rcp_f32_e32 v26, v9
	v_ldexp_f32 v9, v27, v30
	v_cmp_ngt_f32_e32 vcc, s34, v17
	v_cvt_f32_f16_e32 v30, v10
	v_cvt_f32_f16_e32 v0, v1
	v_cndmask_b32_e32 v9, 0, v9, vcc
	v_cmp_nlt_f32_e32 vcc, s35, v17
	v_cvt_f32_f16_sdwa v1, v1 dst_sel:DWORD dst_unused:UNUSED_PAD src0_sel:WORD_1
	v_pk_add_f32 v[4:5], v[4:5], v[30:31]
	v_cndmask_b32_e32 v9, v44, v9, vcc
	v_add_f32_e32 v9, 1.0, v9
	v_rcp_f32_e32 v27, v9
	v_pk_add_f32 v[0:1], v[34:35], v[0:1]
	v_min_f32_e32 v4, 0x40e00000, v4
	v_med3_f32 v1, v1, s36, v45
	v_med3_f32 v0, v0, s36, v45
	v_mul_f32_e32 v9, 0xbfd9db23, v4
	v_pk_mul_f32 v[18:19], v[18:19], v[26:27]
	v_pk_add_f32 v[0:1], v[0:1], 1.0 op_sel_hi:[1,0]
	v_mul_f32_e32 v10, 0x3fb8aa3b, v9
	v_pk_mul_f32 v[0:1], v[0:1], v[18:19]
	v_fma_f32 v17, v9, s33, -v10
	v_rndne_f32_e32 v18, v10
	v_fmac_f32_e32 v17, 0x32a5705f, v9
	v_sub_f32_e32 v10, v10, v18
	v_add_f32_e32 v10, v10, v17
	v_exp_f32_e32 v10, v10
	v_cvt_i32_f32_e32 v17, v18
	v_cvt_f16_f32_e32 v27, v0
	v_cmp_ngt_f32_e32 vcc, s34, v9
	v_min_f32_e32 v5, 0x40e00000, v5
	v_ldexp_f32 v0, v10, v17
	v_cndmask_b32_e32 v0, 0, v0, vcc
	v_cmp_nlt_f32_e32 vcc, s35, v9
	v_cvt_f16_f32_e32 v26, v1
	v_cvt_f32_f16_sdwa v1, v2 dst_sel:DWORD dst_unused:UNUSED_PAD src0_sel:WORD_1
	v_cndmask_b32_e32 v0, v44, v0, vcc
	v_add_f32_e32 v9, 1.0, v0
	v_cvt_f32_f16_e32 v0, v2
	v_mul_f32_e32 v2, 0xbfd9db23, v5
	v_mul_f32_e32 v10, 0x3fb8aa3b, v2
	v_fma_f32 v17, v2, s33, -v10
	v_rndne_f32_e32 v18, v10
	v_fmac_f32_e32 v17, 0x32a5705f, v2
	v_sub_f32_e32 v10, v10, v18
	v_add_f32_e32 v10, v10, v17
	v_exp_f32_e32 v10, v10
	v_cvt_i32_f32_e32 v17, v18
	v_rcp_f32_e32 v18, v9
	v_cmp_ngt_f32_e32 vcc, s34, v2
	s_waitcnt vmcnt(0)
	v_pk_add_f32 v[0:1], v[12:13], v[0:1]
	v_ldexp_f32 v9, v10, v17
	v_cndmask_b32_e32 v9, 0, v9, vcc
	v_cmp_nlt_f32_e32 vcc, s35, v2
	v_cvt_f32_f16_e32 v10, v11
	v_cvt_f32_f16_sdwa v11, v11 dst_sel:DWORD dst_unused:UNUSED_PAD src0_sel:WORD_1
	v_cndmask_b32_e32 v2, v44, v9, vcc
	v_add_f32_e32 v2, 1.0, v2
	v_rcp_f32_e32 v19, v2
	v_med3_f32 v1, v1, s36, v45
	v_med3_f32 v0, v0, s36, v45
	v_pk_add_f32 v[0:1], v[0:1], 1.0 op_sel_hi:[1,0]
	v_pk_mul_f32 v[4:5], v[4:5], v[18:19]
	s_nop 0
	v_pk_mul_f32 v[0:1], v[0:1], v[4:5]
	v_pk_add_f32 v[4:5], v[6:7], v[10:11]
	v_cvt_f16_f32_e32 v10, v0
	v_min_f32_e32 v4, 0x40e00000, v4
	v_mul_f32_e32 v2, 0xbfd9db23, v4
	v_mul_f32_e32 v6, 0x3fb8aa3b, v2
	v_fma_f32 v7, v2, s33, -v6
	v_rndne_f32_e32 v9, v6
	v_fmac_f32_e32 v7, 0x32a5705f, v2
	v_sub_f32_e32 v6, v6, v9
	v_add_f32_e32 v6, v6, v7
	v_exp_f32_e32 v6, v6
	v_cvt_i32_f32_e32 v7, v9
	v_min_f32_e32 v5, 0x40e00000, v5
	v_cvt_f16_f32_e32 v9, v1
	v_cmp_ngt_f32_e32 vcc, s34, v2
	v_ldexp_f32 v0, v6, v7
	v_mul_f32_e32 v1, 0xbfd9db23, v5
	v_cndmask_b32_e32 v0, 0, v0, vcc
	v_cmp_nlt_f32_e32 vcc, s35, v2
	v_mul_f32_e32 v2, 0x3fb8aa3b, v1
	v_fma_f32 v6, v1, s33, -v2
	v_rndne_f32_e32 v7, v2
	v_fmac_f32_e32 v6, 0x32a5705f, v1
	v_sub_f32_e32 v2, v2, v7
	v_add_f32_e32 v2, v2, v6
	v_exp_f32_e32 v6, v2
	v_cvt_i32_f32_e32 v7, v7
	v_cndmask_b32_e32 v0, v44, v0, vcc
	v_cmp_ngt_f32_e32 vcc, s34, v1
	v_cvt_f32_f16_e32 v2, v3
	v_ldexp_f32 v6, v6, v7
	v_cndmask_b32_e32 v6, 0, v6, vcc
	v_cmp_nlt_f32_e32 vcc, s35, v1
	v_cvt_f32_f16_sdwa v3, v3 dst_sel:DWORD dst_unused:UNUSED_PAD src0_sel:WORD_1
	v_add_f32_e32 v0, 1.0, v0
	v_cndmask_b32_e32 v1, v44, v6, vcc
	v_add_f32_e32 v1, 1.0, v1
	v_rcp_f32_e32 v0, v0
	v_rcp_f32_e32 v1, v1
	v_pk_add_f32 v[2:3], v[14:15], v[2:3]
	v_cmp_le_i64_e32 vcc, s[24:25], v[40:41]
	v_med3_f32 v3, v3, s36, v45
	v_med3_f32 v2, v2, s36, v45
	v_pk_mul_f32 v[0:1], v[4:5], v[0:1]
	v_pk_add_f32 v[2:3], v[2:3], 1.0 op_sel_hi:[1,0]
	s_or_b64 s[28:29], vcc, s[28:29]
	v_pk_mul_f32 v[0:1], v[2:3], v[0:1]
	v_pack_b32_f16 v3, v16, v8
	v_cvt_f16_f32_e32 v4, v1
	v_cvt_f16_f32_e32 v5, v0
	v_pack_b32_f16 v1, v29, v28
	v_pack_b32_f16 v2, v24, v22
	;; [unrolled: 1-line block ×3, first 2 shown]
	buffer_store_dwordx4 v[0:3], v43, s[4:7], 0 offen
	s_nop 1
	v_pack_b32_f16 v3, v5, v4
	v_pack_b32_f16 v1, v27, v26
	;; [unrolled: 1-line block ×4, first 2 shown]
	buffer_store_dwordx4 v[0:3], v43, s[4:7], 16 offen
	v_add_u32_e32 v43, s31, v43
	s_andn2_b64 exec, exec, s[28:29]
	s_cbranch_execnz .LBB287_8
.LBB287_9:
	s_endpgm
	.section	.rodata,"a",@progbits
	.p2align	6, 0x0
	.amdhsa_kernel _ZN5aiter30swiglu_act_and_mul_bias_kernelIDF16_DF16_sfLi16EEEvPT0_PKT_PKT1_PKT2_il
		.amdhsa_group_segment_fixed_size 0
		.amdhsa_private_segment_fixed_size 0
		.amdhsa_kernarg_size 304
		.amdhsa_user_sgpr_count 2
		.amdhsa_user_sgpr_dispatch_ptr 0
		.amdhsa_user_sgpr_queue_ptr 0
		.amdhsa_user_sgpr_kernarg_segment_ptr 1
		.amdhsa_user_sgpr_dispatch_id 0
		.amdhsa_user_sgpr_kernarg_preload_length 0
		.amdhsa_user_sgpr_kernarg_preload_offset 0
		.amdhsa_user_sgpr_private_segment_size 0
		.amdhsa_uses_dynamic_stack 0
		.amdhsa_enable_private_segment 0
		.amdhsa_system_sgpr_workgroup_id_x 1
		.amdhsa_system_sgpr_workgroup_id_y 0
		.amdhsa_system_sgpr_workgroup_id_z 0
		.amdhsa_system_sgpr_workgroup_info 0
		.amdhsa_system_vgpr_workitem_id 0
		.amdhsa_next_free_vgpr 56
		.amdhsa_next_free_sgpr 37
		.amdhsa_accum_offset 56
		.amdhsa_reserve_vcc 1
		.amdhsa_float_round_mode_32 0
		.amdhsa_float_round_mode_16_64 0
		.amdhsa_float_denorm_mode_32 3
		.amdhsa_float_denorm_mode_16_64 3
		.amdhsa_dx10_clamp 1
		.amdhsa_ieee_mode 1
		.amdhsa_fp16_overflow 0
		.amdhsa_tg_split 0
		.amdhsa_exception_fp_ieee_invalid_op 0
		.amdhsa_exception_fp_denorm_src 0
		.amdhsa_exception_fp_ieee_div_zero 0
		.amdhsa_exception_fp_ieee_overflow 0
		.amdhsa_exception_fp_ieee_underflow 0
		.amdhsa_exception_fp_ieee_inexact 0
		.amdhsa_exception_int_div_zero 0
	.end_amdhsa_kernel
	.section	.text._ZN5aiter30swiglu_act_and_mul_bias_kernelIDF16_DF16_sfLi16EEEvPT0_PKT_PKT1_PKT2_il,"axG",@progbits,_ZN5aiter30swiglu_act_and_mul_bias_kernelIDF16_DF16_sfLi16EEEvPT0_PKT_PKT1_PKT2_il,comdat
.Lfunc_end287:
	.size	_ZN5aiter30swiglu_act_and_mul_bias_kernelIDF16_DF16_sfLi16EEEvPT0_PKT_PKT1_PKT2_il, .Lfunc_end287-_ZN5aiter30swiglu_act_and_mul_bias_kernelIDF16_DF16_sfLi16EEEvPT0_PKT_PKT1_PKT2_il
                                        ; -- End function
	.section	.AMDGPU.csdata,"",@progbits
; Kernel info:
; codeLenInByte = 3068
; NumSgprs: 43
; NumVgprs: 56
; NumAgprs: 0
; TotalNumVgprs: 56
; ScratchSize: 0
; MemoryBound: 0
; FloatMode: 240
; IeeeMode: 1
; LDSByteSize: 0 bytes/workgroup (compile time only)
; SGPRBlocks: 5
; VGPRBlocks: 6
; NumSGPRsForWavesPerEU: 43
; NumVGPRsForWavesPerEU: 56
; AccumOffset: 56
; Occupancy: 8
; WaveLimiterHint : 0
; COMPUTE_PGM_RSRC2:SCRATCH_EN: 0
; COMPUTE_PGM_RSRC2:USER_SGPR: 2
; COMPUTE_PGM_RSRC2:TRAP_HANDLER: 0
; COMPUTE_PGM_RSRC2:TGID_X_EN: 1
; COMPUTE_PGM_RSRC2:TGID_Y_EN: 0
; COMPUTE_PGM_RSRC2:TGID_Z_EN: 0
; COMPUTE_PGM_RSRC2:TIDIG_COMP_CNT: 0
; COMPUTE_PGM_RSRC3_GFX90A:ACCUM_OFFSET: 13
; COMPUTE_PGM_RSRC3_GFX90A:TG_SPLIT: 0
	.section	.text._ZN5aiter30swiglu_act_and_mul_bias_kernelIDF16_DF16_sfLi8EEEvPT0_PKT_PKT1_PKT2_il,"axG",@progbits,_ZN5aiter30swiglu_act_and_mul_bias_kernelIDF16_DF16_sfLi8EEEvPT0_PKT_PKT1_PKT2_il,comdat
	.protected	_ZN5aiter30swiglu_act_and_mul_bias_kernelIDF16_DF16_sfLi8EEEvPT0_PKT_PKT1_PKT2_il ; -- Begin function _ZN5aiter30swiglu_act_and_mul_bias_kernelIDF16_DF16_sfLi8EEEvPT0_PKT_PKT1_PKT2_il
	.globl	_ZN5aiter30swiglu_act_and_mul_bias_kernelIDF16_DF16_sfLi8EEEvPT0_PKT_PKT1_PKT2_il
	.p2align	8
	.type	_ZN5aiter30swiglu_act_and_mul_bias_kernelIDF16_DF16_sfLi8EEEvPT0_PKT_PKT1_PKT2_il,@function
_ZN5aiter30swiglu_act_and_mul_bias_kernelIDF16_DF16_sfLi8EEEvPT0_PKT_PKT1_PKT2_il: ; @_ZN5aiter30swiglu_act_and_mul_bias_kernelIDF16_DF16_sfLi8EEEvPT0_PKT_PKT1_PKT2_il
; %bb.0:
	s_load_dword s20, s[0:1], 0x20
	s_load_dwordx2 s[4:5], s[0:1], 0x10
	s_load_dwordx2 s[6:7], s[0:1], 0x28
	s_mov_b32 s3, 0
	s_lshl_b64 s[8:9], s[2:3], 1
	s_waitcnt lgkmcnt(0)
	s_ashr_i32 s21, s20, 31
	s_add_u32 s4, s4, s8
	s_addc_u32 s5, s5, s9
	v_mov_b32_e32 v1, 0
	global_load_ushort v1, v1, s[4:5]
	s_mul_hi_u32 s3, s20, s2
	v_mov_b64_e32 v[2:3], s[6:7]
	s_mul_i32 s6, s21, s2
	s_add_i32 s7, s20, 1
	s_add_i32 s9, s3, s6
	s_lshr_b32 s3, s7, 31
	s_load_dwordx2 s[4:5], s[0:1], 0x0
	s_add_i32 s7, s7, s3
	s_lshl_b32 s3, s7, 1
	s_mul_i32 s8, s20, s2
	s_and_b32 s6, s3, -4
	s_lshl_b64 s[12:13], s[8:9], 1
	s_mov_b64 s[10:11], -1
	v_lshlrev_b32_e32 v24, 3, v0
	s_waitcnt vmcnt(0)
	v_readfirstlane_b32 s3, v1
	s_sext_i32_i16 s8, s3
	s_ashr_i32 s9, s8, 31
	s_waitcnt lgkmcnt(0)
	s_add_u32 s4, s4, s12
	s_addc_u32 s3, s5, s13
	s_and_b32 s5, s3, 0xffff
	s_cmp_gt_i32 s8, -1
	v_cmp_lt_i64_e32 vcc, s[8:9], v[2:3]
	s_cselect_b64 s[12:13], -1, 0
	s_and_b64 s[12:13], s[12:13], vcc
	s_and_b64 vcc, exec, s[12:13]
	s_cbranch_vccnz .LBB288_5
; %bb.1:
	v_cmp_gt_i32_e32 vcc, s20, v24
	s_and_saveexec_b64 s[10:11], vcc
	s_cbranch_execz .LBB288_4
; %bb.2:
	s_load_dword s3, s[0:1], 0x3c
	v_mov_b32_e32 v25, 0
	s_mov_b32 s13, 0
	v_lshlrev_b32_e32 v1, 4, v0
	s_mov_b64 s[14:15], 0
	s_waitcnt lgkmcnt(0)
	s_and_b32 s3, s3, 0xffff
	s_lshl_b32 s12, s3, 3
	s_lshl_b32 s3, s3, 4
	s_mov_b32 s7, 0x20000
	v_mov_b32_e32 v2, v25
	v_mov_b32_e32 v3, v25
	;; [unrolled: 1-line block ×4, first 2 shown]
	v_mov_b64_e32 v[6:7], v[24:25]
.LBB288_3:                              ; =>This Inner Loop Header: Depth=1
	v_lshl_add_u64 v[6:7], s[12:13], 0, v[6:7]
	v_cmp_le_i64_e32 vcc, s[20:21], v[6:7]
	buffer_store_dwordx4 v[2:5], v1, s[4:7], 0 offen
	s_or_b64 s[14:15], vcc, s[14:15]
	v_add_u32_e32 v1, s3, v1
	s_andn2_b64 exec, exec, s[14:15]
	s_cbranch_execnz .LBB288_3
.LBB288_4:
	s_or_b64 exec, exec, s[10:11]
	s_mov_b64 s[10:11], 0
.LBB288_5:
	s_andn2_b64 vcc, exec, s[10:11]
	s_cbranch_vccnz .LBB288_9
; %bb.6:
	v_cmp_gt_i32_e32 vcc, s20, v24
	s_and_saveexec_b64 s[10:11], vcc
	s_cbranch_execz .LBB288_9
; %bb.7:
	s_load_dwordx2 s[12:13], s[0:1], 0x8
	s_load_dwordx2 s[10:11], s[0:1], 0x18
	s_mul_hi_i32 s9, s20, s8
	s_mul_i32 s8, s20, s8
	s_lshl_b64 s[8:9], s[8:9], 3
	s_load_dword s14, s[0:1], 0x3c
	s_waitcnt lgkmcnt(0)
	s_add_u32 s8, s10, s8
	s_addc_u32 s3, s11, s9
	s_lshl_b64 s[0:1], s[20:21], 2
	s_add_u32 s0, s8, s0
	s_addc_u32 s1, s3, s1
	s_and_b32 s9, s3, 0xffff
	s_mul_i32 s3, s2, s21
	s_mul_hi_u32 s15, s2, s20
	s_add_i32 s3, s15, s3
	s_mul_i32 s2, s2, s20
	s_lshl_b32 s10, s20, 2
	s_and_b32 s1, s1, 0xffff
	s_lshl_b64 s[2:3], s[2:3], 2
	s_add_u32 s12, s12, s2
	s_addc_u32 s13, s13, s3
	s_lshl_b64 s[2:3], s[20:21], 1
	s_add_u32 s16, s12, s2
	s_addc_u32 s2, s13, s3
	s_mov_b32 s7, 0x20000
	s_and_b32 s17, s2, 0xffff
	s_and_b32 s2, s14, 0xffff
	s_mov_b32 s11, s7
	s_and_b32 s13, s13, 0xffff
	s_mov_b32 s23, 0
	v_mov_b32_e32 v25, 0
	s_lshl_b32 s22, s2, 3
	v_lshlrev_b32_e32 v26, 5, v0
	s_lshl_b32 s26, s2, 5
	v_lshlrev_b32_e32 v27, 4, v0
	s_lshl_b32 s27, s2, 4
	s_mov_b64 s[24:25], 0
	s_mov_b32 s28, 0x3fb8aa3b
	s_mov_b32 s29, 0xc2ce8ed0
	;; [unrolled: 1-line block ×3, first 2 shown]
	v_mov_b32_e32 v28, 0x7f800000
	s_mov_b32 s31, 0xc0e00000
	v_mov_b32_e32 v29, 0x40e00000
	s_mov_b32 s14, s6
	s_mov_b32 s15, s7
	;; [unrolled: 1-line block ×4, first 2 shown]
.LBB288_8:                              ; =>This Inner Loop Header: Depth=1
	buffer_load_dwordx4 v[8:11], v27, s[12:15], 0 offen
	buffer_load_dwordx4 v[0:3], v27, s[16:19], 0 offen
	s_mov_b32 s2, s10
	s_mov_b32 s3, s11
	buffer_load_dwordx4 v[16:19], v26, s[8:11], 0 offen
	buffer_load_dwordx4 v[20:23], v26, s[0:3], 0 offen
	;; [unrolled: 1-line block ×4, first 2 shown]
	v_lshl_add_u64 v[24:25], s[22:23], 0, v[24:25]
	v_add_u32_e32 v26, s26, v26
	s_waitcnt vmcnt(5)
	v_cvt_f32_f16_e32 v30, v8
	v_cvt_f32_f16_sdwa v31, v8 dst_sel:DWORD dst_unused:UNUSED_PAD src0_sel:WORD_1
	s_waitcnt vmcnt(4)
	v_cvt_f32_f16_e32 v32, v0
	v_cvt_f32_f16_sdwa v33, v0 dst_sel:DWORD dst_unused:UNUSED_PAD src0_sel:WORD_1
	v_cvt_f32_f16_e32 v0, v1
	v_cvt_f32_f16_sdwa v1, v1 dst_sel:DWORD dst_unused:UNUSED_PAD src0_sel:WORD_1
	;; [unrolled: 2-line block ×4, first 2 shown]
	s_waitcnt vmcnt(3)
	v_pk_add_f32 v[16:17], v[16:17], v[30:31]
	s_waitcnt vmcnt(2)
	v_pk_add_f32 v[20:21], v[20:21], v[32:33]
	v_pk_add_f32 v[0:1], v[22:23], v[0:1]
	v_min_f32_e32 v16, 0x40e00000, v16
	v_pk_add_f32 v[8:9], v[18:19], v[8:9]
	v_min_f32_e32 v17, 0x40e00000, v17
	v_med3_f32 v19, v21, s31, v29
	v_med3_f32 v21, v1, s31, v29
	v_mul_f32_e32 v1, 0xbfd9db23, v16
	s_waitcnt vmcnt(1)
	v_pk_add_f32 v[12:13], v[12:13], v[34:35]
	v_min_f32_e32 v8, 0x40e00000, v8
	v_mul_f32_e32 v10, 0xbfd9db23, v17
	v_mul_f32_e32 v23, 0x3fb8aa3b, v1
	v_med3_f32 v18, v20, s31, v29
	v_min_f32_e32 v9, 0x40e00000, v9
	v_med3_f32 v20, v0, s31, v29
	v_min_f32_e32 v0, 0x40e00000, v12
	v_mul_f32_e32 v12, 0xbfd9db23, v8
	v_mul_f32_e32 v30, 0x3fb8aa3b, v10
	v_fma_f32 v34, v1, s28, -v23
	v_rndne_f32_e32 v35, v23
	v_mul_f32_e32 v22, 0xbfd9db23, v9
	v_mul_f32_e32 v31, 0x3fb8aa3b, v12
	v_fma_f32 v36, v10, s28, -v30
	v_rndne_f32_e32 v37, v30
	v_fmac_f32_e32 v34, 0x32a5705f, v1
	v_sub_f32_e32 v23, v23, v35
	v_mul_f32_e32 v33, 0x3fb8aa3b, v22
	v_fma_f32 v38, v12, s28, -v31
	v_rndne_f32_e32 v39, v31
	v_fmac_f32_e32 v36, 0x32a5705f, v10
	v_sub_f32_e32 v30, v30, v37
	v_add_f32_e32 v23, v23, v34
	v_fma_f32 v40, v22, s28, -v33
	v_rndne_f32_e32 v41, v33
	v_cvt_i32_f32_e32 v35, v35
	v_fmac_f32_e32 v38, 0x32a5705f, v12
	v_sub_f32_e32 v31, v31, v39
	v_add_f32_e32 v30, v30, v36
	v_exp_f32_e32 v23, v23
	v_cvt_i32_f32_e32 v37, v37
	v_fmac_f32_e32 v40, 0x32a5705f, v22
	v_sub_f32_e32 v33, v33, v41
	v_add_f32_e32 v31, v31, v38
	v_exp_f32_e32 v30, v30
	v_cvt_i32_f32_e32 v39, v39
	v_add_f32_e32 v33, v33, v40
	v_exp_f32_e32 v31, v31
	v_cvt_i32_f32_e32 v41, v41
	v_exp_f32_e32 v33, v33
	v_ldexp_f32 v23, v23, v35
	v_cmp_ngt_f32_e32 vcc, s29, v1
	v_ldexp_f32 v30, v30, v37
	v_ldexp_f32 v31, v31, v39
	v_cndmask_b32_e32 v23, 0, v23, vcc
	v_cmp_ngt_f32_e32 vcc, s29, v10
	v_ldexp_f32 v33, v33, v41
	v_mul_f32_e32 v32, 0xbfd9db23, v0
	v_cndmask_b32_e32 v30, 0, v30, vcc
	v_cmp_ngt_f32_e32 vcc, s29, v12
	v_pk_add_f32 v[18:19], v[18:19], 1.0 op_sel_hi:[1,0]
	v_pk_add_f32 v[20:21], v[20:21], 1.0 op_sel_hi:[1,0]
	v_cndmask_b32_e32 v31, 0, v31, vcc
	v_cmp_ngt_f32_e32 vcc, s29, v22
	s_nop 1
	v_cndmask_b32_e32 v33, 0, v33, vcc
	v_cmp_nlt_f32_e32 vcc, s30, v1
	s_nop 1
	v_cndmask_b32_e32 v1, v28, v23, vcc
	v_cmp_nlt_f32_e32 vcc, s30, v10
	v_add_f32_e32 v1, 1.0, v1
	s_nop 0
	v_cndmask_b32_e32 v10, v28, v30, vcc
	v_cmp_nlt_f32_e32 vcc, s30, v12
	v_add_f32_e32 v10, 1.0, v10
	v_rcp_f32_e32 v23, v10
	v_cndmask_b32_e32 v12, v28, v31, vcc
	v_cmp_nlt_f32_e32 vcc, s30, v22
	v_add_f32_e32 v12, 1.0, v12
	v_rcp_f32_e32 v30, v12
	v_cndmask_b32_e32 v22, v28, v33, vcc
	v_add_f32_e32 v31, 1.0, v22
	v_rcp_f32_e32 v22, v1
	v_mul_f32_e32 v1, 0x3fb8aa3b, v32
	v_fma_f32 v10, v32, s28, -v1
	v_rndne_f32_e32 v12, v1
	v_fmac_f32_e32 v10, 0x32a5705f, v32
	v_sub_f32_e32 v1, v1, v12
	v_rcp_f32_e32 v31, v31
	v_add_f32_e32 v1, v1, v10
	v_exp_f32_e32 v10, v1
	v_cvt_i32_f32_e32 v12, v12
	v_pk_mul_f32 v[16:17], v[16:17], v[22:23]
	v_pk_mul_f32 v[22:23], v[8:9], v[30:31]
	v_min_f32_e32 v1, 0x40e00000, v13
	v_pk_mul_f32 v[8:9], v[18:19], v[16:17]
	v_pk_mul_f32 v[16:17], v[20:21], v[22:23]
	v_ldexp_f32 v10, v10, v12
	v_cvt_f32_f16_e32 v12, v2
	v_cvt_f32_f16_sdwa v13, v2 dst_sel:DWORD dst_unused:UNUSED_PAD src0_sel:WORD_1
	v_mul_f32_e32 v2, 0xbfd9db23, v1
	v_cvt_f16_f32_e32 v19, v16
	v_mul_f32_e32 v16, 0x3fb8aa3b, v2
	v_cvt_f16_f32_e32 v18, v17
	v_fma_f32 v17, v2, s28, -v16
	v_rndne_f32_e32 v20, v16
	v_fmac_f32_e32 v17, 0x32a5705f, v2
	v_sub_f32_e32 v16, v16, v20
	v_add_f32_e32 v16, v16, v17
	v_cmp_ngt_f32_e32 vcc, s29, v32
	v_exp_f32_e32 v17, v16
	v_cvt_i32_f32_e32 v20, v20
	v_cndmask_b32_e32 v10, 0, v10, vcc
	v_cmp_nlt_f32_e32 vcc, s30, v32
	s_waitcnt vmcnt(0)
	v_pk_add_f32 v[4:5], v[4:5], v[12:13]
	v_cvt_f16_f32_e32 v9, v9
	v_cndmask_b32_e32 v10, v28, v10, vcc
	v_add_f32_e32 v10, 1.0, v10
	v_rcp_f32_e32 v16, v10
	v_ldexp_f32 v10, v17, v20
	v_cmp_ngt_f32_e32 vcc, s29, v2
	v_med3_f32 v5, v5, s31, v29
	v_med3_f32 v4, v4, s31, v29
	v_cndmask_b32_e32 v10, 0, v10, vcc
	v_cmp_nlt_f32_e32 vcc, s30, v2
	v_pk_add_f32 v[4:5], v[4:5], 1.0 op_sel_hi:[1,0]
	s_nop 0
	v_cndmask_b32_e32 v2, v28, v10, vcc
	v_cvt_f32_f16_e32 v10, v11
	v_cvt_f32_f16_sdwa v11, v11 dst_sel:DWORD dst_unused:UNUSED_PAD src0_sel:WORD_1
	v_add_f32_e32 v2, 1.0, v2
	v_rcp_f32_e32 v17, v2
	v_pk_add_f32 v[10:11], v[14:15], v[10:11]
	s_nop 0
	v_min_f32_e32 v10, 0x40e00000, v10
	v_mul_f32_e32 v2, 0xbfd9db23, v10
	v_mul_f32_e32 v12, 0x3fb8aa3b, v2
	v_fma_f32 v13, v2, s28, -v12
	v_rndne_f32_e32 v14, v12
	v_fmac_f32_e32 v13, 0x32a5705f, v2
	v_sub_f32_e32 v12, v12, v14
	v_add_f32_e32 v12, v12, v13
	v_exp_f32_e32 v12, v12
	v_cvt_i32_f32_e32 v13, v14
	v_pk_mul_f32 v[0:1], v[0:1], v[16:17]
	v_min_f32_e32 v11, 0x40e00000, v11
	v_pk_mul_f32 v[0:1], v[4:5], v[0:1]
	v_ldexp_f32 v4, v12, v13
	v_cmp_ngt_f32_e32 vcc, s29, v2
	v_mul_f32_e32 v12, 0xbfd9db23, v11
	v_cvt_f16_f32_e32 v0, v0
	v_cndmask_b32_e32 v4, 0, v4, vcc
	v_cmp_nlt_f32_e32 vcc, s30, v2
	s_nop 1
	v_cndmask_b32_e32 v2, v28, v4, vcc
	v_mul_f32_e32 v4, 0x3fb8aa3b, v12
	v_fma_f32 v5, v12, s28, -v4
	v_rndne_f32_e32 v13, v4
	v_fmac_f32_e32 v5, 0x32a5705f, v12
	v_sub_f32_e32 v4, v4, v13
	v_add_f32_e32 v4, v4, v5
	v_exp_f32_e32 v14, v4
	v_cvt_i32_f32_e32 v13, v13
	v_cvt_f32_f16_e32 v4, v3
	v_cvt_f32_f16_sdwa v5, v3 dst_sel:DWORD dst_unused:UNUSED_PAD src0_sel:WORD_1
	v_cmp_ngt_f32_e32 vcc, s29, v12
	v_ldexp_f32 v3, v14, v13
	v_add_f32_e32 v2, 1.0, v2
	v_cndmask_b32_e32 v3, 0, v3, vcc
	v_cmp_nlt_f32_e32 vcc, s30, v12
	v_rcp_f32_e32 v2, v2
	v_pk_add_f32 v[4:5], v[6:7], v[4:5]
	v_cndmask_b32_e32 v3, v28, v3, vcc
	v_add_f32_e32 v3, 1.0, v3
	v_rcp_f32_e32 v3, v3
	v_med3_f32 v5, v5, s31, v29
	v_med3_f32 v4, v4, s31, v29
	v_pk_add_f32 v[4:5], v[4:5], 1.0 op_sel_hi:[1,0]
	v_pk_mul_f32 v[2:3], v[10:11], v[2:3]
	v_cmp_le_i64_e32 vcc, s[20:21], v[24:25]
	v_pk_mul_f32 v[2:3], v[4:5], v[2:3]
	v_cvt_f16_f32_e32 v4, v1
	v_cvt_f16_f32_e32 v3, v3
	;; [unrolled: 1-line block ×4, first 2 shown]
	v_pack_b32_f16 v1, v19, v18
	s_or_b64 s[24:25], vcc, s[24:25]
	v_pack_b32_f16 v3, v2, v3
	v_pack_b32_f16 v2, v0, v4
	;; [unrolled: 1-line block ×3, first 2 shown]
	buffer_store_dwordx4 v[0:3], v27, s[4:7], 0 offen
	v_add_u32_e32 v27, s27, v27
	s_andn2_b64 exec, exec, s[24:25]
	s_cbranch_execnz .LBB288_8
.LBB288_9:
	s_endpgm
	.section	.rodata,"a",@progbits
	.p2align	6, 0x0
	.amdhsa_kernel _ZN5aiter30swiglu_act_and_mul_bias_kernelIDF16_DF16_sfLi8EEEvPT0_PKT_PKT1_PKT2_il
		.amdhsa_group_segment_fixed_size 0
		.amdhsa_private_segment_fixed_size 0
		.amdhsa_kernarg_size 304
		.amdhsa_user_sgpr_count 2
		.amdhsa_user_sgpr_dispatch_ptr 0
		.amdhsa_user_sgpr_queue_ptr 0
		.amdhsa_user_sgpr_kernarg_segment_ptr 1
		.amdhsa_user_sgpr_dispatch_id 0
		.amdhsa_user_sgpr_kernarg_preload_length 0
		.amdhsa_user_sgpr_kernarg_preload_offset 0
		.amdhsa_user_sgpr_private_segment_size 0
		.amdhsa_uses_dynamic_stack 0
		.amdhsa_enable_private_segment 0
		.amdhsa_system_sgpr_workgroup_id_x 1
		.amdhsa_system_sgpr_workgroup_id_y 0
		.amdhsa_system_sgpr_workgroup_id_z 0
		.amdhsa_system_sgpr_workgroup_info 0
		.amdhsa_system_vgpr_workitem_id 0
		.amdhsa_next_free_vgpr 42
		.amdhsa_next_free_sgpr 32
		.amdhsa_accum_offset 44
		.amdhsa_reserve_vcc 1
		.amdhsa_float_round_mode_32 0
		.amdhsa_float_round_mode_16_64 0
		.amdhsa_float_denorm_mode_32 3
		.amdhsa_float_denorm_mode_16_64 3
		.amdhsa_dx10_clamp 1
		.amdhsa_ieee_mode 1
		.amdhsa_fp16_overflow 0
		.amdhsa_tg_split 0
		.amdhsa_exception_fp_ieee_invalid_op 0
		.amdhsa_exception_fp_denorm_src 0
		.amdhsa_exception_fp_ieee_div_zero 0
		.amdhsa_exception_fp_ieee_overflow 0
		.amdhsa_exception_fp_ieee_underflow 0
		.amdhsa_exception_fp_ieee_inexact 0
		.amdhsa_exception_int_div_zero 0
	.end_amdhsa_kernel
	.section	.text._ZN5aiter30swiglu_act_and_mul_bias_kernelIDF16_DF16_sfLi8EEEvPT0_PKT_PKT1_PKT2_il,"axG",@progbits,_ZN5aiter30swiglu_act_and_mul_bias_kernelIDF16_DF16_sfLi8EEEvPT0_PKT_PKT1_PKT2_il,comdat
.Lfunc_end288:
	.size	_ZN5aiter30swiglu_act_and_mul_bias_kernelIDF16_DF16_sfLi8EEEvPT0_PKT_PKT1_PKT2_il, .Lfunc_end288-_ZN5aiter30swiglu_act_and_mul_bias_kernelIDF16_DF16_sfLi8EEEvPT0_PKT_PKT1_PKT2_il
                                        ; -- End function
	.section	.AMDGPU.csdata,"",@progbits
; Kernel info:
; codeLenInByte = 1848
; NumSgprs: 38
; NumVgprs: 42
; NumAgprs: 0
; TotalNumVgprs: 42
; ScratchSize: 0
; MemoryBound: 0
; FloatMode: 240
; IeeeMode: 1
; LDSByteSize: 0 bytes/workgroup (compile time only)
; SGPRBlocks: 4
; VGPRBlocks: 5
; NumSGPRsForWavesPerEU: 38
; NumVGPRsForWavesPerEU: 42
; AccumOffset: 44
; Occupancy: 8
; WaveLimiterHint : 0
; COMPUTE_PGM_RSRC2:SCRATCH_EN: 0
; COMPUTE_PGM_RSRC2:USER_SGPR: 2
; COMPUTE_PGM_RSRC2:TRAP_HANDLER: 0
; COMPUTE_PGM_RSRC2:TGID_X_EN: 1
; COMPUTE_PGM_RSRC2:TGID_Y_EN: 0
; COMPUTE_PGM_RSRC2:TGID_Z_EN: 0
; COMPUTE_PGM_RSRC2:TIDIG_COMP_CNT: 0
; COMPUTE_PGM_RSRC3_GFX90A:ACCUM_OFFSET: 10
; COMPUTE_PGM_RSRC3_GFX90A:TG_SPLIT: 0
	.section	.text._ZN5aiter30swiglu_act_and_mul_bias_kernelIDF16_DF16_sfLi4EEEvPT0_PKT_PKT1_PKT2_il,"axG",@progbits,_ZN5aiter30swiglu_act_and_mul_bias_kernelIDF16_DF16_sfLi4EEEvPT0_PKT_PKT1_PKT2_il,comdat
	.protected	_ZN5aiter30swiglu_act_and_mul_bias_kernelIDF16_DF16_sfLi4EEEvPT0_PKT_PKT1_PKT2_il ; -- Begin function _ZN5aiter30swiglu_act_and_mul_bias_kernelIDF16_DF16_sfLi4EEEvPT0_PKT_PKT1_PKT2_il
	.globl	_ZN5aiter30swiglu_act_and_mul_bias_kernelIDF16_DF16_sfLi4EEEvPT0_PKT_PKT1_PKT2_il
	.p2align	8
	.type	_ZN5aiter30swiglu_act_and_mul_bias_kernelIDF16_DF16_sfLi4EEEvPT0_PKT_PKT1_PKT2_il,@function
_ZN5aiter30swiglu_act_and_mul_bias_kernelIDF16_DF16_sfLi4EEEvPT0_PKT_PKT1_PKT2_il: ; @_ZN5aiter30swiglu_act_and_mul_bias_kernelIDF16_DF16_sfLi4EEEvPT0_PKT_PKT1_PKT2_il
; %bb.0:
	s_load_dword s20, s[0:1], 0x20
	s_load_dwordx2 s[4:5], s[0:1], 0x10
	s_load_dwordx2 s[6:7], s[0:1], 0x28
	s_mov_b32 s3, 0
	s_lshl_b64 s[8:9], s[2:3], 1
	s_waitcnt lgkmcnt(0)
	s_ashr_i32 s21, s20, 31
	s_add_u32 s4, s4, s8
	s_addc_u32 s5, s5, s9
	v_mov_b32_e32 v1, 0
	global_load_ushort v1, v1, s[4:5]
	s_mul_hi_u32 s3, s20, s2
	v_mov_b64_e32 v[2:3], s[6:7]
	s_mul_i32 s6, s21, s2
	s_add_i32 s7, s20, 1
	s_add_i32 s9, s3, s6
	s_lshr_b32 s3, s7, 31
	s_load_dwordx2 s[4:5], s[0:1], 0x0
	s_add_i32 s7, s7, s3
	s_lshl_b32 s3, s7, 1
	s_mul_i32 s8, s20, s2
	s_and_b32 s6, s3, -4
	s_lshl_b64 s[12:13], s[8:9], 1
	s_mov_b64 s[10:11], -1
	v_lshlrev_b32_e32 v8, 2, v0
	s_waitcnt vmcnt(0)
	v_readfirstlane_b32 s3, v1
	s_sext_i32_i16 s8, s3
	s_ashr_i32 s9, s8, 31
	s_waitcnt lgkmcnt(0)
	s_add_u32 s4, s4, s12
	s_addc_u32 s3, s5, s13
	s_and_b32 s5, s3, 0xffff
	s_cmp_gt_i32 s8, -1
	v_cmp_lt_i64_e32 vcc, s[8:9], v[2:3]
	s_cselect_b64 s[12:13], -1, 0
	s_and_b64 s[12:13], s[12:13], vcc
	s_and_b64 vcc, exec, s[12:13]
	s_cbranch_vccnz .LBB289_5
; %bb.1:
	v_cmp_gt_i32_e32 vcc, s20, v8
	s_and_saveexec_b64 s[10:11], vcc
	s_cbranch_execz .LBB289_4
; %bb.2:
	s_load_dword s3, s[0:1], 0x3c
	v_mov_b32_e32 v9, 0
	s_mov_b32 s13, 0
	v_lshlrev_b32_e32 v1, 3, v0
	s_mov_b64 s[14:15], 0
	s_waitcnt lgkmcnt(0)
	s_and_b32 s3, s3, 0xffff
	s_lshl_b32 s12, s3, 2
	s_lshl_b32 s3, s3, 3
	s_mov_b32 s7, 0x20000
	v_mov_b32_e32 v2, v9
	v_mov_b32_e32 v3, v9
	v_mov_b64_e32 v[4:5], v[8:9]
.LBB289_3:                              ; =>This Inner Loop Header: Depth=1
	v_lshl_add_u64 v[4:5], s[12:13], 0, v[4:5]
	v_cmp_le_i64_e32 vcc, s[20:21], v[4:5]
	buffer_store_dwordx2 v[2:3], v1, s[4:7], 0 offen
	s_or_b64 s[14:15], vcc, s[14:15]
	v_add_u32_e32 v1, s3, v1
	s_andn2_b64 exec, exec, s[14:15]
	s_cbranch_execnz .LBB289_3
.LBB289_4:
	s_or_b64 exec, exec, s[10:11]
	s_mov_b64 s[10:11], 0
.LBB289_5:
	s_andn2_b64 vcc, exec, s[10:11]
	s_cbranch_vccnz .LBB289_9
; %bb.6:
	v_cmp_gt_i32_e32 vcc, s20, v8
	s_and_saveexec_b64 s[10:11], vcc
	s_cbranch_execz .LBB289_9
; %bb.7:
	s_load_dwordx2 s[12:13], s[0:1], 0x8
	s_load_dwordx2 s[10:11], s[0:1], 0x18
	s_mul_hi_i32 s9, s20, s8
	s_mul_i32 s8, s20, s8
	s_lshl_b64 s[8:9], s[8:9], 3
	s_load_dword s14, s[0:1], 0x3c
	s_waitcnt lgkmcnt(0)
	s_add_u32 s8, s10, s8
	s_addc_u32 s3, s11, s9
	s_lshl_b64 s[0:1], s[20:21], 2
	s_add_u32 s0, s8, s0
	s_addc_u32 s1, s3, s1
	s_and_b32 s9, s3, 0xffff
	s_mul_i32 s3, s2, s21
	s_mul_hi_u32 s15, s2, s20
	s_add_i32 s3, s15, s3
	s_mul_i32 s2, s2, s20
	s_lshl_b32 s10, s20, 2
	s_and_b32 s1, s1, 0xffff
	s_lshl_b64 s[2:3], s[2:3], 2
	s_add_u32 s12, s12, s2
	s_addc_u32 s13, s13, s3
	s_lshl_b64 s[2:3], s[20:21], 1
	s_add_u32 s16, s12, s2
	s_addc_u32 s2, s13, s3
	s_mov_b32 s7, 0x20000
	s_and_b32 s17, s2, 0xffff
	s_and_b32 s2, s14, 0xffff
	s_mov_b32 s11, s7
	s_and_b32 s13, s13, 0xffff
	s_mov_b32 s23, 0
	v_mov_b32_e32 v9, 0
	s_lshl_b32 s22, s2, 2
	v_lshlrev_b32_e32 v14, 4, v0
	s_lshl_b32 s26, s2, 4
	v_lshlrev_b32_e32 v15, 3, v0
	s_lshl_b32 s27, s2, 3
	s_mov_b64 s[24:25], 0
	s_mov_b32 s28, 0x3fb8aa3b
	s_mov_b32 s29, 0xc2ce8ed0
	;; [unrolled: 1-line block ×3, first 2 shown]
	v_mov_b32_e32 v16, 0x7f800000
	s_mov_b32 s31, 0xc0e00000
	v_mov_b32_e32 v17, 0x40e00000
	s_mov_b32 s14, s6
	s_mov_b32 s15, s7
	;; [unrolled: 1-line block ×4, first 2 shown]
.LBB289_8:                              ; =>This Inner Loop Header: Depth=1
	buffer_load_dwordx2 v[12:13], v15, s[12:15], 0 offen
	buffer_load_dwordx2 v[10:11], v15, s[16:19], 0 offen
	s_mov_b32 s2, s10
	s_mov_b32 s3, s11
	buffer_load_dwordx4 v[0:3], v14, s[8:11], 0 offen
	buffer_load_dwordx4 v[4:7], v14, s[0:3], 0 offen
	v_lshl_add_u64 v[8:9], s[22:23], 0, v[8:9]
	v_add_u32_e32 v14, s26, v14
	s_waitcnt vmcnt(3)
	v_cvt_f32_f16_e32 v18, v12
	v_cvt_f32_f16_sdwa v19, v12 dst_sel:DWORD dst_unused:UNUSED_PAD src0_sel:WORD_1
	s_waitcnt vmcnt(2)
	v_cvt_f32_f16_e32 v20, v10
	v_cvt_f32_f16_sdwa v21, v10 dst_sel:DWORD dst_unused:UNUSED_PAD src0_sel:WORD_1
	v_cvt_f32_f16_e32 v12, v13
	v_cvt_f32_f16_sdwa v13, v13 dst_sel:DWORD dst_unused:UNUSED_PAD src0_sel:WORD_1
	v_cvt_f32_f16_e32 v10, v11
	v_cvt_f32_f16_sdwa v11, v11 dst_sel:DWORD dst_unused:UNUSED_PAD src0_sel:WORD_1
	s_waitcnt vmcnt(1)
	v_pk_add_f32 v[0:1], v[0:1], v[18:19]
	v_pk_add_f32 v[2:3], v[2:3], v[12:13]
	v_min_f32_e32 v0, 0x40e00000, v0
	s_waitcnt vmcnt(0)
	v_pk_add_f32 v[6:7], v[6:7], v[10:11]
	v_min_f32_e32 v1, 0x40e00000, v1
	v_mul_f32_e32 v10, 0xbfd9db23, v0
	v_min_f32_e32 v2, 0x40e00000, v2
	v_mul_f32_e32 v11, 0xbfd9db23, v1
	v_mul_f32_e32 v18, 0x3fb8aa3b, v10
	v_min_f32_e32 v3, 0x40e00000, v3
	v_mul_f32_e32 v12, 0xbfd9db23, v2
	v_mul_f32_e32 v19, 0x3fb8aa3b, v11
	v_fma_f32 v22, v10, s28, -v18
	v_rndne_f32_e32 v23, v18
	v_pk_add_f32 v[4:5], v[4:5], v[20:21]
	v_mul_f32_e32 v13, 0xbfd9db23, v3
	v_mul_f32_e32 v20, 0x3fb8aa3b, v12
	v_fma_f32 v24, v11, s28, -v19
	v_rndne_f32_e32 v25, v19
	v_fmac_f32_e32 v22, 0x32a5705f, v10
	v_sub_f32_e32 v18, v18, v23
	v_mul_f32_e32 v21, 0x3fb8aa3b, v13
	v_fma_f32 v26, v12, s28, -v20
	v_rndne_f32_e32 v27, v20
	v_fmac_f32_e32 v24, 0x32a5705f, v11
	v_sub_f32_e32 v19, v19, v25
	v_add_f32_e32 v18, v18, v22
	v_fma_f32 v28, v13, s28, -v21
	v_rndne_f32_e32 v29, v21
	v_cvt_i32_f32_e32 v23, v23
	v_fmac_f32_e32 v26, 0x32a5705f, v12
	v_sub_f32_e32 v20, v20, v27
	v_add_f32_e32 v19, v19, v24
	v_exp_f32_e32 v18, v18
	v_cvt_i32_f32_e32 v25, v25
	v_fmac_f32_e32 v28, 0x32a5705f, v13
	v_sub_f32_e32 v21, v21, v29
	v_add_f32_e32 v20, v20, v26
	v_exp_f32_e32 v19, v19
	v_cvt_i32_f32_e32 v27, v27
	v_add_f32_e32 v21, v21, v28
	v_exp_f32_e32 v20, v20
	v_cvt_i32_f32_e32 v29, v29
	v_exp_f32_e32 v21, v21
	v_ldexp_f32 v18, v18, v23
	v_cmp_ngt_f32_e32 vcc, s29, v10
	v_ldexp_f32 v19, v19, v25
	v_ldexp_f32 v20, v20, v27
	v_cndmask_b32_e32 v18, 0, v18, vcc
	v_cmp_ngt_f32_e32 vcc, s29, v11
	v_ldexp_f32 v21, v21, v29
	v_med3_f32 v5, v5, s31, v17
	v_cndmask_b32_e32 v19, 0, v19, vcc
	v_cmp_ngt_f32_e32 vcc, s29, v12
	v_med3_f32 v4, v4, s31, v17
	v_med3_f32 v7, v7, s31, v17
	v_cndmask_b32_e32 v20, 0, v20, vcc
	v_cmp_ngt_f32_e32 vcc, s29, v13
	v_med3_f32 v6, v6, s31, v17
	v_pk_add_f32 v[4:5], v[4:5], 1.0 op_sel_hi:[1,0]
	v_cndmask_b32_e32 v21, 0, v21, vcc
	v_cmp_nlt_f32_e32 vcc, s30, v10
	v_pk_add_f32 v[6:7], v[6:7], 1.0 op_sel_hi:[1,0]
	s_nop 0
	v_cndmask_b32_e32 v10, v16, v18, vcc
	v_cmp_nlt_f32_e32 vcc, s30, v11
	v_add_f32_e32 v10, 1.0, v10
	v_rcp_f32_e32 v10, v10
	v_cndmask_b32_e32 v11, v16, v19, vcc
	v_cmp_nlt_f32_e32 vcc, s30, v12
	v_add_f32_e32 v11, 1.0, v11
	v_rcp_f32_e32 v11, v11
	;; [unrolled: 4-line block ×3, first 2 shown]
	v_cndmask_b32_e32 v13, v16, v21, vcc
	v_add_f32_e32 v13, 1.0, v13
	v_rcp_f32_e32 v13, v13
	v_pk_mul_f32 v[0:1], v[0:1], v[10:11]
	v_cmp_le_i64_e32 vcc, s[20:21], v[8:9]
	v_pk_mul_f32 v[0:1], v[4:5], v[0:1]
	v_pk_mul_f32 v[2:3], v[2:3], v[12:13]
	v_cvt_f16_f32_e32 v4, v1
	v_pk_mul_f32 v[2:3], v[6:7], v[2:3]
	v_cvt_f16_f32_e32 v0, v0
	v_cvt_f16_f32_e32 v1, v3
	;; [unrolled: 1-line block ×3, first 2 shown]
	s_or_b64 s[24:25], vcc, s[24:25]
	v_pack_b32_f16 v0, v0, v4
	v_pack_b32_f16 v1, v2, v1
	buffer_store_dwordx2 v[0:1], v15, s[4:7], 0 offen
	v_add_u32_e32 v15, s27, v15
	s_andn2_b64 exec, exec, s[24:25]
	s_cbranch_execnz .LBB289_8
.LBB289_9:
	s_endpgm
	.section	.rodata,"a",@progbits
	.p2align	6, 0x0
	.amdhsa_kernel _ZN5aiter30swiglu_act_and_mul_bias_kernelIDF16_DF16_sfLi4EEEvPT0_PKT_PKT1_PKT2_il
		.amdhsa_group_segment_fixed_size 0
		.amdhsa_private_segment_fixed_size 0
		.amdhsa_kernarg_size 304
		.amdhsa_user_sgpr_count 2
		.amdhsa_user_sgpr_dispatch_ptr 0
		.amdhsa_user_sgpr_queue_ptr 0
		.amdhsa_user_sgpr_kernarg_segment_ptr 1
		.amdhsa_user_sgpr_dispatch_id 0
		.amdhsa_user_sgpr_kernarg_preload_length 0
		.amdhsa_user_sgpr_kernarg_preload_offset 0
		.amdhsa_user_sgpr_private_segment_size 0
		.amdhsa_uses_dynamic_stack 0
		.amdhsa_enable_private_segment 0
		.amdhsa_system_sgpr_workgroup_id_x 1
		.amdhsa_system_sgpr_workgroup_id_y 0
		.amdhsa_system_sgpr_workgroup_id_z 0
		.amdhsa_system_sgpr_workgroup_info 0
		.amdhsa_system_vgpr_workitem_id 0
		.amdhsa_next_free_vgpr 30
		.amdhsa_next_free_sgpr 32
		.amdhsa_accum_offset 32
		.amdhsa_reserve_vcc 1
		.amdhsa_float_round_mode_32 0
		.amdhsa_float_round_mode_16_64 0
		.amdhsa_float_denorm_mode_32 3
		.amdhsa_float_denorm_mode_16_64 3
		.amdhsa_dx10_clamp 1
		.amdhsa_ieee_mode 1
		.amdhsa_fp16_overflow 0
		.amdhsa_tg_split 0
		.amdhsa_exception_fp_ieee_invalid_op 0
		.amdhsa_exception_fp_denorm_src 0
		.amdhsa_exception_fp_ieee_div_zero 0
		.amdhsa_exception_fp_ieee_overflow 0
		.amdhsa_exception_fp_ieee_underflow 0
		.amdhsa_exception_fp_ieee_inexact 0
		.amdhsa_exception_int_div_zero 0
	.end_amdhsa_kernel
	.section	.text._ZN5aiter30swiglu_act_and_mul_bias_kernelIDF16_DF16_sfLi4EEEvPT0_PKT_PKT1_PKT2_il,"axG",@progbits,_ZN5aiter30swiglu_act_and_mul_bias_kernelIDF16_DF16_sfLi4EEEvPT0_PKT_PKT1_PKT2_il,comdat
.Lfunc_end289:
	.size	_ZN5aiter30swiglu_act_and_mul_bias_kernelIDF16_DF16_sfLi4EEEvPT0_PKT_PKT1_PKT2_il, .Lfunc_end289-_ZN5aiter30swiglu_act_and_mul_bias_kernelIDF16_DF16_sfLi4EEEvPT0_PKT_PKT1_PKT2_il
                                        ; -- End function
	.section	.AMDGPU.csdata,"",@progbits
; Kernel info:
; codeLenInByte = 1236
; NumSgprs: 38
; NumVgprs: 30
; NumAgprs: 0
; TotalNumVgprs: 30
; ScratchSize: 0
; MemoryBound: 0
; FloatMode: 240
; IeeeMode: 1
; LDSByteSize: 0 bytes/workgroup (compile time only)
; SGPRBlocks: 4
; VGPRBlocks: 3
; NumSGPRsForWavesPerEU: 38
; NumVGPRsForWavesPerEU: 30
; AccumOffset: 32
; Occupancy: 8
; WaveLimiterHint : 0
; COMPUTE_PGM_RSRC2:SCRATCH_EN: 0
; COMPUTE_PGM_RSRC2:USER_SGPR: 2
; COMPUTE_PGM_RSRC2:TRAP_HANDLER: 0
; COMPUTE_PGM_RSRC2:TGID_X_EN: 1
; COMPUTE_PGM_RSRC2:TGID_Y_EN: 0
; COMPUTE_PGM_RSRC2:TGID_Z_EN: 0
; COMPUTE_PGM_RSRC2:TIDIG_COMP_CNT: 0
; COMPUTE_PGM_RSRC3_GFX90A:ACCUM_OFFSET: 7
; COMPUTE_PGM_RSRC3_GFX90A:TG_SPLIT: 0
	.section	.text._ZN5aiter30swiglu_act_and_mul_bias_kernelIDF16_DF16_sfLi2EEEvPT0_PKT_PKT1_PKT2_il,"axG",@progbits,_ZN5aiter30swiglu_act_and_mul_bias_kernelIDF16_DF16_sfLi2EEEvPT0_PKT_PKT1_PKT2_il,comdat
	.protected	_ZN5aiter30swiglu_act_and_mul_bias_kernelIDF16_DF16_sfLi2EEEvPT0_PKT_PKT1_PKT2_il ; -- Begin function _ZN5aiter30swiglu_act_and_mul_bias_kernelIDF16_DF16_sfLi2EEEvPT0_PKT_PKT1_PKT2_il
	.globl	_ZN5aiter30swiglu_act_and_mul_bias_kernelIDF16_DF16_sfLi2EEEvPT0_PKT_PKT1_PKT2_il
	.p2align	8
	.type	_ZN5aiter30swiglu_act_and_mul_bias_kernelIDF16_DF16_sfLi2EEEvPT0_PKT_PKT1_PKT2_il,@function
_ZN5aiter30swiglu_act_and_mul_bias_kernelIDF16_DF16_sfLi2EEEvPT0_PKT_PKT1_PKT2_il: ; @_ZN5aiter30swiglu_act_and_mul_bias_kernelIDF16_DF16_sfLi2EEEvPT0_PKT_PKT1_PKT2_il
; %bb.0:
	s_load_dword s20, s[0:1], 0x20
	s_load_dwordx2 s[4:5], s[0:1], 0x10
	s_load_dwordx2 s[6:7], s[0:1], 0x28
	s_mov_b32 s3, 0
	s_lshl_b64 s[8:9], s[2:3], 1
	s_waitcnt lgkmcnt(0)
	s_ashr_i32 s21, s20, 31
	s_add_u32 s4, s4, s8
	s_addc_u32 s5, s5, s9
	v_mov_b32_e32 v1, 0
	global_load_ushort v1, v1, s[4:5]
	s_mul_hi_u32 s3, s20, s2
	v_mov_b64_e32 v[2:3], s[6:7]
	s_mul_i32 s6, s21, s2
	s_add_i32 s7, s20, 1
	s_add_i32 s9, s3, s6
	s_lshr_b32 s3, s7, 31
	s_load_dwordx2 s[4:5], s[0:1], 0x0
	s_add_i32 s7, s7, s3
	s_lshl_b32 s3, s7, 1
	s_mul_i32 s8, s20, s2
	s_and_b32 s6, s3, -4
	s_lshl_b64 s[12:13], s[8:9], 1
	s_mov_b64 s[10:11], -1
	s_waitcnt vmcnt(0)
	v_readfirstlane_b32 s3, v1
	s_sext_i32_i16 s8, s3
	s_ashr_i32 s9, s8, 31
	s_waitcnt lgkmcnt(0)
	s_add_u32 s4, s4, s12
	s_addc_u32 s3, s5, s13
	s_and_b32 s5, s3, 0xffff
	s_cmp_gt_i32 s8, -1
	v_cmp_lt_i64_e32 vcc, s[8:9], v[2:3]
	s_cselect_b64 s[12:13], -1, 0
	s_and_b64 s[12:13], s[12:13], vcc
	s_and_b64 vcc, exec, s[12:13]
	v_lshlrev_b32_e32 v2, 1, v0
	s_cbranch_vccnz .LBB290_5
; %bb.1:
	v_cmp_gt_i32_e32 vcc, s20, v2
	s_and_saveexec_b64 s[10:11], vcc
	s_cbranch_execz .LBB290_4
; %bb.2:
	s_load_dword s3, s[0:1], 0x3c
	v_mov_b32_e32 v3, 0
	s_mov_b32 s13, 0
	v_lshlrev_b32_e32 v1, 2, v0
	s_mov_b64 s[14:15], 0
	s_waitcnt lgkmcnt(0)
	s_and_b32 s3, s3, 0xffff
	s_lshl_b32 s12, s3, 1
	s_lshl_b32 s3, s3, 2
	s_mov_b32 s7, 0x20000
	v_mov_b64_e32 v[4:5], v[2:3]
.LBB290_3:                              ; =>This Inner Loop Header: Depth=1
	v_lshl_add_u64 v[4:5], s[12:13], 0, v[4:5]
	v_cmp_le_i64_e32 vcc, s[20:21], v[4:5]
	buffer_store_dword v3, v1, s[4:7], 0 offen
	s_or_b64 s[14:15], vcc, s[14:15]
	v_add_u32_e32 v1, s3, v1
	s_andn2_b64 exec, exec, s[14:15]
	s_cbranch_execnz .LBB290_3
.LBB290_4:
	s_or_b64 exec, exec, s[10:11]
	s_mov_b64 s[10:11], 0
.LBB290_5:
	s_andn2_b64 vcc, exec, s[10:11]
	s_cbranch_vccnz .LBB290_9
; %bb.6:
	v_cmp_gt_i32_e32 vcc, s20, v2
	s_and_saveexec_b64 s[10:11], vcc
	s_cbranch_execz .LBB290_9
; %bb.7:
	s_load_dwordx2 s[12:13], s[0:1], 0x8
	s_load_dwordx2 s[10:11], s[0:1], 0x18
	s_mul_hi_i32 s9, s20, s8
	s_mul_i32 s8, s20, s8
	s_lshl_b64 s[8:9], s[8:9], 3
	s_load_dword s14, s[0:1], 0x3c
	s_waitcnt lgkmcnt(0)
	s_add_u32 s8, s10, s8
	s_addc_u32 s3, s11, s9
	s_lshl_b64 s[0:1], s[20:21], 2
	s_add_u32 s0, s8, s0
	s_addc_u32 s1, s3, s1
	s_and_b32 s9, s3, 0xffff
	s_mul_i32 s3, s2, s21
	s_mul_hi_u32 s15, s2, s20
	s_add_i32 s3, s15, s3
	s_mul_i32 s2, s2, s20
	s_lshl_b32 s10, s20, 2
	s_and_b32 s1, s1, 0xffff
	s_lshl_b64 s[2:3], s[2:3], 2
	s_add_u32 s12, s12, s2
	s_addc_u32 s13, s13, s3
	s_lshl_b64 s[2:3], s[20:21], 1
	s_add_u32 s16, s12, s2
	s_addc_u32 s2, s13, s3
	s_mov_b32 s7, 0x20000
	s_and_b32 s17, s2, 0xffff
	s_and_b32 s2, s14, 0xffff
	s_mov_b32 s11, s7
	s_and_b32 s13, s13, 0xffff
	s_mov_b32 s23, 0
	v_mov_b32_e32 v3, 0
	s_lshl_b32 s22, s2, 1
	v_lshlrev_b32_e32 v1, 3, v0
	s_lshl_b32 s26, s2, 3
	v_lshlrev_b32_e32 v0, 2, v0
	s_lshl_b32 s27, s2, 2
	s_mov_b64 s[24:25], 0
	s_mov_b32 s28, 0x3fb8aa3b
	s_mov_b32 s29, 0xc2ce8ed0
	;; [unrolled: 1-line block ×3, first 2 shown]
	v_mov_b32_e32 v4, 0x7f800000
	s_mov_b32 s31, 0xc0e00000
	v_mov_b32_e32 v5, 0x40e00000
	s_mov_b32 s14, s6
	s_mov_b32 s15, s7
	;; [unrolled: 1-line block ×4, first 2 shown]
.LBB290_8:                              ; =>This Inner Loop Header: Depth=1
	buffer_load_dword v11, v0, s[12:15], 0 offen
	buffer_load_dword v13, v0, s[16:19], 0 offen
	buffer_load_dwordx2 v[6:7], v1, s[8:11], 0 offen
	s_mov_b32 s2, s10
	s_mov_b32 s3, s11
	buffer_load_dwordx2 v[8:9], v1, s[0:3], 0 offen
	v_lshl_add_u64 v[2:3], s[22:23], 0, v[2:3]
	v_add_u32_e32 v1, s26, v1
	s_waitcnt vmcnt(3)
	v_cvt_f32_f16_e32 v10, v11
	v_cvt_f32_f16_sdwa v11, v11 dst_sel:DWORD dst_unused:UNUSED_PAD src0_sel:WORD_1
	s_waitcnt vmcnt(2)
	v_cvt_f32_f16_e32 v12, v13
	v_cvt_f32_f16_sdwa v13, v13 dst_sel:DWORD dst_unused:UNUSED_PAD src0_sel:WORD_1
	s_waitcnt vmcnt(1)
	v_pk_add_f32 v[6:7], v[6:7], v[10:11]
	s_nop 0
	v_min_f32_e32 v6, 0x40e00000, v6
	v_min_f32_e32 v7, 0x40e00000, v7
	v_mul_f32_e32 v10, 0xbfd9db23, v6
	v_mul_f32_e32 v11, 0xbfd9db23, v7
	;; [unrolled: 1-line block ×4, first 2 shown]
	v_fma_f32 v16, v10, s28, -v14
	v_rndne_f32_e32 v17, v14
	v_fma_f32 v18, v11, s28, -v15
	v_rndne_f32_e32 v19, v15
	v_fmac_f32_e32 v16, 0x32a5705f, v10
	v_sub_f32_e32 v14, v14, v17
	v_fmac_f32_e32 v18, 0x32a5705f, v11
	v_sub_f32_e32 v15, v15, v19
	v_add_f32_e32 v14, v14, v16
	v_cvt_i32_f32_e32 v17, v17
	v_add_f32_e32 v15, v15, v18
	v_exp_f32_e32 v14, v14
	v_cvt_i32_f32_e32 v19, v19
	v_exp_f32_e32 v15, v15
	s_waitcnt vmcnt(0)
	v_pk_add_f32 v[8:9], v[8:9], v[12:13]
	v_ldexp_f32 v12, v14, v17
	v_cmp_ngt_f32_e32 vcc, s29, v10
	v_ldexp_f32 v13, v15, v19
	v_med3_f32 v9, v9, s31, v5
	v_cndmask_b32_e32 v12, 0, v12, vcc
	v_cmp_ngt_f32_e32 vcc, s29, v11
	v_med3_f32 v8, v8, s31, v5
	v_pk_add_f32 v[8:9], v[8:9], 1.0 op_sel_hi:[1,0]
	v_cndmask_b32_e32 v13, 0, v13, vcc
	v_cmp_nlt_f32_e32 vcc, s30, v10
	s_nop 1
	v_cndmask_b32_e32 v10, v4, v12, vcc
	v_cmp_nlt_f32_e32 vcc, s30, v11
	v_add_f32_e32 v10, 1.0, v10
	v_rcp_f32_e32 v10, v10
	v_cndmask_b32_e32 v11, v4, v13, vcc
	v_add_f32_e32 v11, 1.0, v11
	v_rcp_f32_e32 v11, v11
	v_cmp_le_i64_e32 vcc, s[20:21], v[2:3]
	s_or_b64 s[24:25], vcc, s[24:25]
	v_pk_mul_f32 v[6:7], v[6:7], v[10:11]
	s_nop 0
	v_pk_mul_f32 v[6:7], v[8:9], v[6:7]
	s_nop 0
	v_cvt_f16_f32_e32 v7, v7
	v_cvt_f16_f32_e32 v6, v6
	v_pack_b32_f16 v6, v6, v7
	buffer_store_dword v6, v0, s[4:7], 0 offen
	v_add_u32_e32 v0, s27, v0
	s_andn2_b64 exec, exec, s[24:25]
	s_cbranch_execnz .LBB290_8
.LBB290_9:
	s_endpgm
	.section	.rodata,"a",@progbits
	.p2align	6, 0x0
	.amdhsa_kernel _ZN5aiter30swiglu_act_and_mul_bias_kernelIDF16_DF16_sfLi2EEEvPT0_PKT_PKT1_PKT2_il
		.amdhsa_group_segment_fixed_size 0
		.amdhsa_private_segment_fixed_size 0
		.amdhsa_kernarg_size 304
		.amdhsa_user_sgpr_count 2
		.amdhsa_user_sgpr_dispatch_ptr 0
		.amdhsa_user_sgpr_queue_ptr 0
		.amdhsa_user_sgpr_kernarg_segment_ptr 1
		.amdhsa_user_sgpr_dispatch_id 0
		.amdhsa_user_sgpr_kernarg_preload_length 0
		.amdhsa_user_sgpr_kernarg_preload_offset 0
		.amdhsa_user_sgpr_private_segment_size 0
		.amdhsa_uses_dynamic_stack 0
		.amdhsa_enable_private_segment 0
		.amdhsa_system_sgpr_workgroup_id_x 1
		.amdhsa_system_sgpr_workgroup_id_y 0
		.amdhsa_system_sgpr_workgroup_id_z 0
		.amdhsa_system_sgpr_workgroup_info 0
		.amdhsa_system_vgpr_workitem_id 0
		.amdhsa_next_free_vgpr 20
		.amdhsa_next_free_sgpr 32
		.amdhsa_accum_offset 20
		.amdhsa_reserve_vcc 1
		.amdhsa_float_round_mode_32 0
		.amdhsa_float_round_mode_16_64 0
		.amdhsa_float_denorm_mode_32 3
		.amdhsa_float_denorm_mode_16_64 3
		.amdhsa_dx10_clamp 1
		.amdhsa_ieee_mode 1
		.amdhsa_fp16_overflow 0
		.amdhsa_tg_split 0
		.amdhsa_exception_fp_ieee_invalid_op 0
		.amdhsa_exception_fp_denorm_src 0
		.amdhsa_exception_fp_ieee_div_zero 0
		.amdhsa_exception_fp_ieee_overflow 0
		.amdhsa_exception_fp_ieee_underflow 0
		.amdhsa_exception_fp_ieee_inexact 0
		.amdhsa_exception_int_div_zero 0
	.end_amdhsa_kernel
	.section	.text._ZN5aiter30swiglu_act_and_mul_bias_kernelIDF16_DF16_sfLi2EEEvPT0_PKT_PKT1_PKT2_il,"axG",@progbits,_ZN5aiter30swiglu_act_and_mul_bias_kernelIDF16_DF16_sfLi2EEEvPT0_PKT_PKT1_PKT2_il,comdat
.Lfunc_end290:
	.size	_ZN5aiter30swiglu_act_and_mul_bias_kernelIDF16_DF16_sfLi2EEEvPT0_PKT_PKT1_PKT2_il, .Lfunc_end290-_ZN5aiter30swiglu_act_and_mul_bias_kernelIDF16_DF16_sfLi2EEEvPT0_PKT_PKT1_PKT2_il
                                        ; -- End function
	.section	.AMDGPU.csdata,"",@progbits
; Kernel info:
; codeLenInByte = 960
; NumSgprs: 38
; NumVgprs: 20
; NumAgprs: 0
; TotalNumVgprs: 20
; ScratchSize: 0
; MemoryBound: 0
; FloatMode: 240
; IeeeMode: 1
; LDSByteSize: 0 bytes/workgroup (compile time only)
; SGPRBlocks: 4
; VGPRBlocks: 2
; NumSGPRsForWavesPerEU: 38
; NumVGPRsForWavesPerEU: 20
; AccumOffset: 20
; Occupancy: 8
; WaveLimiterHint : 0
; COMPUTE_PGM_RSRC2:SCRATCH_EN: 0
; COMPUTE_PGM_RSRC2:USER_SGPR: 2
; COMPUTE_PGM_RSRC2:TRAP_HANDLER: 0
; COMPUTE_PGM_RSRC2:TGID_X_EN: 1
; COMPUTE_PGM_RSRC2:TGID_Y_EN: 0
; COMPUTE_PGM_RSRC2:TGID_Z_EN: 0
; COMPUTE_PGM_RSRC2:TIDIG_COMP_CNT: 0
; COMPUTE_PGM_RSRC3_GFX90A:ACCUM_OFFSET: 4
; COMPUTE_PGM_RSRC3_GFX90A:TG_SPLIT: 0
	.section	.text._ZN5aiter30swiglu_act_and_mul_bias_kernelIDF16_DF16_sfLi1EEEvPT0_PKT_PKT1_PKT2_il,"axG",@progbits,_ZN5aiter30swiglu_act_and_mul_bias_kernelIDF16_DF16_sfLi1EEEvPT0_PKT_PKT1_PKT2_il,comdat
	.protected	_ZN5aiter30swiglu_act_and_mul_bias_kernelIDF16_DF16_sfLi1EEEvPT0_PKT_PKT1_PKT2_il ; -- Begin function _ZN5aiter30swiglu_act_and_mul_bias_kernelIDF16_DF16_sfLi1EEEvPT0_PKT_PKT1_PKT2_il
	.globl	_ZN5aiter30swiglu_act_and_mul_bias_kernelIDF16_DF16_sfLi1EEEvPT0_PKT_PKT1_PKT2_il
	.p2align	8
	.type	_ZN5aiter30swiglu_act_and_mul_bias_kernelIDF16_DF16_sfLi1EEEvPT0_PKT_PKT1_PKT2_il,@function
_ZN5aiter30swiglu_act_and_mul_bias_kernelIDF16_DF16_sfLi1EEEvPT0_PKT_PKT1_PKT2_il: ; @_ZN5aiter30swiglu_act_and_mul_bias_kernelIDF16_DF16_sfLi1EEEvPT0_PKT_PKT1_PKT2_il
; %bb.0:
	s_load_dword s20, s[0:1], 0x20
	s_load_dwordx2 s[4:5], s[0:1], 0x10
	s_load_dwordx2 s[6:7], s[0:1], 0x28
	s_mov_b32 s3, 0
	s_lshl_b64 s[8:9], s[2:3], 1
	s_waitcnt lgkmcnt(0)
	s_ashr_i32 s21, s20, 31
	s_add_u32 s4, s4, s8
	s_addc_u32 s5, s5, s9
	v_mov_b32_e32 v1, 0
	global_load_ushort v1, v1, s[4:5]
	s_mul_hi_u32 s3, s20, s2
	v_mov_b64_e32 v[2:3], s[6:7]
	s_mul_i32 s6, s21, s2
	s_add_i32 s7, s20, 1
	s_add_i32 s9, s3, s6
	s_lshr_b32 s3, s7, 31
	s_load_dwordx2 s[4:5], s[0:1], 0x0
	s_add_i32 s7, s7, s3
	s_lshl_b32 s3, s7, 1
	s_and_b32 s10, s3, -4
	s_mul_i32 s8, s20, s2
	s_lshl_b64 s[8:9], s[8:9], 1
	s_mov_b64 s[12:13], -1
	s_waitcnt vmcnt(0)
	v_readfirstlane_b32 s3, v1
	s_sext_i32_i16 s6, s3
	s_ashr_i32 s7, s6, 31
	s_waitcnt lgkmcnt(0)
	s_add_u32 s8, s4, s8
	s_addc_u32 s3, s5, s9
	s_and_b32 s9, s3, 0xffff
	s_cmp_gt_i32 s6, -1
	v_cmp_lt_i64_e32 vcc, s[6:7], v[2:3]
	s_cselect_b64 s[4:5], -1, 0
	s_and_b64 s[4:5], s[4:5], vcc
	s_and_b64 vcc, exec, s[4:5]
	v_cmp_gt_i32_e64 s[4:5], s20, v0
	s_cbranch_vccnz .LBB291_5
; %bb.1:
	s_and_saveexec_b64 s[12:13], s[4:5]
	s_cbranch_execz .LBB291_4
; %bb.2:
	s_load_dword s3, s[0:1], 0x3c
	v_mov_b32_e32 v1, 0
	s_mov_b32 s5, 0
	v_lshlrev_b32_e32 v4, 1, v0
	s_mov_b64 s[14:15], 0
	s_waitcnt lgkmcnt(0)
	s_and_b32 s4, s3, 0xffff
	s_lshl_b32 s3, s4, 1
	s_mov_b32 s11, 0x20000
	v_mov_b64_e32 v[2:3], v[0:1]
.LBB291_3:                              ; =>This Inner Loop Header: Depth=1
	v_lshl_add_u64 v[2:3], v[2:3], 0, s[4:5]
	v_cmp_le_i64_e32 vcc, s[20:21], v[2:3]
	buffer_store_short v1, v4, s[8:11], 0 offen
	s_or_b64 s[14:15], vcc, s[14:15]
	v_add_u32_e32 v4, s3, v4
	s_andn2_b64 exec, exec, s[14:15]
	s_cbranch_execnz .LBB291_3
.LBB291_4:
	s_or_b64 exec, exec, s[12:13]
	s_mov_b64 s[12:13], 0
.LBB291_5:
	s_andn2_b64 vcc, exec, s[12:13]
	s_cbranch_vccnz .LBB291_9
; %bb.6:
	v_cmp_gt_i32_e32 vcc, s20, v0
	s_and_saveexec_b64 s[4:5], vcc
	s_cbranch_execz .LBB291_9
; %bb.7:
	s_load_dwordx2 s[12:13], s[0:1], 0x8
	s_load_dwordx2 s[4:5], s[0:1], 0x18
	s_mul_hi_i32 s7, s20, s6
	s_mul_i32 s6, s20, s6
	s_lshl_b64 s[6:7], s[6:7], 3
	s_load_dword s14, s[0:1], 0x3c
	s_waitcnt lgkmcnt(0)
	s_add_u32 s4, s4, s6
	s_addc_u32 s3, s5, s7
	s_lshl_b64 s[0:1], s[20:21], 2
	s_add_u32 s0, s4, s0
	s_addc_u32 s1, s3, s1
	s_and_b32 s5, s3, 0xffff
	s_mul_i32 s3, s2, s21
	s_mul_hi_u32 s15, s2, s20
	s_add_i32 s3, s15, s3
	s_mul_i32 s2, s2, s20
	s_lshl_b32 s6, s20, 2
	s_and_b32 s1, s1, 0xffff
	s_lshl_b64 s[2:3], s[2:3], 2
	s_add_u32 s12, s12, s2
	s_addc_u32 s13, s13, s3
	s_lshl_b64 s[2:3], s[20:21], 1
	s_add_u32 s16, s12, s2
	s_mov_b32 s11, 0x20000
	s_addc_u32 s2, s13, s3
	s_and_b32 s22, s14, 0xffff
	s_mov_b32 s7, s11
	s_and_b32 s13, s13, 0xffff
	s_and_b32 s17, s2, 0xffff
	s_mov_b32 s23, 0
	v_mov_b32_e32 v1, 0
	v_lshlrev_b32_e32 v2, 2, v0
	s_lshl_b32 s26, s22, 2
	v_lshlrev_b32_e32 v3, 1, v0
	s_lshl_b32 s27, s22, 1
	s_mov_b64 s[24:25], 0
	s_mov_b32 s14, s10
	s_mov_b32 s15, s11
	s_mov_b32 s28, 0x3fb8aa3b
	s_mov_b32 s29, 0xc2ce8ed0
	s_mov_b32 s30, 0x42b17218
	v_mov_b32_e32 v4, 0x7f800000
	s_mov_b32 s18, s10
	s_mov_b32 s19, s11
.LBB291_8:                              ; =>This Inner Loop Header: Depth=1
	buffer_load_ushort v5, v3, s[12:15], 0 offen
	buffer_load_ushort v6, v3, s[16:19], 0 offen
	buffer_load_dword v7, v2, s[4:7], 0 offen
	s_mov_b32 s2, s6
	s_mov_b32 s3, s7
	buffer_load_dword v8, v2, s[0:3], 0 offen
	v_lshl_add_u64 v[0:1], v[0:1], 0, s[22:23]
	v_cmp_le_i64_e32 vcc, s[20:21], v[0:1]
	s_or_b64 s[24:25], vcc, s[24:25]
	v_add_u32_e32 v2, s26, v2
	s_waitcnt vmcnt(3)
	v_cvt_f32_f16_e32 v5, v5
	s_waitcnt vmcnt(2)
	v_cvt_f32_f16_e32 v6, v6
	s_waitcnt vmcnt(1)
	v_add_f32_e32 v5, v5, v7
	v_min_f32_e32 v5, 0x40e00000, v5
	v_mul_f32_e32 v7, 0xbfd9db23, v5
	v_mul_f32_e32 v9, 0x3fb8aa3b, v7
	v_fma_f32 v10, v7, s28, -v9
	v_rndne_f32_e32 v11, v9
	v_fmac_f32_e32 v10, 0x32a5705f, v7
	v_sub_f32_e32 v9, v9, v11
	v_add_f32_e32 v9, v9, v10
	v_cvt_i32_f32_e32 v11, v11
	v_exp_f32_e32 v9, v9
	s_waitcnt vmcnt(0)
	v_add_f32_e32 v6, v6, v8
	v_cmp_ngt_f32_e32 vcc, s29, v7
	v_max_f32_e32 v6, 0xc0e00000, v6
	v_ldexp_f32 v8, v9, v11
	v_cndmask_b32_e32 v8, 0, v8, vcc
	v_cmp_nlt_f32_e32 vcc, s30, v7
	v_min_f32_e32 v6, 0x40e00000, v6
	v_add_f32_e32 v6, 1.0, v6
	v_cndmask_b32_e32 v7, v4, v8, vcc
	v_add_f32_e32 v7, 1.0, v7
	v_rcp_f32_e32 v7, v7
	s_nop 0
	v_mul_f32_e32 v5, v5, v7
	v_fma_mixlo_f16 v5, v6, v5, 0
	buffer_store_short v5, v3, s[8:11], 0 offen
	v_add_u32_e32 v3, s27, v3
	s_andn2_b64 exec, exec, s[24:25]
	s_cbranch_execnz .LBB291_8
.LBB291_9:
	s_endpgm
	.section	.rodata,"a",@progbits
	.p2align	6, 0x0
	.amdhsa_kernel _ZN5aiter30swiglu_act_and_mul_bias_kernelIDF16_DF16_sfLi1EEEvPT0_PKT_PKT1_PKT2_il
		.amdhsa_group_segment_fixed_size 0
		.amdhsa_private_segment_fixed_size 0
		.amdhsa_kernarg_size 304
		.amdhsa_user_sgpr_count 2
		.amdhsa_user_sgpr_dispatch_ptr 0
		.amdhsa_user_sgpr_queue_ptr 0
		.amdhsa_user_sgpr_kernarg_segment_ptr 1
		.amdhsa_user_sgpr_dispatch_id 0
		.amdhsa_user_sgpr_kernarg_preload_length 0
		.amdhsa_user_sgpr_kernarg_preload_offset 0
		.amdhsa_user_sgpr_private_segment_size 0
		.amdhsa_uses_dynamic_stack 0
		.amdhsa_enable_private_segment 0
		.amdhsa_system_sgpr_workgroup_id_x 1
		.amdhsa_system_sgpr_workgroup_id_y 0
		.amdhsa_system_sgpr_workgroup_id_z 0
		.amdhsa_system_sgpr_workgroup_info 0
		.amdhsa_system_vgpr_workitem_id 0
		.amdhsa_next_free_vgpr 12
		.amdhsa_next_free_sgpr 31
		.amdhsa_accum_offset 12
		.amdhsa_reserve_vcc 1
		.amdhsa_float_round_mode_32 0
		.amdhsa_float_round_mode_16_64 0
		.amdhsa_float_denorm_mode_32 3
		.amdhsa_float_denorm_mode_16_64 3
		.amdhsa_dx10_clamp 1
		.amdhsa_ieee_mode 1
		.amdhsa_fp16_overflow 0
		.amdhsa_tg_split 0
		.amdhsa_exception_fp_ieee_invalid_op 0
		.amdhsa_exception_fp_denorm_src 0
		.amdhsa_exception_fp_ieee_div_zero 0
		.amdhsa_exception_fp_ieee_overflow 0
		.amdhsa_exception_fp_ieee_underflow 0
		.amdhsa_exception_fp_ieee_inexact 0
		.amdhsa_exception_int_div_zero 0
	.end_amdhsa_kernel
	.section	.text._ZN5aiter30swiglu_act_and_mul_bias_kernelIDF16_DF16_sfLi1EEEvPT0_PKT_PKT1_PKT2_il,"axG",@progbits,_ZN5aiter30swiglu_act_and_mul_bias_kernelIDF16_DF16_sfLi1EEEvPT0_PKT_PKT1_PKT2_il,comdat
.Lfunc_end291:
	.size	_ZN5aiter30swiglu_act_and_mul_bias_kernelIDF16_DF16_sfLi1EEEvPT0_PKT_PKT1_PKT2_il, .Lfunc_end291-_ZN5aiter30swiglu_act_and_mul_bias_kernelIDF16_DF16_sfLi1EEEvPT0_PKT_PKT1_PKT2_il
                                        ; -- End function
	.section	.AMDGPU.csdata,"",@progbits
; Kernel info:
; codeLenInByte = 784
; NumSgprs: 37
; NumVgprs: 12
; NumAgprs: 0
; TotalNumVgprs: 12
; ScratchSize: 0
; MemoryBound: 0
; FloatMode: 240
; IeeeMode: 1
; LDSByteSize: 0 bytes/workgroup (compile time only)
; SGPRBlocks: 4
; VGPRBlocks: 1
; NumSGPRsForWavesPerEU: 37
; NumVGPRsForWavesPerEU: 12
; AccumOffset: 12
; Occupancy: 8
; WaveLimiterHint : 0
; COMPUTE_PGM_RSRC2:SCRATCH_EN: 0
; COMPUTE_PGM_RSRC2:USER_SGPR: 2
; COMPUTE_PGM_RSRC2:TRAP_HANDLER: 0
; COMPUTE_PGM_RSRC2:TGID_X_EN: 1
; COMPUTE_PGM_RSRC2:TGID_Y_EN: 0
; COMPUTE_PGM_RSRC2:TGID_Z_EN: 0
; COMPUTE_PGM_RSRC2:TIDIG_COMP_CNT: 0
; COMPUTE_PGM_RSRC3_GFX90A:ACCUM_OFFSET: 2
; COMPUTE_PGM_RSRC3_GFX90A:TG_SPLIT: 0
	.section	.text._ZN5aiter30swiglu_act_and_mul_bias_kernelIttsfLi32EEEvPT0_PKT_PKT1_PKT2_il,"axG",@progbits,_ZN5aiter30swiglu_act_and_mul_bias_kernelIttsfLi32EEEvPT0_PKT_PKT1_PKT2_il,comdat
	.protected	_ZN5aiter30swiglu_act_and_mul_bias_kernelIttsfLi32EEEvPT0_PKT_PKT1_PKT2_il ; -- Begin function _ZN5aiter30swiglu_act_and_mul_bias_kernelIttsfLi32EEEvPT0_PKT_PKT1_PKT2_il
	.globl	_ZN5aiter30swiglu_act_and_mul_bias_kernelIttsfLi32EEEvPT0_PKT_PKT1_PKT2_il
	.p2align	8
	.type	_ZN5aiter30swiglu_act_and_mul_bias_kernelIttsfLi32EEEvPT0_PKT_PKT1_PKT2_il,@function
_ZN5aiter30swiglu_act_and_mul_bias_kernelIttsfLi32EEEvPT0_PKT_PKT1_PKT2_il: ; @_ZN5aiter30swiglu_act_and_mul_bias_kernelIttsfLi32EEEvPT0_PKT_PKT1_PKT2_il
; %bb.0:
	s_load_dword s6, s[0:1], 0x20
	s_load_dwordx2 s[4:5], s[0:1], 0x10
	s_load_dwordx2 s[8:9], s[0:1], 0x28
	s_mov_b32 s3, 0
	s_lshl_b64 s[10:11], s[2:3], 1
	s_waitcnt lgkmcnt(0)
	s_ashr_i32 s7, s6, 31
	s_add_u32 s4, s4, s10
	s_addc_u32 s5, s5, s11
	v_mov_b32_e32 v1, 0
	global_load_ushort v1, v1, s[4:5]
	s_mul_hi_u32 s3, s6, s2
	s_mul_i32 s5, s7, s2
	s_add_i32 s10, s6, 1
	s_add_i32 s5, s3, s5
	s_lshr_b32 s3, s10, 31
	s_load_dwordx2 s[14:15], s[0:1], 0x0
	s_add_i32 s10, s10, s3
	s_lshl_b32 s3, s10, 1
	s_mul_i32 s4, s6, s2
	s_and_b32 s10, s3, -4
	v_mov_b64_e32 v[2:3], s[8:9]
	s_lshl_b64 s[8:9], s[4:5], 1
	s_mov_b64 s[12:13], -1
	v_lshlrev_b32_e32 v20, 5, v0
	s_waitcnt vmcnt(0)
	v_readfirstlane_b32 s3, v1
	s_sext_i32_i16 s4, s3
	s_ashr_i32 s5, s4, 31
	s_waitcnt lgkmcnt(0)
	s_add_u32 s8, s14, s8
	s_addc_u32 s3, s15, s9
	s_and_b32 s9, s3, 0xffff
	s_cmp_gt_i32 s4, -1
	v_cmp_lt_i64_e32 vcc, s[4:5], v[2:3]
	s_cselect_b64 s[14:15], -1, 0
	s_and_b64 s[14:15], s[14:15], vcc
	s_and_b64 vcc, exec, s[14:15]
	s_cbranch_vccnz .LBB292_5
; %bb.1:
	v_cmp_gt_i32_e32 vcc, s6, v20
	s_and_saveexec_b64 s[12:13], vcc
	s_cbranch_execz .LBB292_4
; %bb.2:
	s_load_dword s3, s[0:1], 0x3c
	s_mov_b32 s15, 0
	s_mov_b32 s20, s15
	;; [unrolled: 1-line block ×3, first 2 shown]
	v_mov_b32_e32 v21, 0
	s_waitcnt lgkmcnt(0)
	s_and_b32 s3, s3, 0xffff
	s_mov_b32 s22, s15
	s_mov_b32 s23, s15
	v_mov_b64_e32 v[2:3], s[20:21]
	v_lshlrev_b32_e32 v1, 6, v0
	s_lshl_b32 s14, s3, 5
	s_lshl_b32 s3, s3, 6
	s_mov_b64 s[16:17], 0
	s_mov_b32 s11, 0x20000
	v_mov_b64_e32 v[4:5], s[22:23]
	v_mov_b64_e32 v[6:7], v[20:21]
.LBB292_3:                              ; =>This Inner Loop Header: Depth=1
	v_lshl_add_u64 v[6:7], s[14:15], 0, v[6:7]
	v_cmp_le_i64_e32 vcc, s[6:7], v[6:7]
	buffer_store_dwordx4 v[2:5], v1, s[8:11], 0 offen
	buffer_store_dwordx4 v[2:5], v1, s[8:11], 16 offen
	;; [unrolled: 1-line block ×4, first 2 shown]
	s_or_b64 s[16:17], vcc, s[16:17]
	v_add_u32_e32 v1, s3, v1
	s_andn2_b64 exec, exec, s[16:17]
	s_cbranch_execnz .LBB292_3
.LBB292_4:
	s_or_b64 exec, exec, s[12:13]
	s_mov_b64 s[12:13], 0
.LBB292_5:
	s_andn2_b64 vcc, exec, s[12:13]
	s_cbranch_vccnz .LBB292_9
; %bb.6:
	v_cmp_gt_i32_e32 vcc, s6, v20
	s_and_saveexec_b64 s[12:13], vcc
	s_cbranch_execz .LBB292_9
; %bb.7:
	s_load_dwordx2 s[18:19], s[0:1], 0x8
	s_load_dwordx2 s[12:13], s[0:1], 0x18
	s_mul_hi_i32 s5, s6, s4
	s_mul_i32 s4, s6, s4
	s_lshl_b64 s[4:5], s[4:5], 3
	s_load_dword s3, s[0:1], 0x3c
	s_waitcnt lgkmcnt(0)
	s_add_u32 s12, s12, s4
	s_addc_u32 s4, s13, s5
	s_lshl_b64 s[0:1], s[6:7], 2
	s_add_u32 s16, s12, s0
	s_addc_u32 s0, s4, s1
	s_and_b32 s17, s0, 0xffff
	s_mul_i32 s0, s2, s7
	s_mul_hi_u32 s1, s2, s6
	s_add_i32 s1, s1, s0
	s_mul_i32 s0, s2, s6
	s_lshl_b32 s14, s6, 2
	s_and_b32 s13, s4, 0xffff
	s_lshl_b64 s[0:1], s[0:1], 2
	s_add_u32 s20, s18, s0
	s_addc_u32 s2, s19, s1
	s_lshl_b64 s[0:1], s[6:7], 1
	s_add_u32 s24, s20, s0
	s_addc_u32 s0, s2, s1
	s_mov_b32 s11, 0x20000
	s_and_b32 s25, s0, 0xffff
	s_and_b32 s0, s3, 0xffff
	s_mov_b32 s15, s11
	s_and_b32 s21, s2, 0xffff
	s_mov_b64 s[26:27], s[10:11]
	s_mov_b32 s29, 0
	v_mov_b32_e32 v21, 0
	s_lshl_b32 s28, s0, 5
	v_lshlrev_b32_e32 v52, 7, v0
	s_lshl_b32 s33, s0, 7
	v_lshlrev_b32_e32 v53, 6, v0
	s_lshl_b32 s34, s0, 6
	s_mov_b64 s[30:31], 0
	s_movk_i32 s35, 0x50
	s_movk_i32 s36, 0x60
	;; [unrolled: 1-line block ×3, first 2 shown]
	s_mov_b32 s38, 0x3fb8aa3b
	s_mov_b32 s39, 0xc2ce8ed0
	;; [unrolled: 1-line block ×3, first 2 shown]
	v_mov_b32_e32 v54, 0x7f800000
	s_mov_b32 s41, 0xc0e00000
	v_mov_b32_e32 v55, 0x40e00000
	s_mov_b32 s42, 0x7060302
	s_mov_b32 s22, s10
	;; [unrolled: 1-line block ×3, first 2 shown]
.LBB292_8:                              ; =>This Inner Loop Header: Depth=1
	buffer_load_dwordx4 v[16:19], v53, s[20:23], 0 offen
	buffer_load_dwordx4 v[12:15], v53, s[20:23], 16 offen
	;; [unrolled: 1-line block ×5, first 2 shown]
	s_mov_b32 s18, s14
	s_mov_b32 s19, s15
	v_lshl_add_u64 v[20:21], s[28:29], 0, v[20:21]
	s_waitcnt vmcnt(4)
	v_and_b32_e32 v23, 0xffff0000, v16
	v_lshlrev_b32_e32 v22, 16, v16
	v_and_b32_e32 v25, 0xffff0000, v17
	v_lshlrev_b32_e32 v24, 16, v17
	s_waitcnt vmcnt(0)
	v_and_b32_e32 v45, 0xffff0000, v2
	v_lshlrev_b32_e32 v44, 16, v2
	v_and_b32_e32 v49, 0xffff0000, v0
	v_lshlrev_b32_e32 v48, 16, v0
	;; [unrolled: 2-line block ×4, first 2 shown]
	buffer_load_dwordx4 v[0:3], v52, s[12:15], 0 offen
	v_and_b32_e32 v17, 0xffff0000, v18
	v_lshlrev_b32_e32 v16, 16, v18
	v_and_b32_e32 v27, 0xffff0000, v19
	v_lshlrev_b32_e32 v26, 16, v19
	;; [unrolled: 2-line block ×14, first 2 shown]
	s_waitcnt vmcnt(0)
	v_pk_add_f32 v[58:59], v[0:1], v[22:23]
	v_pk_add_f32 v[42:43], v[2:3], v[24:25]
	buffer_load_dwordx4 v[0:3], v52, s[12:15], 16 offen
	s_waitcnt vmcnt(0)
	v_pk_add_f32 v[24:25], v[0:1], v[16:17]
	v_pk_add_f32 v[22:23], v[2:3], v[26:27]
	buffer_load_dwordx4 v[0:3], v52, s[12:15], 32 offen
	;; [unrolled: 4-line block ×4, first 2 shown]
	s_waitcnt vmcnt(0)
	v_pk_add_f32 v[38:39], v[26:27], v[14:15]
	buffer_load_dwordx4 v[14:17], v52, s[12:15], s35 offen
	v_pk_add_f32 v[32:33], v[28:29], v[32:33]
	buffer_load_dwordx4 v[26:29], v52, s[16:19], 0 offen
	s_waitcnt vmcnt(1)
	v_pk_add_f32 v[14:15], v[14:15], v[8:9]
	buffer_load_dwordx4 v[6:9], v52, s[12:15], s36 offen
	v_pk_add_f32 v[12:13], v[16:17], v[34:35]
	s_waitcnt vmcnt(1)
	v_pk_add_f32 v[34:35], v[28:29], v[56:57]
	s_waitcnt vmcnt(0)
	v_pk_add_f32 v[16:17], v[6:7], v[10:11]
	v_pk_add_f32 v[10:11], v[8:9], v[40:41]
	buffer_load_dwordx4 v[6:9], v52, s[12:15], s37 offen
	v_pk_add_f32 v[40:41], v[26:27], v[48:49]
	buffer_load_dwordx4 v[26:29], v52, s[16:19], 16 offen
	v_min_f32_e32 v10, 0x40e00000, v10
	v_min_f32_e32 v11, 0x40e00000, v11
	s_waitcnt vmcnt(1)
	v_pk_add_f32 v[6:7], v[6:7], v[4:5]
	v_pk_add_f32 v[4:5], v[8:9], v[46:47]
	s_waitcnt vmcnt(0)
	v_pk_add_f32 v[48:49], v[26:27], v[44:45]
	v_min_f32_e32 v44, 0x40e00000, v58
	v_mul_f32_e32 v8, 0xbfd9db23, v44
	v_min_f32_e32 v45, 0x40e00000, v59
	v_mul_f32_e32 v26, 0x3fb8aa3b, v8
	v_pk_add_f32 v[50:51], v[28:29], v[50:51]
	v_mul_f32_e32 v9, 0xbfd9db23, v45
	v_fma_f32 v28, v8, s38, -v26
	v_rndne_f32_e32 v29, v26
	v_mul_f32_e32 v27, 0x3fb8aa3b, v9
	v_fmac_f32_e32 v28, 0x32a5705f, v8
	v_sub_f32_e32 v26, v26, v29
	v_add_f32_e32 v26, v26, v28
	v_fma_f32 v28, v9, s38, -v27
	v_rndne_f32_e32 v30, v27
	v_fmac_f32_e32 v28, 0x32a5705f, v9
	v_sub_f32_e32 v27, v27, v30
	v_add_f32_e32 v27, v27, v28
	v_exp_f32_e32 v26, v26
	v_cvt_i32_f32_e32 v28, v29
	v_exp_f32_e32 v27, v27
	v_cvt_i32_f32_e32 v29, v30
	v_cmp_ngt_f32_e32 vcc, s39, v8
	v_ldexp_f32 v26, v26, v28
	v_min_f32_e32 v28, 0x40e00000, v42
	v_mul_f32_e32 v30, 0xbfd9db23, v28
	v_mul_f32_e32 v31, 0x3fb8aa3b, v30
	v_ldexp_f32 v27, v27, v29
	v_min_f32_e32 v29, 0x40e00000, v43
	v_fma_f32 v42, v30, s38, -v31
	v_rndne_f32_e32 v43, v31
	v_cndmask_b32_e32 v26, 0, v26, vcc
	v_cmp_nlt_f32_e32 vcc, s40, v8
	v_fmac_f32_e32 v42, 0x32a5705f, v30
	v_sub_f32_e32 v31, v31, v43
	v_cndmask_b32_e32 v8, v54, v26, vcc
	v_add_f32_e32 v31, v31, v42
	v_add_f32_e32 v8, 1.0, v8
	v_cmp_ngt_f32_e32 vcc, s39, v9
	v_rcp_f32_e32 v46, v8
	v_exp_f32_e32 v8, v31
	v_cndmask_b32_e32 v26, 0, v27, vcc
	v_cmp_nlt_f32_e32 vcc, s40, v9
	v_cvt_i32_f32_e32 v9, v43
	v_min_f32_e32 v6, 0x40e00000, v6
	v_cndmask_b32_e32 v26, v54, v26, vcc
	v_add_f32_e32 v26, 1.0, v26
	v_ldexp_f32 v8, v8, v9
	v_mul_f32_e32 v9, 0xbfd9db23, v29
	v_rcp_f32_e32 v47, v26
	v_mul_f32_e32 v26, 0x3fb8aa3b, v9
	v_fma_f32 v27, v9, s38, -v26
	v_rndne_f32_e32 v31, v26
	v_fmac_f32_e32 v27, 0x32a5705f, v9
	v_sub_f32_e32 v26, v26, v31
	v_add_f32_e32 v26, v26, v27
	v_exp_f32_e32 v26, v26
	v_cvt_i32_f32_e32 v27, v31
	v_cmp_ngt_f32_e32 vcc, s39, v30
	v_min_f32_e32 v31, 0x40e00000, v23
	v_min_f32_e32 v23, 0x40e00000, v1
	v_cndmask_b32_e32 v8, 0, v8, vcc
	v_cmp_nlt_f32_e32 vcc, s40, v30
	v_ldexp_f32 v26, v26, v27
	v_min_f32_e32 v30, 0x40e00000, v22
	v_cndmask_b32_e32 v8, v54, v8, vcc
	v_add_f32_e32 v8, 1.0, v8
	v_cmp_ngt_f32_e32 vcc, s39, v9
	v_rcp_f32_e32 v42, v8
	v_min_f32_e32 v22, 0x40e00000, v0
	v_cndmask_b32_e32 v8, 0, v26, vcc
	v_min_f32_e32 v26, 0x40e00000, v24
	v_mul_f32_e32 v56, 0xbfd9db23, v26
	v_min_f32_e32 v0, 0x40e00000, v32
	v_med3_f32 v32, v34, s41, v55
	v_med3_f32 v34, v40, s41, v55
	v_mul_f32_e32 v40, 0x3fb8aa3b, v56
	v_min_f32_e32 v24, 0x40e00000, v18
	v_min_f32_e32 v18, 0x40e00000, v36
	;; [unrolled: 1-line block ×3, first 2 shown]
	v_med3_f32 v33, v35, s41, v55
	v_med3_f32 v35, v41, s41, v55
	;; [unrolled: 1-line block ×3, first 2 shown]
	v_fma_f32 v41, v56, s38, -v40
	v_rndne_f32_e32 v48, v40
	v_min_f32_e32 v27, 0x40e00000, v25
	v_fmac_f32_e32 v41, 0x32a5705f, v56
	v_sub_f32_e32 v40, v40, v48
	v_min_f32_e32 v25, 0x40e00000, v19
	v_min_f32_e32 v19, 0x40e00000, v37
	v_med3_f32 v37, v49, s41, v55
	v_add_f32_e32 v49, v40, v41
	v_pk_mul_f32 v[40:41], v[44:45], v[46:47]
	v_mul_f32_e32 v44, 0xbfd9db23, v27
	v_mul_f32_e32 v45, 0x3fb8aa3b, v44
	v_fma_f32 v46, v44, s38, -v45
	v_rndne_f32_e32 v47, v45
	v_fmac_f32_e32 v46, 0x32a5705f, v44
	v_sub_f32_e32 v45, v45, v47
	v_add_f32_e32 v45, v45, v46
	v_exp_f32_e32 v45, v45
	v_cvt_i32_f32_e32 v47, v47
	v_exp_f32_e32 v46, v49
	v_cvt_i32_f32_e32 v48, v48
	v_cmp_nlt_f32_e32 vcc, s40, v9
	v_ldexp_f32 v45, v45, v47
	v_mul_f32_e32 v47, 0xbfd9db23, v30
	v_cndmask_b32_e32 v8, v54, v8, vcc
	v_add_f32_e32 v8, 1.0, v8
	v_ldexp_f32 v46, v46, v48
	v_mul_f32_e32 v48, 0x3fb8aa3b, v47
	v_cmp_ngt_f32_e32 vcc, s39, v56
	v_cmp_ngt_f32_e64 s[2:3], s39, v44
	v_rcp_f32_e32 v43, v8
	v_min_f32_e32 v8, 0x40e00000, v2
	v_min_f32_e32 v2, 0x40e00000, v38
	v_med3_f32 v38, v50, s41, v55
	v_fma_f32 v49, v47, s38, -v48
	v_rndne_f32_e32 v50, v48
	v_cmp_nlt_f32_e64 s[0:1], s40, v56
	v_cmp_nlt_f32_e64 s[4:5], s40, v44
	v_cndmask_b32_e32 v44, 0, v46, vcc
	v_cndmask_b32_e64 v45, 0, v45, s[2:3]
	v_fmac_f32_e32 v49, 0x32a5705f, v47
	v_sub_f32_e32 v48, v48, v50
	v_cndmask_b32_e64 v44, v54, v44, s[0:1]
	v_cndmask_b32_e64 v45, v54, v45, s[4:5]
	v_min_f32_e32 v9, 0x40e00000, v3
	v_min_f32_e32 v3, 0x40e00000, v39
	v_med3_f32 v39, v51, s41, v55
	v_add_f32_e32 v51, v48, v49
	v_add_f32_e32 v44, 1.0, v44
	v_add_f32_e32 v45, 1.0, v45
	v_rcp_f32_e32 v48, v44
	v_rcp_f32_e32 v49, v45
	v_exp_f32_e32 v44, v51
	v_cvt_i32_f32_e32 v45, v50
	v_cmp_ngt_f32_e32 vcc, s39, v47
	v_cmp_nlt_f32_e64 s[0:1], s40, v47
	v_pk_add_f32 v[32:33], v[32:33], 1.0 op_sel_hi:[1,0]
	v_ldexp_f32 v44, v44, v45
	v_mul_f32_e32 v45, 0xbfd9db23, v31
	v_mul_f32_e32 v46, 0x3fb8aa3b, v45
	v_fma_f32 v50, v45, s38, -v46
	v_rndne_f32_e32 v51, v46
	v_fmac_f32_e32 v50, 0x32a5705f, v45
	v_sub_f32_e32 v46, v46, v51
	v_add_f32_e32 v46, v46, v50
	v_exp_f32_e32 v46, v46
	v_cvt_i32_f32_e32 v47, v51
	v_cndmask_b32_e32 v44, 0, v44, vcc
	v_cndmask_b32_e64 v44, v54, v44, s[0:1]
	v_add_f32_e32 v44, 1.0, v44
	v_ldexp_f32 v47, v46, v47
	v_cmp_ngt_f32_e32 vcc, s39, v45
	v_cmp_nlt_f32_e64 s[0:1], s40, v45
	v_rcp_f32_e32 v46, v44
	v_cndmask_b32_e32 v44, 0, v47, vcc
	v_cndmask_b32_e64 v44, v54, v44, s[0:1]
	v_add_f32_e32 v44, 1.0, v44
	v_mul_f32_e32 v50, 0xbfd9db23, v24
	v_rcp_f32_e32 v47, v44
	v_pk_mul_f32 v[44:45], v[28:29], v[42:43]
	v_mul_f32_e32 v28, 0x3fb8aa3b, v50
	v_fma_f32 v29, v50, s38, -v28
	v_rndne_f32_e32 v42, v28
	v_fmac_f32_e32 v29, 0x32a5705f, v50
	v_sub_f32_e32 v28, v28, v42
	v_add_f32_e32 v28, v28, v29
	v_exp_f32_e32 v28, v28
	v_cvt_i32_f32_e32 v29, v42
	v_pk_mul_f32 v[46:47], v[30:31], v[46:47]
	v_pk_mul_f32 v[44:45], v[32:33], v[44:45]
	v_pk_add_f32 v[38:39], v[38:39], 1.0 op_sel_hi:[1,0]
	v_ldexp_f32 v28, v28, v29
	v_mul_f32_e32 v29, 0xbfd9db23, v25
	v_mul_f32_e32 v42, 0x3fb8aa3b, v29
	v_fma_f32 v43, v29, s38, -v42
	v_rndne_f32_e32 v51, v42
	v_fmac_f32_e32 v43, 0x32a5705f, v29
	v_sub_f32_e32 v42, v42, v51
	v_add_f32_e32 v42, v42, v43
	v_exp_f32_e32 v42, v42
	v_cvt_i32_f32_e32 v43, v51
	v_cmp_ngt_f32_e32 vcc, s39, v29
	v_cmp_nlt_f32_e64 s[0:1], s40, v29
	v_pk_mul_f32 v[38:39], v[38:39], v[46:47]
	v_ldexp_f32 v42, v42, v43
	v_cndmask_b32_e32 v29, 0, v42, vcc
	v_cmp_ngt_f32_e32 vcc, s39, v50
	v_pk_mul_f32 v[42:43], v[26:27], v[48:49]
	v_cndmask_b32_e64 v29, v54, v29, s[0:1]
	v_cndmask_b32_e32 v28, 0, v28, vcc
	v_cmp_nlt_f32_e32 vcc, s40, v50
	v_mul_f32_e32 v50, 0xbfd9db23, v22
	v_mul_f32_e32 v26, 0x3fb8aa3b, v50
	v_fma_f32 v27, v50, s38, -v26
	v_rndne_f32_e32 v48, v26
	v_fmac_f32_e32 v27, 0x32a5705f, v50
	v_sub_f32_e32 v26, v26, v48
	v_add_f32_e32 v26, v26, v27
	v_exp_f32_e32 v26, v26
	v_cvt_i32_f32_e32 v27, v48
	v_cndmask_b32_e32 v28, v54, v28, vcc
	v_pk_add_f32 v[36:37], v[36:37], 1.0 op_sel_hi:[1,0]
	v_pk_add_f32 v[34:35], v[34:35], 1.0 op_sel_hi:[1,0]
	v_ldexp_f32 v26, v26, v27
	v_mul_f32_e32 v27, 0xbfd9db23, v23
	v_mul_f32_e32 v48, 0x3fb8aa3b, v27
	v_fma_f32 v49, v27, s38, -v48
	v_rndne_f32_e32 v51, v48
	v_fmac_f32_e32 v49, 0x32a5705f, v27
	v_sub_f32_e32 v48, v48, v51
	v_add_f32_e32 v48, v48, v49
	v_exp_f32_e32 v48, v48
	v_cvt_i32_f32_e32 v49, v51
	v_cmp_ngt_f32_e32 vcc, s39, v27
	v_cmp_nlt_f32_e64 s[0:1], s40, v27
	v_pk_mul_f32 v[42:43], v[36:37], v[42:43]
	v_ldexp_f32 v48, v48, v49
	v_cndmask_b32_e32 v27, 0, v48, vcc
	v_mul_f32_e32 v48, 0xbfd9db23, v18
	v_mul_f32_e32 v30, 0x3fb8aa3b, v48
	v_fma_f32 v31, v48, s38, -v30
	v_rndne_f32_e32 v49, v30
	v_fmac_f32_e32 v31, 0x32a5705f, v48
	v_sub_f32_e32 v30, v30, v49
	v_add_f32_e32 v30, v30, v31
	v_exp_f32_e32 v30, v30
	v_cvt_i32_f32_e32 v31, v49
	v_cmp_ngt_f32_e32 vcc, s39, v50
	v_cndmask_b32_e64 v27, v54, v27, s[0:1]
	v_perm_b32 v37, v39, v38, s42
	v_ldexp_f32 v30, v30, v31
	v_mul_f32_e32 v31, 0xbfd9db23, v19
	v_mul_f32_e32 v49, 0x3fb8aa3b, v31
	v_cndmask_b32_e32 v26, 0, v26, vcc
	v_cmp_nlt_f32_e32 vcc, s40, v50
	v_fma_f32 v50, v31, s38, -v49
	v_rndne_f32_e32 v51, v49
	v_fmac_f32_e32 v50, 0x32a5705f, v31
	v_sub_f32_e32 v49, v49, v51
	v_add_f32_e32 v49, v49, v50
	v_exp_f32_e32 v49, v49
	v_cvt_i32_f32_e32 v50, v51
	v_cndmask_b32_e32 v26, v54, v26, vcc
	v_cmp_ngt_f32_e32 vcc, s39, v31
	v_cmp_nlt_f32_e64 s[0:1], s40, v31
	v_ldexp_f32 v49, v49, v50
	v_cndmask_b32_e32 v31, 0, v49, vcc
	v_cmp_ngt_f32_e32 vcc, s39, v48
	v_cndmask_b32_e64 v31, v54, v31, s[0:1]
	v_perm_b32 v36, v43, v42, s42
	v_cndmask_b32_e32 v30, 0, v30, vcc
	v_cmp_nlt_f32_e32 vcc, s40, v48
	v_mul_f32_e32 v48, 0xbfd9db23, v8
	v_mul_f32_e32 v32, 0x3fb8aa3b, v48
	v_fma_f32 v33, v48, s38, -v32
	v_rndne_f32_e32 v49, v32
	v_fmac_f32_e32 v33, 0x32a5705f, v48
	v_sub_f32_e32 v32, v32, v49
	v_add_f32_e32 v32, v32, v33
	v_exp_f32_e32 v32, v32
	v_cvt_i32_f32_e32 v33, v49
	v_cndmask_b32_e32 v30, v54, v30, vcc
	v_add_f32_e32 v28, 1.0, v28
	v_add_f32_e32 v29, 1.0, v29
	v_ldexp_f32 v32, v32, v33
	v_mul_f32_e32 v33, 0xbfd9db23, v9
	v_mul_f32_e32 v49, 0x3fb8aa3b, v33
	v_fma_f32 v50, v33, s38, -v49
	v_rndne_f32_e32 v51, v49
	v_fmac_f32_e32 v50, 0x32a5705f, v33
	v_sub_f32_e32 v49, v49, v51
	v_add_f32_e32 v49, v49, v50
	v_exp_f32_e32 v49, v49
	v_cvt_i32_f32_e32 v50, v51
	v_cmp_ngt_f32_e32 vcc, s39, v33
	v_cmp_nlt_f32_e64 s[0:1], s40, v33
	v_rcp_f32_e32 v28, v28
	v_ldexp_f32 v49, v49, v50
	v_cndmask_b32_e32 v33, 0, v49, vcc
	v_cmp_ngt_f32_e32 vcc, s39, v48
	v_cndmask_b32_e64 v33, v54, v33, s[0:1]
	v_rcp_f32_e32 v29, v29
	v_cndmask_b32_e32 v32, 0, v32, vcc
	v_cmp_nlt_f32_e32 vcc, s40, v48
	v_mul_f32_e32 v48, 0xbfd9db23, v2
	v_mul_f32_e32 v46, 0x3fb8aa3b, v48
	v_fma_f32 v47, v48, s38, -v46
	v_rndne_f32_e32 v49, v46
	v_fmac_f32_e32 v47, 0x32a5705f, v48
	v_sub_f32_e32 v46, v46, v49
	v_add_f32_e32 v46, v46, v47
	v_exp_f32_e32 v46, v46
	v_cvt_i32_f32_e32 v47, v49
	v_cndmask_b32_e32 v32, v54, v32, vcc
	v_pk_mul_f32 v[28:29], v[24:25], v[28:29]
	v_add_f32_e32 v26, 1.0, v26
	v_ldexp_f32 v49, v46, v47
	v_mul_f32_e32 v46, 0xbfd9db23, v3
	v_mul_f32_e32 v47, 0x3fb8aa3b, v46
	v_fma_f32 v50, v46, s38, -v47
	v_rndne_f32_e32 v51, v47
	v_fmac_f32_e32 v50, 0x32a5705f, v46
	v_sub_f32_e32 v47, v47, v51
	v_add_f32_e32 v47, v47, v50
	v_exp_f32_e32 v47, v47
	v_cvt_i32_f32_e32 v50, v51
	v_cmp_ngt_f32_e32 vcc, s39, v46
	v_cmp_nlt_f32_e64 s[0:1], s40, v46
	v_add_f32_e32 v27, 1.0, v27
	v_ldexp_f32 v50, v47, v50
	v_pk_mul_f32 v[46:47], v[34:35], v[40:41]
	v_perm_b32 v35, v45, v44, s42
	buffer_load_dwordx4 v[38:41], v53, s[24:27], 16 offen
	v_perm_b32 v34, v47, v46, s42
	buffer_store_dwordx4 v[34:37], v53, s[8:11], 0 offen
	buffer_load_dwordx4 v[34:37], v52, s[16:19], 32 offen
	v_rcp_f32_e32 v26, v26
	v_rcp_f32_e32 v27, v27
	v_add_f32_e32 v30, 1.0, v30
	v_add_f32_e32 v31, 1.0, v31
	v_rcp_f32_e32 v30, v30
	v_rcp_f32_e32 v31, v31
	v_pk_mul_f32 v[26:27], v[22:23], v[26:27]
	v_add_f32_e32 v32, 1.0, v32
	v_add_f32_e32 v33, 1.0, v33
	v_rcp_f32_e32 v32, v32
	v_rcp_f32_e32 v33, v33
	v_min_f32_e32 v7, 0x40e00000, v7
	v_min_f32_e32 v4, 0x40e00000, v4
	;; [unrolled: 1-line block ×3, first 2 shown]
	s_waitcnt vmcnt(2)
	v_and_b32_e32 v43, 0xffff0000, v40
	v_lshlrev_b32_e32 v42, 16, v40
	v_and_b32_e32 v45, 0xffff0000, v38
	v_lshlrev_b32_e32 v44, 16, v38
	;; [unrolled: 2-line block ×4, first 2 shown]
	s_waitcnt vmcnt(0)
	v_pk_add_f32 v[40:41], v[36:37], v[40:41]
	v_pk_add_f32 v[44:45], v[34:35], v[44:45]
	buffer_load_dwordx4 v[34:37], v52, s[16:19], 48 offen
	v_cndmask_b32_e32 v38, 0, v50, vcc
	v_cmp_ngt_f32_e32 vcc, s39, v48
	v_mul_f32_e32 v50, 0xbfd9db23, v0
	v_cndmask_b32_e64 v38, v54, v38, s[0:1]
	v_cndmask_b32_e32 v39, 0, v49, vcc
	v_cmp_nlt_f32_e32 vcc, s40, v48
	s_waitcnt vmcnt(0)
	v_pk_add_f32 v[48:49], v[34:35], v[42:43]
	v_mul_f32_e32 v34, 0x3fb8aa3b, v50
	v_pk_add_f32 v[46:47], v[36:37], v[46:47]
	v_fma_f32 v35, v50, s38, -v34
	v_rndne_f32_e32 v36, v34
	v_fmac_f32_e32 v35, 0x32a5705f, v50
	v_sub_f32_e32 v34, v34, v36
	v_add_f32_e32 v34, v34, v35
	v_exp_f32_e32 v37, v34
	v_cvt_i32_f32_e32 v36, v36
	v_cndmask_b32_e32 v39, v54, v39, vcc
	v_add_f32_e32 v39, 1.0, v39
	v_add_f32_e32 v35, 1.0, v38
	v_ldexp_f32 v36, v37, v36
	v_mul_f32_e32 v37, 0xbfd9db23, v1
	v_mul_f32_e32 v38, 0x3fb8aa3b, v37
	v_rcp_f32_e32 v34, v39
	v_fma_f32 v39, v37, s38, -v38
	v_rndne_f32_e32 v42, v38
	v_fmac_f32_e32 v39, 0x32a5705f, v37
	v_sub_f32_e32 v38, v38, v42
	v_add_f32_e32 v38, v38, v39
	v_exp_f32_e32 v38, v38
	v_cvt_i32_f32_e32 v39, v42
	v_cmp_ngt_f32_e32 vcc, s39, v50
	v_med3_f32 v42, v40, s41, v55
	v_med3_f32 v40, v44, s41, v55
	v_cndmask_b32_e32 v36, 0, v36, vcc
	v_cmp_nlt_f32_e32 vcc, s40, v50
	v_ldexp_f32 v38, v38, v39
	v_min_f32_e32 v39, 0x40e00000, v15
	v_cndmask_b32_e32 v36, v54, v36, vcc
	v_cmp_ngt_f32_e32 vcc, s39, v37
	v_min_f32_e32 v15, 0x40e00000, v13
	v_min_f32_e32 v13, 0x40e00000, v17
	v_cndmask_b32_e32 v38, 0, v38, vcc
	v_cmp_nlt_f32_e32 vcc, s40, v37
	v_med3_f32 v44, v48, s41, v55
	v_med3_f32 v43, v41, s41, v55
	v_cndmask_b32_e32 v37, v54, v38, vcc
	v_min_f32_e32 v38, 0x40e00000, v14
	v_mul_f32_e32 v50, 0xbfd9db23, v38
	v_min_f32_e32 v14, 0x40e00000, v12
	v_min_f32_e32 v12, 0x40e00000, v16
	v_mul_f32_e32 v16, 0x3fb8aa3b, v50
	v_fma_f32 v17, v50, s38, -v16
	v_rndne_f32_e32 v48, v16
	v_fmac_f32_e32 v17, 0x32a5705f, v50
	v_sub_f32_e32 v16, v16, v48
	v_add_f32_e32 v16, v16, v17
	v_mul_f32_e32 v17, 0xbfd9db23, v39
	v_mul_f32_e32 v24, 0x3fb8aa3b, v17
	v_med3_f32 v41, v45, s41, v55
	v_med3_f32 v45, v49, s41, v55
	v_fma_f32 v25, v17, s38, -v24
	v_rndne_f32_e32 v49, v24
	v_fmac_f32_e32 v25, 0x32a5705f, v17
	v_sub_f32_e32 v24, v24, v49
	v_add_f32_e32 v24, v24, v25
	v_exp_f32_e32 v16, v16
	v_cvt_i32_f32_e32 v25, v48
	v_exp_f32_e32 v24, v24
	v_cmp_ngt_f32_e64 s[2:3], s39, v17
	v_cmp_nlt_f32_e64 s[4:5], s40, v17
	v_ldexp_f32 v16, v16, v25
	v_cvt_i32_f32_e32 v25, v49
	v_cmp_ngt_f32_e32 vcc, s39, v50
	v_cmp_nlt_f32_e64 s[0:1], s40, v50
	v_med3_f32 v47, v47, s41, v55
	v_ldexp_f32 v24, v24, v25
	v_mul_f32_e32 v25, 0xbfd9db23, v14
	v_mul_f32_e32 v48, 0x3fb8aa3b, v25
	v_fma_f32 v49, v25, s38, -v48
	v_rndne_f32_e32 v51, v48
	v_fmac_f32_e32 v49, 0x32a5705f, v25
	v_sub_f32_e32 v48, v48, v51
	v_add_f32_e32 v48, v48, v49
	v_cndmask_b32_e64 v17, 0, v24, s[2:3]
	v_exp_f32_e32 v24, v48
	v_cvt_i32_f32_e32 v48, v51
	v_cndmask_b32_e32 v16, 0, v16, vcc
	v_cndmask_b32_e64 v16, v54, v16, s[0:1]
	v_cmp_ngt_f32_e32 vcc, s39, v25
	v_ldexp_f32 v24, v24, v48
	v_mul_f32_e32 v48, 0xbfd9db23, v15
	v_mul_f32_e32 v49, 0x3fb8aa3b, v48
	v_fma_f32 v50, v48, s38, -v49
	v_rndne_f32_e32 v51, v49
	v_fmac_f32_e32 v50, 0x32a5705f, v48
	v_sub_f32_e32 v49, v49, v51
	v_add_f32_e32 v49, v49, v50
	v_cmp_nlt_f32_e64 s[0:1], s40, v25
	v_exp_f32_e32 v25, v49
	v_cvt_i32_f32_e32 v49, v51
	v_mul_f32_e32 v50, 0xbfd9db23, v12
	v_cndmask_b32_e32 v24, 0, v24, vcc
	v_mul_f32_e32 v22, 0x3fb8aa3b, v50
	v_ldexp_f32 v25, v25, v49
	v_cndmask_b32_e64 v24, v54, v24, s[0:1]
	v_cmp_ngt_f32_e32 vcc, s39, v48
	v_cmp_nlt_f32_e64 s[0:1], s40, v48
	v_fma_f32 v23, v50, s38, -v22
	v_rndne_f32_e32 v51, v22
	v_pk_mul_f32 v[48:49], v[18:19], v[30:31]
	v_mul_f32_e32 v18, 0xbfd9db23, v13
	v_fmac_f32_e32 v23, 0x32a5705f, v50
	v_sub_f32_e32 v22, v22, v51
	v_mul_f32_e32 v19, 0x3fb8aa3b, v18
	v_add_f32_e32 v22, v22, v23
	v_fma_f32 v23, v18, s38, -v19
	v_rndne_f32_e32 v30, v19
	v_fmac_f32_e32 v23, 0x32a5705f, v18
	v_sub_f32_e32 v19, v19, v30
	v_add_f32_e32 v19, v19, v23
	v_exp_f32_e32 v22, v22
	v_cvt_i32_f32_e32 v23, v51
	v_exp_f32_e32 v19, v19
	v_cndmask_b32_e32 v25, 0, v25, vcc
	v_cmp_ngt_f32_e32 vcc, s39, v50
	v_ldexp_f32 v22, v22, v23
	v_cvt_i32_f32_e32 v23, v30
	v_cndmask_b32_e64 v17, v54, v17, s[4:5]
	v_cmp_ngt_f32_e64 s[2:3], s39, v18
	v_cmp_nlt_f32_e64 s[4:5], s40, v18
	v_ldexp_f32 v19, v19, v23
	v_mul_f32_e32 v23, 0xbfd9db23, v10
	v_mul_f32_e32 v30, 0x3fb8aa3b, v23
	v_fma_f32 v31, v23, s38, -v30
	v_rndne_f32_e32 v51, v30
	v_fmac_f32_e32 v31, 0x32a5705f, v23
	v_sub_f32_e32 v30, v30, v51
	v_add_f32_e32 v30, v30, v31
	v_cndmask_b32_e32 v18, 0, v22, vcc
	v_exp_f32_e32 v22, v30
	v_cvt_i32_f32_e32 v30, v51
	v_cndmask_b32_e64 v25, v54, v25, s[0:1]
	v_cmp_nlt_f32_e64 s[0:1], s40, v50
	v_cmp_ngt_f32_e32 vcc, s39, v23
	v_ldexp_f32 v22, v22, v30
	v_mul_f32_e32 v30, 0xbfd9db23, v11
	v_mul_f32_e32 v31, 0x3fb8aa3b, v30
	v_fma_f32 v50, v30, s38, -v31
	v_rndne_f32_e32 v51, v31
	v_fmac_f32_e32 v50, 0x32a5705f, v30
	v_sub_f32_e32 v31, v31, v51
	v_add_f32_e32 v31, v31, v50
	v_cndmask_b32_e64 v18, v54, v18, s[0:1]
	v_cmp_nlt_f32_e64 s[0:1], s40, v23
	v_exp_f32_e32 v23, v31
	v_cvt_i32_f32_e32 v31, v51
	v_cndmask_b32_e32 v22, 0, v22, vcc
	v_mul_f32_e32 v50, 0xbfd9db23, v6
	v_cndmask_b32_e64 v22, v54, v22, s[0:1]
	v_ldexp_f32 v23, v23, v31
	v_cmp_ngt_f32_e32 vcc, s39, v30
	v_cmp_nlt_f32_e64 s[0:1], s40, v30
	v_pk_mul_f32 v[30:31], v[8:9], v[32:33]
	v_mul_f32_e32 v8, 0x3fb8aa3b, v50
	v_fma_f32 v9, v50, s38, -v8
	v_rndne_f32_e32 v32, v8
	v_fmac_f32_e32 v9, 0x32a5705f, v50
	v_sub_f32_e32 v8, v8, v32
	v_add_f32_e32 v8, v8, v9
	v_exp_f32_e32 v8, v8
	v_cvt_i32_f32_e32 v9, v32
	v_cndmask_b32_e32 v23, 0, v23, vcc
	v_cndmask_b32_e64 v23, v54, v23, s[0:1]
	v_med3_f32 v46, v46, s41, v55
	v_ldexp_f32 v8, v8, v9
	v_mul_f32_e32 v9, 0xbfd9db23, v7
	v_mul_f32_e32 v32, 0x3fb8aa3b, v9
	v_fma_f32 v33, v9, s38, -v32
	v_rndne_f32_e32 v51, v32
	v_fmac_f32_e32 v33, 0x32a5705f, v9
	v_sub_f32_e32 v32, v32, v51
	v_add_f32_e32 v32, v32, v33
	v_exp_f32_e32 v32, v32
	v_cvt_i32_f32_e32 v33, v51
	v_cmp_ngt_f32_e32 vcc, s39, v9
	v_cmp_nlt_f32_e64 s[0:1], s40, v9
	v_pk_add_f32 v[42:43], v[42:43], 1.0 op_sel_hi:[1,0]
	v_ldexp_f32 v32, v32, v33
	v_cndmask_b32_e32 v9, 0, v32, vcc
	v_mul_f32_e32 v32, 0xbfd9db23, v4
	v_cmp_ngt_f32_e32 vcc, s39, v50
	v_mul_f32_e32 v33, 0x3fb8aa3b, v32
	v_rndne_f32_e32 v51, v33
	v_cndmask_b32_e32 v8, 0, v8, vcc
	v_cmp_nlt_f32_e32 vcc, s40, v50
	v_fma_f32 v50, v32, s38, -v33
	v_fmac_f32_e32 v50, 0x32a5705f, v32
	v_sub_f32_e32 v33, v33, v51
	v_add_f32_e32 v33, v33, v50
	v_exp_f32_e32 v33, v33
	v_cvt_i32_f32_e32 v50, v51
	v_cndmask_b32_e32 v8, v54, v8, vcc
	v_cndmask_b32_e64 v9, v54, v9, s[0:1]
	v_cmp_ngt_f32_e32 vcc, s39, v32
	v_ldexp_f32 v50, v33, v50
	v_cmp_nlt_f32_e64 s[0:1], s40, v32
	v_pk_add_f32 v[32:33], v[46:47], 1.0 op_sel_hi:[1,0]
	v_pk_add_f32 v[44:45], v[44:45], 1.0 op_sel_hi:[1,0]
	;; [unrolled: 1-line block ×3, first 2 shown]
	v_pk_mul_f32 v[26:27], v[42:43], v[26:27]
	v_pk_mul_f32 v[42:43], v[32:33], v[30:31]
	buffer_load_dwordx4 v[30:33], v53, s[24:27], 32 offen
	v_pk_mul_f32 v[46:47], v[40:41], v[28:29]
	v_pk_mul_f32 v[40:41], v[44:45], v[48:49]
	v_perm_b32 v29, v43, v42, s42
	v_perm_b32 v28, v41, v40, s42
	buffer_load_dwordx4 v[40:43], v52, s[16:19], 64 offen
	v_perm_b32 v27, v27, v26, s42
	v_perm_b32 v26, v47, v46, s42
	buffer_store_dwordx4 v[26:29], v53, s[8:11], 16 offen
	buffer_load_dwordx4 v[26:29], v52, s[16:19], s35 offen
	v_mul_f32_e32 v51, 0xbfd9db23, v5
	v_add_f32_e32 v36, 1.0, v36
	v_add_f32_e32 v37, 1.0, v37
	v_rcp_f32_e32 v35, v35
	v_rcp_f32_e32 v36, v36
	;; [unrolled: 1-line block ×3, first 2 shown]
	v_add_f32_e32 v16, 1.0, v16
	v_pk_mul_f32 v[34:35], v[2:3], v[34:35]
	v_add_f32_e32 v17, 1.0, v17
	v_pk_mul_f32 v[36:37], v[0:1], v[36:37]
	buffer_load_dwordx4 v[0:3], v52, s[16:19], s37 offen
	v_rcp_f32_e32 v16, v16
	v_rcp_f32_e32 v17, v17
	v_add_f32_e32 v24, 1.0, v24
	v_add_f32_e32 v25, 1.0, v25
	v_rcp_f32_e32 v24, v24
	v_rcp_f32_e32 v25, v25
	v_pk_mul_f32 v[16:17], v[38:39], v[16:17]
	v_cndmask_b32_e32 v38, 0, v50, vcc
	v_cmp_ngt_f32_e32 vcc, s39, v51
	v_cndmask_b32_e64 v19, 0, v19, s[2:3]
	v_cndmask_b32_e64 v38, v54, v38, s[0:1]
	v_cmp_nlt_f32_e64 s[0:1], s40, v51
	v_cndmask_b32_e64 v19, v54, v19, s[4:5]
	v_pk_mul_f32 v[14:15], v[14:15], v[24:25]
	v_add_f32_e32 v18, 1.0, v18
	v_add_f32_e32 v19, 1.0, v19
	;; [unrolled: 1-line block ×7, first 2 shown]
	v_rcp_f32_e32 v18, v18
	v_rcp_f32_e32 v19, v19
	;; [unrolled: 1-line block ×7, first 2 shown]
	v_pk_mul_f32 v[12:13], v[12:13], v[18:19]
	v_pk_mul_f32 v[10:11], v[10:11], v[22:23]
	v_pk_mul_f32 v[6:7], v[6:7], v[8:9]
	s_waitcnt vmcnt(4)
	v_and_b32_e32 v45, 0xffff0000, v32
	v_lshlrev_b32_e32 v44, 16, v32
	v_and_b32_e32 v47, 0xffff0000, v30
	v_lshlrev_b32_e32 v46, 16, v30
	;; [unrolled: 2-line block ×4, first 2 shown]
	s_waitcnt vmcnt(3)
	v_pk_add_f32 v[30:31], v[42:43], v[32:33]
	v_pk_add_f32 v[32:33], v[40:41], v[46:47]
	v_mul_f32_e32 v40, 0x3fb8aa3b, v51
	v_fma_f32 v41, v51, s38, -v40
	v_rndne_f32_e32 v42, v40
	v_fmac_f32_e32 v41, 0x32a5705f, v51
	v_sub_f32_e32 v40, v40, v42
	v_add_f32_e32 v40, v40, v41
	v_exp_f32_e32 v46, v40
	v_cvt_i32_f32_e32 v47, v42
	s_waitcnt vmcnt(1)
	v_pk_add_f32 v[40:41], v[28:29], v[48:49]
	v_pk_add_f32 v[42:43], v[26:27], v[44:45]
	buffer_load_dwordx4 v[26:29], v53, s[24:27], 48 offen
	v_ldexp_f32 v48, v46, v47
	v_med3_f32 v45, v31, s41, v55
	v_med3_f32 v44, v30, s41, v55
	;; [unrolled: 1-line block ×4, first 2 shown]
	buffer_load_dwordx4 v[30:33], v52, s[16:19], s36 offen
	v_med3_f32 v41, v41, s41, v55
	v_med3_f32 v40, v40, s41, v55
	v_med3_f32 v43, v43, s41, v55
	v_med3_f32 v42, v42, s41, v55
	v_cndmask_b32_e32 v39, 0, v48, vcc
	v_cndmask_b32_e64 v39, v54, v39, s[0:1]
	v_pk_add_f32 v[40:41], v[40:41], 1.0 op_sel_hi:[1,0]
	v_pk_add_f32 v[44:45], v[44:45], 1.0 op_sel_hi:[1,0]
	;; [unrolled: 1-line block ×4, first 2 shown]
	v_add_f32_e32 v39, 1.0, v39
	v_pk_mul_f32 v[24:25], v[44:45], v[36:37]
	v_pk_mul_f32 v[14:15], v[40:41], v[14:15]
	;; [unrolled: 1-line block ×4, first 2 shown]
	v_rcp_f32_e32 v39, v39
	v_perm_b32 v17, v15, v14, s42
	v_perm_b32 v15, v25, v24, s42
	;; [unrolled: 1-line block ×4, first 2 shown]
	buffer_store_dwordx4 v[14:17], v53, s[8:11], 32 offen
	v_pk_mul_f32 v[4:5], v[4:5], v[38:39]
	v_cmp_le_i64_e32 vcc, s[6:7], v[20:21]
	v_add_u32_e32 v52, s33, v52
	s_or_b64 s[30:31], vcc, s[30:31]
	s_waitcnt vmcnt(2)
	v_and_b32_e32 v15, 0xffff0000, v28
	v_lshlrev_b32_e32 v14, 16, v28
	v_and_b32_e32 v17, 0xffff0000, v26
	v_lshlrev_b32_e32 v16, 16, v26
	;; [unrolled: 2-line block ×4, first 2 shown]
	s_waitcnt vmcnt(1)
	v_pk_add_f32 v[26:27], v[32:33], v[28:29]
	v_pk_add_f32 v[2:3], v[2:3], v[24:25]
	;; [unrolled: 1-line block ×4, first 2 shown]
	v_med3_f32 v15, v27, s41, v55
	v_med3_f32 v14, v26, s41, v55
	;; [unrolled: 1-line block ×8, first 2 shown]
	v_pk_add_f32 v[2:3], v[2:3], 1.0 op_sel_hi:[1,0]
	v_pk_add_f32 v[14:15], v[14:15], 1.0 op_sel_hi:[1,0]
	;; [unrolled: 1-line block ×4, first 2 shown]
	v_pk_mul_f32 v[8:9], v[14:15], v[10:11]
	v_pk_mul_f32 v[2:3], v[2:3], v[4:5]
	;; [unrolled: 1-line block ×4, first 2 shown]
	v_perm_b32 v3, v3, v2, s42
	v_perm_b32 v1, v9, v8, s42
	;; [unrolled: 1-line block ×4, first 2 shown]
	buffer_store_dwordx4 v[0:3], v53, s[8:11], 48 offen
	v_add_u32_e32 v53, s34, v53
	s_andn2_b64 exec, exec, s[30:31]
	s_cbranch_execnz .LBB292_8
.LBB292_9:
	s_endpgm
	.section	.rodata,"a",@progbits
	.p2align	6, 0x0
	.amdhsa_kernel _ZN5aiter30swiglu_act_and_mul_bias_kernelIttsfLi32EEEvPT0_PKT_PKT1_PKT2_il
		.amdhsa_group_segment_fixed_size 0
		.amdhsa_private_segment_fixed_size 0
		.amdhsa_kernarg_size 304
		.amdhsa_user_sgpr_count 2
		.amdhsa_user_sgpr_dispatch_ptr 0
		.amdhsa_user_sgpr_queue_ptr 0
		.amdhsa_user_sgpr_kernarg_segment_ptr 1
		.amdhsa_user_sgpr_dispatch_id 0
		.amdhsa_user_sgpr_kernarg_preload_length 0
		.amdhsa_user_sgpr_kernarg_preload_offset 0
		.amdhsa_user_sgpr_private_segment_size 0
		.amdhsa_uses_dynamic_stack 0
		.amdhsa_enable_private_segment 0
		.amdhsa_system_sgpr_workgroup_id_x 1
		.amdhsa_system_sgpr_workgroup_id_y 0
		.amdhsa_system_sgpr_workgroup_id_z 0
		.amdhsa_system_sgpr_workgroup_info 0
		.amdhsa_system_vgpr_workitem_id 0
		.amdhsa_next_free_vgpr 60
		.amdhsa_next_free_sgpr 43
		.amdhsa_accum_offset 60
		.amdhsa_reserve_vcc 1
		.amdhsa_float_round_mode_32 0
		.amdhsa_float_round_mode_16_64 0
		.amdhsa_float_denorm_mode_32 3
		.amdhsa_float_denorm_mode_16_64 3
		.amdhsa_dx10_clamp 1
		.amdhsa_ieee_mode 1
		.amdhsa_fp16_overflow 0
		.amdhsa_tg_split 0
		.amdhsa_exception_fp_ieee_invalid_op 0
		.amdhsa_exception_fp_denorm_src 0
		.amdhsa_exception_fp_ieee_div_zero 0
		.amdhsa_exception_fp_ieee_overflow 0
		.amdhsa_exception_fp_ieee_underflow 0
		.amdhsa_exception_fp_ieee_inexact 0
		.amdhsa_exception_int_div_zero 0
	.end_amdhsa_kernel
	.section	.text._ZN5aiter30swiglu_act_and_mul_bias_kernelIttsfLi32EEEvPT0_PKT_PKT1_PKT2_il,"axG",@progbits,_ZN5aiter30swiglu_act_and_mul_bias_kernelIttsfLi32EEEvPT0_PKT_PKT1_PKT2_il,comdat
.Lfunc_end292:
	.size	_ZN5aiter30swiglu_act_and_mul_bias_kernelIttsfLi32EEEvPT0_PKT_PKT1_PKT2_il, .Lfunc_end292-_ZN5aiter30swiglu_act_and_mul_bias_kernelIttsfLi32EEEvPT0_PKT_PKT1_PKT2_il
                                        ; -- End function
	.section	.AMDGPU.csdata,"",@progbits
; Kernel info:
; codeLenInByte = 5512
; NumSgprs: 49
; NumVgprs: 60
; NumAgprs: 0
; TotalNumVgprs: 60
; ScratchSize: 0
; MemoryBound: 0
; FloatMode: 240
; IeeeMode: 1
; LDSByteSize: 0 bytes/workgroup (compile time only)
; SGPRBlocks: 6
; VGPRBlocks: 7
; NumSGPRsForWavesPerEU: 49
; NumVGPRsForWavesPerEU: 60
; AccumOffset: 60
; Occupancy: 8
; WaveLimiterHint : 0
; COMPUTE_PGM_RSRC2:SCRATCH_EN: 0
; COMPUTE_PGM_RSRC2:USER_SGPR: 2
; COMPUTE_PGM_RSRC2:TRAP_HANDLER: 0
; COMPUTE_PGM_RSRC2:TGID_X_EN: 1
; COMPUTE_PGM_RSRC2:TGID_Y_EN: 0
; COMPUTE_PGM_RSRC2:TGID_Z_EN: 0
; COMPUTE_PGM_RSRC2:TIDIG_COMP_CNT: 0
; COMPUTE_PGM_RSRC3_GFX90A:ACCUM_OFFSET: 14
; COMPUTE_PGM_RSRC3_GFX90A:TG_SPLIT: 0
	.section	.text._ZN5aiter30swiglu_act_and_mul_bias_kernelIttsfLi16EEEvPT0_PKT_PKT1_PKT2_il,"axG",@progbits,_ZN5aiter30swiglu_act_and_mul_bias_kernelIttsfLi16EEEvPT0_PKT_PKT1_PKT2_il,comdat
	.protected	_ZN5aiter30swiglu_act_and_mul_bias_kernelIttsfLi16EEEvPT0_PKT_PKT1_PKT2_il ; -- Begin function _ZN5aiter30swiglu_act_and_mul_bias_kernelIttsfLi16EEEvPT0_PKT_PKT1_PKT2_il
	.globl	_ZN5aiter30swiglu_act_and_mul_bias_kernelIttsfLi16EEEvPT0_PKT_PKT1_PKT2_il
	.p2align	8
	.type	_ZN5aiter30swiglu_act_and_mul_bias_kernelIttsfLi16EEEvPT0_PKT_PKT1_PKT2_il,@function
_ZN5aiter30swiglu_act_and_mul_bias_kernelIttsfLi16EEEvPT0_PKT_PKT1_PKT2_il: ; @_ZN5aiter30swiglu_act_and_mul_bias_kernelIttsfLi16EEEvPT0_PKT_PKT1_PKT2_il
; %bb.0:
	s_load_dword s20, s[0:1], 0x20
	s_load_dwordx2 s[4:5], s[0:1], 0x10
	s_load_dwordx2 s[6:7], s[0:1], 0x28
	s_mov_b32 s3, 0
	s_lshl_b64 s[8:9], s[2:3], 1
	s_waitcnt lgkmcnt(0)
	s_ashr_i32 s21, s20, 31
	s_add_u32 s4, s4, s8
	s_addc_u32 s5, s5, s9
	v_mov_b32_e32 v1, 0
	global_load_ushort v1, v1, s[4:5]
	s_mul_hi_u32 s3, s20, s2
	v_mov_b64_e32 v[2:3], s[6:7]
	s_mul_i32 s6, s21, s2
	s_add_i32 s7, s20, 1
	s_add_i32 s9, s3, s6
	s_lshr_b32 s3, s7, 31
	s_load_dwordx2 s[4:5], s[0:1], 0x0
	s_add_i32 s7, s7, s3
	s_lshl_b32 s3, s7, 1
	s_mul_i32 s8, s20, s2
	s_and_b32 s6, s3, -4
	s_lshl_b64 s[12:13], s[8:9], 1
	s_mov_b64 s[10:11], -1
	v_lshlrev_b32_e32 v32, 4, v0
	s_waitcnt vmcnt(0)
	v_readfirstlane_b32 s3, v1
	s_sext_i32_i16 s8, s3
	s_ashr_i32 s9, s8, 31
	s_waitcnt lgkmcnt(0)
	s_add_u32 s4, s4, s12
	s_addc_u32 s3, s5, s13
	s_and_b32 s5, s3, 0xffff
	s_cmp_gt_i32 s8, -1
	v_cmp_lt_i64_e32 vcc, s[8:9], v[2:3]
	s_cselect_b64 s[12:13], -1, 0
	s_and_b64 s[12:13], s[12:13], vcc
	s_and_b64 vcc, exec, s[12:13]
	s_cbranch_vccnz .LBB293_5
; %bb.1:
	v_cmp_gt_i32_e32 vcc, s20, v32
	s_and_saveexec_b64 s[10:11], vcc
	s_cbranch_execz .LBB293_4
; %bb.2:
	s_load_dword s3, s[0:1], 0x3c
	s_mov_b32 s13, 0
	s_mov_b32 s16, s13
	;; [unrolled: 1-line block ×3, first 2 shown]
	v_mov_b32_e32 v33, 0
	s_waitcnt lgkmcnt(0)
	s_and_b32 s3, s3, 0xffff
	s_mov_b32 s18, s13
	s_mov_b32 s19, s13
	v_mov_b64_e32 v[2:3], s[16:17]
	v_lshlrev_b32_e32 v1, 5, v0
	s_lshl_b32 s12, s3, 4
	s_lshl_b32 s3, s3, 5
	s_mov_b64 s[14:15], 0
	s_mov_b32 s7, 0x20000
	v_mov_b64_e32 v[4:5], s[18:19]
	v_mov_b64_e32 v[6:7], v[32:33]
.LBB293_3:                              ; =>This Inner Loop Header: Depth=1
	v_lshl_add_u64 v[6:7], s[12:13], 0, v[6:7]
	v_cmp_le_i64_e32 vcc, s[20:21], v[6:7]
	buffer_store_dwordx4 v[2:5], v1, s[4:7], 0 offen
	buffer_store_dwordx4 v[2:5], v1, s[4:7], 16 offen
	s_or_b64 s[14:15], vcc, s[14:15]
	v_add_u32_e32 v1, s3, v1
	s_andn2_b64 exec, exec, s[14:15]
	s_cbranch_execnz .LBB293_3
.LBB293_4:
	s_or_b64 exec, exec, s[10:11]
	s_mov_b64 s[10:11], 0
.LBB293_5:
	s_andn2_b64 vcc, exec, s[10:11]
	s_cbranch_vccnz .LBB293_9
; %bb.6:
	v_cmp_gt_i32_e32 vcc, s20, v32
	s_and_saveexec_b64 s[10:11], vcc
	s_cbranch_execz .LBB293_9
; %bb.7:
	s_load_dwordx2 s[12:13], s[0:1], 0x8
	s_load_dwordx2 s[10:11], s[0:1], 0x18
	s_mul_hi_i32 s9, s20, s8
	s_mul_i32 s8, s20, s8
	s_lshl_b64 s[8:9], s[8:9], 3
	s_load_dword s14, s[0:1], 0x3c
	s_waitcnt lgkmcnt(0)
	s_add_u32 s8, s10, s8
	s_addc_u32 s3, s11, s9
	s_lshl_b64 s[0:1], s[20:21], 2
	s_add_u32 s0, s8, s0
	s_addc_u32 s1, s3, s1
	s_and_b32 s9, s3, 0xffff
	s_mul_i32 s3, s2, s21
	s_mul_hi_u32 s15, s2, s20
	s_add_i32 s3, s15, s3
	s_mul_i32 s2, s2, s20
	s_lshl_b32 s10, s20, 2
	s_and_b32 s1, s1, 0xffff
	s_lshl_b64 s[2:3], s[2:3], 2
	s_add_u32 s12, s12, s2
	s_addc_u32 s13, s13, s3
	s_lshl_b64 s[2:3], s[20:21], 1
	s_add_u32 s16, s12, s2
	s_addc_u32 s2, s13, s3
	s_mov_b32 s7, 0x20000
	s_and_b32 s17, s2, 0xffff
	s_and_b32 s2, s14, 0xffff
	s_mov_b32 s11, s7
	s_and_b32 s13, s13, 0xffff
	s_mov_b32 s23, 0
	v_mov_b32_e32 v33, 0
	s_lshl_b32 s22, s2, 4
	v_lshlrev_b32_e32 v40, 6, v0
	s_lshl_b32 s26, s2, 6
	v_lshlrev_b32_e32 v41, 5, v0
	s_lshl_b32 s27, s2, 5
	s_mov_b64 s[24:25], 0
	s_mov_b32 s19, s7
	s_mov_b32 s18, s6
	;; [unrolled: 1-line block ×5, first 2 shown]
	v_mov_b32_e32 v42, 0x7f800000
	s_mov_b32 s31, 0xc0e00000
	v_mov_b32_e32 v43, 0x40e00000
	s_mov_b32 s33, 0x7060302
	s_mov_b32 s14, s6
	;; [unrolled: 1-line block ×3, first 2 shown]
.LBB293_8:                              ; =>This Inner Loop Header: Depth=1
	buffer_load_dwordx4 v[20:23], v41, s[12:15], 0 offen
	buffer_load_dwordx4 v[28:31], v40, s[8:11], 0 offen
	;; [unrolled: 1-line block ×8, first 2 shown]
	s_mov_b32 s2, s10
	s_mov_b32 s3, s11
	v_lshl_add_u64 v[32:33], s[22:23], 0, v[32:33]
	s_waitcnt vmcnt(7)
	v_and_b32_e32 v35, 0xffff0000, v20
	v_lshlrev_b32_e32 v34, 16, v20
	v_and_b32_e32 v37, 0xffff0000, v21
	v_lshlrev_b32_e32 v36, 16, v21
	;; [unrolled: 2-line block ×3, first 2 shown]
	s_waitcnt vmcnt(6)
	v_pk_add_f32 v[28:29], v[28:29], v[34:35]
	v_pk_add_f32 v[30:31], v[30:31], v[36:37]
	s_waitcnt vmcnt(5)
	v_pk_add_f32 v[36:37], v[24:25], v[20:21]
	v_min_f32_e32 v20, 0x40e00000, v28
	v_min_f32_e32 v21, 0x40e00000, v29
	v_mul_f32_e32 v22, 0xbfd9db23, v20
	v_min_f32_e32 v24, 0x40e00000, v30
	v_mul_f32_e32 v29, 0xbfd9db23, v21
	v_mul_f32_e32 v34, 0x3fb8aa3b, v22
	v_min_f32_e32 v25, 0x40e00000, v31
	v_mul_f32_e32 v30, 0xbfd9db23, v24
	v_mul_f32_e32 v35, 0x3fb8aa3b, v29
	v_fma_f32 v45, v22, s28, -v34
	v_rndne_f32_e32 v46, v34
	v_mul_f32_e32 v31, 0xbfd9db23, v25
	v_mul_f32_e32 v38, 0x3fb8aa3b, v30
	v_fma_f32 v47, v29, s28, -v35
	v_rndne_f32_e32 v48, v35
	v_fmac_f32_e32 v45, 0x32a5705f, v22
	v_sub_f32_e32 v34, v34, v46
	v_mul_f32_e32 v39, 0x3fb8aa3b, v31
	v_fma_f32 v49, v30, s28, -v38
	v_rndne_f32_e32 v50, v38
	v_add_f32_e32 v34, v34, v45
	v_fmac_f32_e32 v47, 0x32a5705f, v29
	v_sub_f32_e32 v35, v35, v48
	v_fma_f32 v51, v31, s28, -v39
	v_rndne_f32_e32 v52, v39
	v_add_f32_e32 v35, v35, v47
	v_cvt_i32_f32_e32 v46, v46
	v_fmac_f32_e32 v49, 0x32a5705f, v30
	v_sub_f32_e32 v38, v38, v50
	v_exp_f32_e32 v34, v34
	v_cvt_i32_f32_e32 v48, v48
	v_fmac_f32_e32 v51, 0x32a5705f, v31
	v_sub_f32_e32 v39, v39, v52
	v_add_f32_e32 v38, v38, v49
	v_exp_f32_e32 v35, v35
	v_cvt_i32_f32_e32 v50, v50
	v_add_f32_e32 v39, v39, v51
	v_exp_f32_e32 v38, v38
	v_cvt_i32_f32_e32 v52, v52
	v_exp_f32_e32 v39, v39
	v_ldexp_f32 v34, v34, v46
	v_cmp_ngt_f32_e32 vcc, s29, v22
	v_ldexp_f32 v35, v35, v48
	v_min_f32_e32 v28, 0x40e00000, v36
	v_cndmask_b32_e32 v34, 0, v34, vcc
	v_cmp_ngt_f32_e32 vcc, s29, v29
	v_ldexp_f32 v38, v38, v50
	v_mul_f32_e32 v36, 0xbfd9db23, v28
	v_cndmask_b32_e32 v35, 0, v35, vcc
	v_cmp_ngt_f32_e32 vcc, s29, v30
	v_ldexp_f32 v39, v39, v52
	v_mul_f32_e32 v44, 0x3fb8aa3b, v36
	v_cndmask_b32_e32 v38, 0, v38, vcc
	v_cmp_ngt_f32_e32 vcc, s29, v31
	v_fma_f32 v45, v36, s28, -v44
	v_rndne_f32_e32 v47, v44
	v_cndmask_b32_e32 v39, 0, v39, vcc
	v_cmp_nlt_f32_e32 vcc, s30, v22
	v_fmac_f32_e32 v45, 0x32a5705f, v36
	v_sub_f32_e32 v44, v44, v47
	v_cndmask_b32_e32 v22, v42, v34, vcc
	v_cmp_nlt_f32_e32 vcc, s30, v29
	v_add_f32_e32 v44, v44, v45
	v_cvt_i32_f32_e32 v47, v47
	v_cndmask_b32_e32 v29, v42, v35, vcc
	v_cmp_nlt_f32_e32 vcc, s30, v30
	v_exp_f32_e32 v44, v44
	v_add_f32_e32 v29, 1.0, v29
	v_cndmask_b32_e32 v30, v42, v38, vcc
	v_cmp_nlt_f32_e32 vcc, s30, v31
	v_add_f32_e32 v22, 1.0, v22
	v_add_f32_e32 v34, 1.0, v30
	v_cndmask_b32_e32 v31, v42, v39, vcc
	v_add_f32_e32 v35, 1.0, v31
	v_rcp_f32_e32 v31, v29
	v_min_f32_e32 v29, 0x40e00000, v37
	v_mul_f32_e32 v37, 0xbfd9db23, v29
	v_mul_f32_e32 v38, 0x3fb8aa3b, v37
	v_rcp_f32_e32 v30, v22
	v_ldexp_f32 v22, v44, v47
	v_fma_f32 v39, v37, s28, -v38
	v_rndne_f32_e32 v44, v38
	v_fmac_f32_e32 v39, 0x32a5705f, v37
	v_sub_f32_e32 v38, v38, v44
	v_add_f32_e32 v38, v38, v39
	v_exp_f32_e32 v38, v38
	v_cvt_i32_f32_e32 v39, v44
	v_cmp_ngt_f32_e32 vcc, s29, v36
	s_waitcnt vmcnt(3)
	v_and_b32_e32 v49, 0xffff0000, v6
	v_and_b32_e32 v51, 0xffff0000, v4
	v_cndmask_b32_e32 v22, 0, v22, vcc
	v_cmp_nlt_f32_e32 vcc, s30, v36
	v_ldexp_f32 v36, v38, v39
	v_lshlrev_b32_e32 v50, 16, v4
	v_cndmask_b32_e32 v22, v42, v22, vcc
	v_cmp_ngt_f32_e32 vcc, s29, v37
	v_and_b32_e32 v53, 0xffff0000, v7
	v_lshlrev_b32_e32 v52, 16, v7
	v_cndmask_b32_e32 v36, 0, v36, vcc
	v_cmp_nlt_f32_e32 vcc, s30, v37
	v_and_b32_e32 v37, 0xffff0000, v23
	v_and_b32_e32 v55, 0xffff0000, v5
	v_cndmask_b32_e32 v38, v42, v36, vcc
	v_lshlrev_b32_e32 v36, 16, v23
	v_pk_add_f32 v[26:27], v[26:27], v[36:37]
	v_lshlrev_b32_e32 v54, 16, v5
	v_min_f32_e32 v26, 0x40e00000, v26
	v_mul_f32_e32 v36, 0xbfd9db23, v26
	v_mul_f32_e32 v23, 0x3fb8aa3b, v36
	v_fma_f32 v37, v36, s28, -v23
	v_rndne_f32_e32 v39, v23
	v_fmac_f32_e32 v37, 0x32a5705f, v36
	v_sub_f32_e32 v23, v23, v39
	v_add_f32_e32 v23, v23, v37
	v_exp_f32_e32 v37, v23
	v_cvt_i32_f32_e32 v39, v39
	v_min_f32_e32 v27, 0x40e00000, v27
	v_add_f32_e32 v23, 1.0, v38
	v_mul_f32_e32 v38, 0xbfd9db23, v27
	v_ldexp_f32 v37, v37, v39
	v_mul_f32_e32 v39, 0x3fb8aa3b, v38
	v_fma_f32 v44, v38, s28, -v39
	v_rndne_f32_e32 v45, v39
	v_fmac_f32_e32 v44, 0x32a5705f, v38
	v_sub_f32_e32 v39, v39, v45
	v_add_f32_e32 v39, v39, v44
	v_exp_f32_e32 v39, v39
	v_cvt_i32_f32_e32 v44, v45
	v_cmp_ngt_f32_e32 vcc, s29, v36
	v_add_f32_e32 v22, 1.0, v22
	v_rcp_f32_e32 v34, v34
	v_cndmask_b32_e32 v37, 0, v37, vcc
	v_cmp_nlt_f32_e32 vcc, s30, v36
	v_rcp_f32_e32 v35, v35
	v_rcp_f32_e32 v22, v22
	v_cndmask_b32_e32 v36, v42, v37, vcc
	v_ldexp_f32 v37, v39, v44
	v_cmp_ngt_f32_e32 vcc, s29, v38
	v_and_b32_e32 v39, 0xffff0000, v8
	v_add_f32_e32 v36, 1.0, v36
	v_cndmask_b32_e32 v37, 0, v37, vcc
	v_cmp_nlt_f32_e32 vcc, s30, v38
	v_lshlrev_b32_e32 v38, 16, v8
	s_waitcnt vmcnt(1)
	v_pk_add_f32 v[16:17], v[16:17], v[38:39]
	v_cndmask_b32_e32 v37, v42, v37, vcc
	v_min_f32_e32 v16, 0x40e00000, v16
	v_mul_f32_e32 v8, 0xbfd9db23, v16
	v_mul_f32_e32 v38, 0x3fb8aa3b, v8
	v_fma_f32 v39, v8, s28, -v38
	v_rndne_f32_e32 v44, v38
	v_fmac_f32_e32 v39, 0x32a5705f, v8
	v_sub_f32_e32 v38, v38, v44
	v_add_f32_e32 v38, v38, v39
	v_exp_f32_e32 v38, v38
	v_cvt_i32_f32_e32 v39, v44
	v_min_f32_e32 v17, 0x40e00000, v17
	v_cmp_ngt_f32_e32 vcc, s29, v8
	v_add_f32_e32 v37, 1.0, v37
	v_ldexp_f32 v38, v38, v39
	v_mul_f32_e32 v39, 0xbfd9db23, v17
	v_mul_f32_e32 v44, 0x3fb8aa3b, v39
	v_fma_f32 v45, v39, s28, -v44
	v_rndne_f32_e32 v46, v44
	v_fmac_f32_e32 v45, 0x32a5705f, v39
	v_sub_f32_e32 v44, v44, v46
	v_add_f32_e32 v44, v44, v45
	v_exp_f32_e32 v44, v44
	v_cvt_i32_f32_e32 v45, v46
	v_cndmask_b32_e32 v38, 0, v38, vcc
	v_cmp_nlt_f32_e32 vcc, s30, v8
	v_rcp_f32_e32 v23, v23
	v_rcp_f32_e32 v36, v36
	v_cndmask_b32_e32 v8, v42, v38, vcc
	v_ldexp_f32 v38, v44, v45
	v_cmp_ngt_f32_e32 vcc, s29, v39
	v_rcp_f32_e32 v37, v37
	v_pk_mul_f32 v[20:21], v[20:21], v[30:31]
	v_cndmask_b32_e32 v38, 0, v38, vcc
	v_cmp_nlt_f32_e32 vcc, s30, v39
	v_and_b32_e32 v39, 0xffff0000, v9
	v_pk_mul_f32 v[24:25], v[24:25], v[34:35]
	v_cndmask_b32_e32 v44, v42, v38, vcc
	v_lshlrev_b32_e32 v38, 16, v9
	v_pk_add_f32 v[18:19], v[18:19], v[38:39]
	v_pk_mul_f32 v[22:23], v[28:29], v[22:23]
	v_min_f32_e32 v18, 0x40e00000, v18
	v_mul_f32_e32 v38, 0xbfd9db23, v18
	v_mul_f32_e32 v9, 0x3fb8aa3b, v38
	v_fma_f32 v39, v38, s28, -v9
	v_rndne_f32_e32 v45, v9
	v_fmac_f32_e32 v39, 0x32a5705f, v38
	v_sub_f32_e32 v9, v9, v45
	v_add_f32_e32 v9, v9, v39
	v_exp_f32_e32 v39, v9
	v_cvt_i32_f32_e32 v45, v45
	v_min_f32_e32 v19, 0x40e00000, v19
	v_add_f32_e32 v9, 1.0, v44
	v_mul_f32_e32 v44, 0xbfd9db23, v19
	v_ldexp_f32 v39, v39, v45
	v_mul_f32_e32 v45, 0x3fb8aa3b, v44
	v_fma_f32 v46, v44, s28, -v45
	v_rndne_f32_e32 v47, v45
	v_fmac_f32_e32 v46, 0x32a5705f, v44
	v_sub_f32_e32 v45, v45, v47
	v_add_f32_e32 v45, v45, v46
	v_exp_f32_e32 v45, v45
	v_cvt_i32_f32_e32 v46, v47
	v_cmp_ngt_f32_e32 vcc, s29, v38
	v_pk_mul_f32 v[26:27], v[26:27], v[36:37]
	v_add_f32_e32 v8, 1.0, v8
	v_cndmask_b32_e32 v39, 0, v39, vcc
	v_cmp_nlt_f32_e32 vcc, s30, v38
	v_rcp_f32_e32 v8, v8
	v_rcp_f32_e32 v9, v9
	v_cndmask_b32_e32 v38, v42, v39, vcc
	v_ldexp_f32 v39, v45, v46
	v_cmp_ngt_f32_e32 vcc, s29, v44
	v_and_b32_e32 v45, 0xffff0000, v10
	v_add_f32_e32 v38, 1.0, v38
	v_cndmask_b32_e32 v39, 0, v39, vcc
	v_cmp_nlt_f32_e32 vcc, s30, v44
	v_lshlrev_b32_e32 v44, 16, v10
	s_waitcnt vmcnt(0)
	v_pk_add_f32 v[12:13], v[12:13], v[44:45]
	v_cndmask_b32_e32 v39, v42, v39, vcc
	v_min_f32_e32 v12, 0x40e00000, v12
	v_mul_f32_e32 v10, 0xbfd9db23, v12
	v_mul_f32_e32 v44, 0x3fb8aa3b, v10
	v_fma_f32 v45, v10, s28, -v44
	v_rndne_f32_e32 v46, v44
	v_fmac_f32_e32 v45, 0x32a5705f, v10
	v_sub_f32_e32 v44, v44, v46
	v_add_f32_e32 v44, v44, v45
	v_exp_f32_e32 v44, v44
	v_cvt_i32_f32_e32 v45, v46
	v_min_f32_e32 v13, 0x40e00000, v13
	v_cmp_ngt_f32_e32 vcc, s29, v10
	v_add_f32_e32 v39, 1.0, v39
	v_ldexp_f32 v44, v44, v45
	v_mul_f32_e32 v45, 0xbfd9db23, v13
	v_mul_f32_e32 v46, 0x3fb8aa3b, v45
	v_fma_f32 v47, v45, s28, -v46
	v_rndne_f32_e32 v48, v46
	v_fmac_f32_e32 v47, 0x32a5705f, v45
	v_sub_f32_e32 v46, v46, v48
	v_add_f32_e32 v46, v46, v47
	v_exp_f32_e32 v46, v46
	v_cvt_i32_f32_e32 v47, v48
	v_cndmask_b32_e32 v44, 0, v44, vcc
	v_cmp_nlt_f32_e32 vcc, s30, v10
	v_lshlrev_b32_e32 v48, 16, v6
	v_rcp_f32_e32 v38, v38
	v_cndmask_b32_e32 v10, v42, v44, vcc
	v_ldexp_f32 v44, v46, v47
	v_cmp_ngt_f32_e32 vcc, s29, v45
	v_add_f32_e32 v10, 1.0, v10
	v_rcp_f32_e32 v39, v39
	v_cndmask_b32_e32 v44, 0, v44, vcc
	v_cmp_nlt_f32_e32 vcc, s30, v45
	v_and_b32_e32 v45, 0xffff0000, v11
	v_rcp_f32_e32 v10, v10
	v_cndmask_b32_e32 v46, v42, v44, vcc
	v_lshlrev_b32_e32 v44, 16, v11
	v_pk_add_f32 v[14:15], v[14:15], v[44:45]
	v_pk_mul_f32 v[8:9], v[16:17], v[8:9]
	v_min_f32_e32 v14, 0x40e00000, v14
	v_mul_f32_e32 v44, 0xbfd9db23, v14
	v_mul_f32_e32 v11, 0x3fb8aa3b, v44
	v_fma_f32 v45, v44, s28, -v11
	v_rndne_f32_e32 v47, v11
	v_fmac_f32_e32 v45, 0x32a5705f, v44
	v_sub_f32_e32 v11, v11, v47
	v_add_f32_e32 v11, v11, v45
	v_exp_f32_e32 v45, v11
	v_cvt_i32_f32_e32 v47, v47
	v_min_f32_e32 v15, 0x40e00000, v15
	v_cmp_ngt_f32_e32 vcc, s29, v44
	v_mul_f32_e32 v57, 0xbfd9db23, v15
	v_ldexp_f32 v45, v45, v47
	v_cndmask_b32_e32 v56, 0, v45, vcc
	v_cmp_nlt_f32_e32 vcc, s30, v44
	v_mul_f32_e32 v44, 0x3fb8aa3b, v57
	v_fma_f32 v45, v57, s28, -v44
	v_rndne_f32_e32 v58, v44
	v_fmac_f32_e32 v45, 0x32a5705f, v57
	v_sub_f32_e32 v44, v44, v58
	v_add_f32_e32 v11, 1.0, v46
	v_add_f32_e32 v59, v44, v45
	buffer_load_dwordx4 v[4:7], v40, s[0:3], 0 offen
	buffer_load_dwordx4 v[44:47], v40, s[0:3], 16 offen
	v_exp_f32_e32 v59, v59
	v_cvt_i32_f32_e32 v58, v58
	v_cndmask_b32_e32 v56, v42, v56, vcc
	v_cmp_ngt_f32_e32 vcc, s29, v57
	v_add_f32_e32 v56, 1.0, v56
	v_ldexp_f32 v58, v59, v58
	v_cndmask_b32_e32 v58, 0, v58, vcc
	v_cmp_nlt_f32_e32 vcc, s30, v57
	v_rcp_f32_e32 v11, v11
	v_rcp_f32_e32 v56, v56
	v_cndmask_b32_e32 v57, v42, v58, vcc
	v_add_f32_e32 v57, 1.0, v57
	v_rcp_f32_e32 v57, v57
	v_pk_mul_f32 v[16:17], v[18:19], v[38:39]
	v_pk_mul_f32 v[10:11], v[12:13], v[10:11]
	v_cmp_le_i64_e32 vcc, s[20:21], v[32:33]
	v_pk_mul_f32 v[12:13], v[14:15], v[56:57]
	s_or_b64 s[24:25], vcc, s[24:25]
	s_waitcnt vmcnt(1)
	v_pk_add_f32 v[54:55], v[6:7], v[54:55]
	s_waitcnt vmcnt(0)
	v_pk_add_f32 v[52:53], v[46:47], v[52:53]
	v_pk_add_f32 v[50:51], v[4:5], v[50:51]
	;; [unrolled: 1-line block ×3, first 2 shown]
	buffer_load_dwordx4 v[4:7], v40, s[0:3], 32 offen
	buffer_load_dwordx4 v[44:47], v40, s[0:3], 48 offen
	v_med3_f32 v55, v55, s31, v43
	v_med3_f32 v54, v54, s31, v43
	;; [unrolled: 1-line block ×8, first 2 shown]
	v_pk_add_f32 v[52:53], v[52:53], 1.0 op_sel_hi:[1,0]
	v_pk_add_f32 v[54:55], v[54:55], 1.0 op_sel_hi:[1,0]
	;; [unrolled: 1-line block ×4, first 2 shown]
	v_pk_mul_f32 v[24:25], v[54:55], v[24:25]
	v_pk_mul_f32 v[26:27], v[52:53], v[26:27]
	;; [unrolled: 1-line block ×4, first 2 shown]
	v_perm_b32 v23, v27, v26, s33
	v_perm_b32 v21, v25, v24, s33
	;; [unrolled: 1-line block ×4, first 2 shown]
	buffer_store_dwordx4 v[20:23], v41, s[4:7], 0 offen
	v_and_b32_e32 v25, 0xffff0000, v3
	v_lshlrev_b32_e32 v24, 16, v3
	v_and_b32_e32 v21, 0xffff0000, v2
	v_lshlrev_b32_e32 v20, 16, v2
	;; [unrolled: 2-line block ×4, first 2 shown]
	v_add_u32_e32 v40, s26, v40
	s_waitcnt vmcnt(2)
	v_pk_add_f32 v[0:1], v[6:7], v[2:3]
	s_waitcnt vmcnt(1)
	v_pk_add_f32 v[2:3], v[46:47], v[24:25]
	v_pk_add_f32 v[4:5], v[4:5], v[22:23]
	;; [unrolled: 1-line block ×3, first 2 shown]
	v_med3_f32 v1, v1, s31, v43
	v_med3_f32 v0, v0, s31, v43
	;; [unrolled: 1-line block ×8, first 2 shown]
	v_pk_add_f32 v[2:3], v[2:3], 1.0 op_sel_hi:[1,0]
	v_pk_add_f32 v[0:1], v[0:1], 1.0 op_sel_hi:[1,0]
	;; [unrolled: 1-line block ×4, first 2 shown]
	v_pk_mul_f32 v[0:1], v[0:1], v[16:17]
	v_pk_mul_f32 v[2:3], v[2:3], v[12:13]
	;; [unrolled: 1-line block ×4, first 2 shown]
	v_perm_b32 v3, v3, v2, s33
	v_perm_b32 v1, v1, v0, s33
	;; [unrolled: 1-line block ×4, first 2 shown]
	buffer_store_dwordx4 v[0:3], v41, s[4:7], 16 offen
	v_add_u32_e32 v41, s27, v41
	s_andn2_b64 exec, exec, s[24:25]
	s_cbranch_execnz .LBB293_8
.LBB293_9:
	s_endpgm
	.section	.rodata,"a",@progbits
	.p2align	6, 0x0
	.amdhsa_kernel _ZN5aiter30swiglu_act_and_mul_bias_kernelIttsfLi16EEEvPT0_PKT_PKT1_PKT2_il
		.amdhsa_group_segment_fixed_size 0
		.amdhsa_private_segment_fixed_size 0
		.amdhsa_kernarg_size 304
		.amdhsa_user_sgpr_count 2
		.amdhsa_user_sgpr_dispatch_ptr 0
		.amdhsa_user_sgpr_queue_ptr 0
		.amdhsa_user_sgpr_kernarg_segment_ptr 1
		.amdhsa_user_sgpr_dispatch_id 0
		.amdhsa_user_sgpr_kernarg_preload_length 0
		.amdhsa_user_sgpr_kernarg_preload_offset 0
		.amdhsa_user_sgpr_private_segment_size 0
		.amdhsa_uses_dynamic_stack 0
		.amdhsa_enable_private_segment 0
		.amdhsa_system_sgpr_workgroup_id_x 1
		.amdhsa_system_sgpr_workgroup_id_y 0
		.amdhsa_system_sgpr_workgroup_id_z 0
		.amdhsa_system_sgpr_workgroup_info 0
		.amdhsa_system_vgpr_workitem_id 0
		.amdhsa_next_free_vgpr 60
		.amdhsa_next_free_sgpr 34
		.amdhsa_accum_offset 60
		.amdhsa_reserve_vcc 1
		.amdhsa_float_round_mode_32 0
		.amdhsa_float_round_mode_16_64 0
		.amdhsa_float_denorm_mode_32 3
		.amdhsa_float_denorm_mode_16_64 3
		.amdhsa_dx10_clamp 1
		.amdhsa_ieee_mode 1
		.amdhsa_fp16_overflow 0
		.amdhsa_tg_split 0
		.amdhsa_exception_fp_ieee_invalid_op 0
		.amdhsa_exception_fp_denorm_src 0
		.amdhsa_exception_fp_ieee_div_zero 0
		.amdhsa_exception_fp_ieee_overflow 0
		.amdhsa_exception_fp_ieee_underflow 0
		.amdhsa_exception_fp_ieee_inexact 0
		.amdhsa_exception_int_div_zero 0
	.end_amdhsa_kernel
	.section	.text._ZN5aiter30swiglu_act_and_mul_bias_kernelIttsfLi16EEEvPT0_PKT_PKT1_PKT2_il,"axG",@progbits,_ZN5aiter30swiglu_act_and_mul_bias_kernelIttsfLi16EEEvPT0_PKT_PKT1_PKT2_il,comdat
.Lfunc_end293:
	.size	_ZN5aiter30swiglu_act_and_mul_bias_kernelIttsfLi16EEEvPT0_PKT_PKT1_PKT2_il, .Lfunc_end293-_ZN5aiter30swiglu_act_and_mul_bias_kernelIttsfLi16EEEvPT0_PKT_PKT1_PKT2_il
                                        ; -- End function
	.section	.AMDGPU.csdata,"",@progbits
; Kernel info:
; codeLenInByte = 2976
; NumSgprs: 40
; NumVgprs: 60
; NumAgprs: 0
; TotalNumVgprs: 60
; ScratchSize: 0
; MemoryBound: 0
; FloatMode: 240
; IeeeMode: 1
; LDSByteSize: 0 bytes/workgroup (compile time only)
; SGPRBlocks: 4
; VGPRBlocks: 7
; NumSGPRsForWavesPerEU: 40
; NumVGPRsForWavesPerEU: 60
; AccumOffset: 60
; Occupancy: 8
; WaveLimiterHint : 0
; COMPUTE_PGM_RSRC2:SCRATCH_EN: 0
; COMPUTE_PGM_RSRC2:USER_SGPR: 2
; COMPUTE_PGM_RSRC2:TRAP_HANDLER: 0
; COMPUTE_PGM_RSRC2:TGID_X_EN: 1
; COMPUTE_PGM_RSRC2:TGID_Y_EN: 0
; COMPUTE_PGM_RSRC2:TGID_Z_EN: 0
; COMPUTE_PGM_RSRC2:TIDIG_COMP_CNT: 0
; COMPUTE_PGM_RSRC3_GFX90A:ACCUM_OFFSET: 14
; COMPUTE_PGM_RSRC3_GFX90A:TG_SPLIT: 0
	.section	.text._ZN5aiter30swiglu_act_and_mul_bias_kernelIttsfLi8EEEvPT0_PKT_PKT1_PKT2_il,"axG",@progbits,_ZN5aiter30swiglu_act_and_mul_bias_kernelIttsfLi8EEEvPT0_PKT_PKT1_PKT2_il,comdat
	.protected	_ZN5aiter30swiglu_act_and_mul_bias_kernelIttsfLi8EEEvPT0_PKT_PKT1_PKT2_il ; -- Begin function _ZN5aiter30swiglu_act_and_mul_bias_kernelIttsfLi8EEEvPT0_PKT_PKT1_PKT2_il
	.globl	_ZN5aiter30swiglu_act_and_mul_bias_kernelIttsfLi8EEEvPT0_PKT_PKT1_PKT2_il
	.p2align	8
	.type	_ZN5aiter30swiglu_act_and_mul_bias_kernelIttsfLi8EEEvPT0_PKT_PKT1_PKT2_il,@function
_ZN5aiter30swiglu_act_and_mul_bias_kernelIttsfLi8EEEvPT0_PKT_PKT1_PKT2_il: ; @_ZN5aiter30swiglu_act_and_mul_bias_kernelIttsfLi8EEEvPT0_PKT_PKT1_PKT2_il
; %bb.0:
	s_load_dword s20, s[0:1], 0x20
	s_load_dwordx2 s[4:5], s[0:1], 0x10
	s_load_dwordx2 s[6:7], s[0:1], 0x28
	s_mov_b32 s3, 0
	s_lshl_b64 s[8:9], s[2:3], 1
	s_waitcnt lgkmcnt(0)
	s_ashr_i32 s21, s20, 31
	s_add_u32 s4, s4, s8
	s_addc_u32 s5, s5, s9
	v_mov_b32_e32 v1, 0
	global_load_ushort v1, v1, s[4:5]
	s_mul_hi_u32 s3, s20, s2
	v_mov_b64_e32 v[2:3], s[6:7]
	s_mul_i32 s6, s21, s2
	s_add_i32 s7, s20, 1
	s_add_i32 s9, s3, s6
	s_lshr_b32 s3, s7, 31
	s_load_dwordx2 s[4:5], s[0:1], 0x0
	s_add_i32 s7, s7, s3
	s_lshl_b32 s3, s7, 1
	s_mul_i32 s8, s20, s2
	s_and_b32 s6, s3, -4
	s_lshl_b64 s[12:13], s[8:9], 1
	s_mov_b64 s[10:11], -1
	v_lshlrev_b32_e32 v20, 3, v0
	s_waitcnt vmcnt(0)
	v_readfirstlane_b32 s3, v1
	s_sext_i32_i16 s8, s3
	s_ashr_i32 s9, s8, 31
	s_waitcnt lgkmcnt(0)
	s_add_u32 s4, s4, s12
	s_addc_u32 s3, s5, s13
	s_and_b32 s5, s3, 0xffff
	s_cmp_gt_i32 s8, -1
	v_cmp_lt_i64_e32 vcc, s[8:9], v[2:3]
	s_cselect_b64 s[12:13], -1, 0
	s_and_b64 s[12:13], s[12:13], vcc
	s_and_b64 vcc, exec, s[12:13]
	s_cbranch_vccnz .LBB294_5
; %bb.1:
	v_cmp_gt_i32_e32 vcc, s20, v20
	s_and_saveexec_b64 s[10:11], vcc
	s_cbranch_execz .LBB294_4
; %bb.2:
	s_load_dword s3, s[0:1], 0x3c
	v_mov_b32_e32 v21, 0
	s_mov_b32 s13, 0
	v_lshlrev_b32_e32 v1, 4, v0
	s_mov_b64 s[14:15], 0
	s_waitcnt lgkmcnt(0)
	s_and_b32 s3, s3, 0xffff
	s_lshl_b32 s12, s3, 3
	s_lshl_b32 s3, s3, 4
	s_mov_b32 s7, 0x20000
	v_mov_b32_e32 v2, v21
	v_mov_b32_e32 v3, v21
	;; [unrolled: 1-line block ×4, first 2 shown]
	v_mov_b64_e32 v[6:7], v[20:21]
.LBB294_3:                              ; =>This Inner Loop Header: Depth=1
	v_lshl_add_u64 v[6:7], s[12:13], 0, v[6:7]
	v_cmp_le_i64_e32 vcc, s[20:21], v[6:7]
	buffer_store_dwordx4 v[2:5], v1, s[4:7], 0 offen
	s_or_b64 s[14:15], vcc, s[14:15]
	v_add_u32_e32 v1, s3, v1
	s_andn2_b64 exec, exec, s[14:15]
	s_cbranch_execnz .LBB294_3
.LBB294_4:
	s_or_b64 exec, exec, s[10:11]
	s_mov_b64 s[10:11], 0
.LBB294_5:
	s_andn2_b64 vcc, exec, s[10:11]
	s_cbranch_vccnz .LBB294_9
; %bb.6:
	v_cmp_gt_i32_e32 vcc, s20, v20
	s_and_saveexec_b64 s[10:11], vcc
	s_cbranch_execz .LBB294_9
; %bb.7:
	s_load_dwordx2 s[12:13], s[0:1], 0x8
	s_load_dwordx2 s[10:11], s[0:1], 0x18
	s_mul_hi_i32 s9, s20, s8
	s_mul_i32 s8, s20, s8
	s_lshl_b64 s[8:9], s[8:9], 3
	s_load_dword s14, s[0:1], 0x3c
	s_waitcnt lgkmcnt(0)
	s_add_u32 s8, s10, s8
	s_addc_u32 s3, s11, s9
	s_lshl_b64 s[0:1], s[20:21], 2
	s_add_u32 s0, s8, s0
	s_addc_u32 s1, s3, s1
	s_and_b32 s9, s3, 0xffff
	s_mul_i32 s3, s2, s21
	s_mul_hi_u32 s15, s2, s20
	s_add_i32 s3, s15, s3
	s_mul_i32 s2, s2, s20
	s_lshl_b32 s10, s20, 2
	s_and_b32 s1, s1, 0xffff
	s_lshl_b64 s[2:3], s[2:3], 2
	s_add_u32 s12, s12, s2
	s_addc_u32 s13, s13, s3
	s_lshl_b64 s[2:3], s[20:21], 1
	s_add_u32 s16, s12, s2
	s_addc_u32 s2, s13, s3
	s_mov_b32 s7, 0x20000
	s_and_b32 s17, s2, 0xffff
	s_and_b32 s2, s14, 0xffff
	s_mov_b32 s11, s7
	s_and_b32 s13, s13, 0xffff
	s_mov_b32 s23, 0
	v_mov_b32_e32 v21, 0
	s_lshl_b32 s22, s2, 3
	v_lshlrev_b32_e32 v28, 5, v0
	s_lshl_b32 s26, s2, 5
	v_lshlrev_b32_e32 v29, 4, v0
	s_lshl_b32 s27, s2, 4
	s_mov_b64 s[24:25], 0
	s_mov_b32 s19, s7
	s_mov_b32 s18, s6
	;; [unrolled: 1-line block ×5, first 2 shown]
	v_mov_b32_e32 v30, 0x7f800000
	s_mov_b32 s31, 0xc0e00000
	v_mov_b32_e32 v31, 0x40e00000
	s_mov_b32 s33, 0x7060302
	s_mov_b32 s14, s6
	;; [unrolled: 1-line block ×3, first 2 shown]
.LBB294_8:                              ; =>This Inner Loop Header: Depth=1
	buffer_load_dwordx4 v[12:15], v29, s[12:15], 0 offen
	buffer_load_dwordx4 v[22:25], v28, s[8:11], 0 offen
	;; [unrolled: 1-line block ×4, first 2 shown]
	s_mov_b32 s2, s10
	s_mov_b32 s3, s11
	buffer_load_dwordx4 v[0:3], v28, s[0:3], 0 offen
	buffer_load_dwordx4 v[4:7], v28, s[0:3], 16 offen
	v_lshl_add_u64 v[20:21], s[22:23], 0, v[20:21]
	v_add_u32_e32 v28, s26, v28
	s_waitcnt vmcnt(5)
	v_and_b32_e32 v27, 0xffff0000, v12
	v_lshlrev_b32_e32 v26, 16, v12
	v_and_b32_e32 v33, 0xffff0000, v13
	v_lshlrev_b32_e32 v32, 16, v13
	v_and_b32_e32 v13, 0xffff0000, v14
	v_lshlrev_b32_e32 v12, 16, v14
	s_waitcnt vmcnt(4)
	v_pk_add_f32 v[22:23], v[22:23], v[26:27]
	s_waitcnt vmcnt(3)
	v_pk_add_f32 v[26:27], v[16:17], v[12:13]
	v_min_f32_e32 v12, 0x40e00000, v22
	v_pk_add_f32 v[24:25], v[24:25], v[32:33]
	v_min_f32_e32 v13, 0x40e00000, v23
	v_mul_f32_e32 v14, 0xbfd9db23, v12
	v_min_f32_e32 v16, 0x40e00000, v24
	v_min_f32_e32 v23, 0x40e00000, v27
	v_mul_f32_e32 v24, 0xbfd9db23, v13
	v_mul_f32_e32 v27, 0x3fb8aa3b, v14
	v_min_f32_e32 v17, 0x40e00000, v25
	v_mul_f32_e32 v25, 0xbfd9db23, v16
	v_mul_f32_e32 v33, 0x3fb8aa3b, v24
	v_fma_f32 v37, v14, s28, -v27
	v_rndne_f32_e32 v38, v27
	v_min_f32_e32 v22, 0x40e00000, v26
	v_mul_f32_e32 v26, 0xbfd9db23, v17
	v_mul_f32_e32 v34, 0x3fb8aa3b, v25
	v_fma_f32 v39, v24, s28, -v33
	v_rndne_f32_e32 v40, v33
	v_fmac_f32_e32 v37, 0x32a5705f, v14
	v_sub_f32_e32 v27, v27, v38
	v_mul_f32_e32 v35, 0x3fb8aa3b, v26
	v_fma_f32 v41, v25, s28, -v34
	v_rndne_f32_e32 v42, v34
	v_fmac_f32_e32 v39, 0x32a5705f, v24
	v_sub_f32_e32 v33, v33, v40
	v_add_f32_e32 v27, v27, v37
	v_fma_f32 v43, v26, s28, -v35
	v_rndne_f32_e32 v44, v35
	v_cvt_i32_f32_e32 v38, v38
	v_fmac_f32_e32 v41, 0x32a5705f, v25
	v_sub_f32_e32 v34, v34, v42
	v_add_f32_e32 v33, v33, v39
	v_exp_f32_e32 v27, v27
	v_cvt_i32_f32_e32 v40, v40
	v_fmac_f32_e32 v43, 0x32a5705f, v26
	v_sub_f32_e32 v35, v35, v44
	v_add_f32_e32 v34, v34, v41
	v_exp_f32_e32 v33, v33
	v_cvt_i32_f32_e32 v42, v42
	v_add_f32_e32 v35, v35, v43
	v_exp_f32_e32 v34, v34
	v_cvt_i32_f32_e32 v44, v44
	v_exp_f32_e32 v35, v35
	v_ldexp_f32 v27, v27, v38
	v_cmp_ngt_f32_e32 vcc, s29, v14
	v_mul_f32_e32 v32, 0xbfd9db23, v22
	v_ldexp_f32 v33, v33, v40
	v_cndmask_b32_e32 v27, 0, v27, vcc
	v_cmp_ngt_f32_e32 vcc, s29, v24
	v_mul_f32_e32 v36, 0x3fb8aa3b, v32
	v_ldexp_f32 v34, v34, v42
	v_cndmask_b32_e32 v33, 0, v33, vcc
	v_cmp_ngt_f32_e32 vcc, s29, v25
	v_fma_f32 v45, v32, s28, -v36
	v_rndne_f32_e32 v46, v36
	v_ldexp_f32 v35, v35, v44
	v_cndmask_b32_e32 v34, 0, v34, vcc
	v_cmp_ngt_f32_e32 vcc, s29, v26
	v_fmac_f32_e32 v45, 0x32a5705f, v32
	v_sub_f32_e32 v36, v36, v46
	v_cndmask_b32_e32 v35, 0, v35, vcc
	v_cmp_nlt_f32_e32 vcc, s30, v14
	v_add_f32_e32 v36, v36, v45
	v_cvt_i32_f32_e32 v46, v46
	v_cndmask_b32_e32 v14, v30, v27, vcc
	v_cmp_nlt_f32_e32 vcc, s30, v24
	v_exp_f32_e32 v36, v36
	v_add_f32_e32 v14, 1.0, v14
	v_cndmask_b32_e32 v24, v30, v33, vcc
	v_cmp_nlt_f32_e32 vcc, s30, v25
	v_add_f32_e32 v27, 1.0, v24
	v_ldexp_f32 v36, v36, v46
	v_cndmask_b32_e32 v25, v30, v34, vcc
	v_cmp_nlt_f32_e32 vcc, s30, v26
	v_add_f32_e32 v33, 1.0, v25
	v_rcp_f32_e32 v25, v27
	v_cndmask_b32_e32 v26, v30, v35, vcc
	v_add_f32_e32 v34, 1.0, v26
	v_rcp_f32_e32 v26, v33
	v_mul_f32_e32 v33, 0xbfd9db23, v23
	v_rcp_f32_e32 v27, v34
	v_cmp_ngt_f32_e32 vcc, s29, v32
	v_mul_f32_e32 v34, 0x3fb8aa3b, v33
	v_rcp_f32_e32 v24, v14
	v_cndmask_b32_e32 v14, 0, v36, vcc
	v_fma_f32 v35, v33, s28, -v34
	v_rndne_f32_e32 v36, v34
	v_fmac_f32_e32 v35, 0x32a5705f, v33
	v_sub_f32_e32 v34, v34, v36
	v_add_f32_e32 v34, v34, v35
	v_exp_f32_e32 v34, v34
	v_cvt_i32_f32_e32 v35, v36
	v_cmp_nlt_f32_e32 vcc, s30, v32
	s_waitcnt vmcnt(2)
	v_and_b32_e32 v39, 0xffff0000, v11
	v_lshlrev_b32_e32 v38, 16, v11
	v_cndmask_b32_e32 v14, v30, v14, vcc
	v_ldexp_f32 v32, v34, v35
	v_cmp_ngt_f32_e32 vcc, s29, v33
	v_add_f32_e32 v14, 1.0, v14
	v_rcp_f32_e32 v14, v14
	v_cndmask_b32_e32 v32, 0, v32, vcc
	v_cmp_nlt_f32_e32 vcc, s30, v33
	v_and_b32_e32 v33, 0xffff0000, v15
	v_and_b32_e32 v11, 0xffff0000, v9
	v_cndmask_b32_e32 v34, v30, v32, vcc
	v_lshlrev_b32_e32 v32, 16, v15
	v_pk_add_f32 v[18:19], v[18:19], v[32:33]
	s_waitcnt vmcnt(0)
	v_pk_add_f32 v[6:7], v[6:7], v[38:39]
	v_min_f32_e32 v18, 0x40e00000, v18
	v_mul_f32_e32 v32, 0xbfd9db23, v18
	v_mul_f32_e32 v15, 0x3fb8aa3b, v32
	v_fma_f32 v33, v32, s28, -v15
	v_rndne_f32_e32 v35, v15
	v_fmac_f32_e32 v33, 0x32a5705f, v32
	v_sub_f32_e32 v15, v15, v35
	v_add_f32_e32 v15, v15, v33
	v_exp_f32_e32 v33, v15
	v_cvt_i32_f32_e32 v35, v35
	v_min_f32_e32 v19, 0x40e00000, v19
	v_add_f32_e32 v15, 1.0, v34
	v_mul_f32_e32 v34, 0xbfd9db23, v19
	v_ldexp_f32 v33, v33, v35
	v_mul_f32_e32 v35, 0x3fb8aa3b, v34
	v_fma_f32 v36, v34, s28, -v35
	v_rndne_f32_e32 v37, v35
	v_fmac_f32_e32 v36, 0x32a5705f, v34
	v_sub_f32_e32 v35, v35, v37
	v_add_f32_e32 v35, v35, v36
	v_exp_f32_e32 v35, v35
	v_cvt_i32_f32_e32 v36, v37
	v_cmp_ngt_f32_e32 vcc, s29, v32
	v_rcp_f32_e32 v15, v15
	v_and_b32_e32 v37, 0xffff0000, v8
	v_cndmask_b32_e32 v33, 0, v33, vcc
	v_cmp_nlt_f32_e32 vcc, s30, v32
	v_med3_f32 v7, v7, s31, v31
	v_med3_f32 v6, v6, s31, v31
	v_cndmask_b32_e32 v32, v30, v33, vcc
	v_ldexp_f32 v33, v35, v36
	v_cmp_ngt_f32_e32 vcc, s29, v34
	v_add_f32_e32 v32, 1.0, v32
	v_rcp_f32_e32 v32, v32
	v_cndmask_b32_e32 v33, 0, v33, vcc
	v_cmp_nlt_f32_e32 vcc, s30, v34
	v_and_b32_e32 v35, 0xffff0000, v10
	v_lshlrev_b32_e32 v34, 16, v10
	v_cndmask_b32_e32 v33, v30, v33, vcc
	v_add_f32_e32 v33, 1.0, v33
	v_rcp_f32_e32 v33, v33
	v_lshlrev_b32_e32 v36, 16, v8
	v_lshlrev_b32_e32 v10, 16, v9
	v_pk_add_f32 v[2:3], v[2:3], v[10:11]
	v_pk_add_f32 v[0:1], v[0:1], v[36:37]
	;; [unrolled: 1-line block ×3, first 2 shown]
	v_med3_f32 v3, v3, s31, v31
	v_med3_f32 v2, v2, s31, v31
	;; [unrolled: 1-line block ×6, first 2 shown]
	v_pk_add_f32 v[6:7], v[6:7], 1.0 op_sel_hi:[1,0]
	v_pk_add_f32 v[2:3], v[2:3], 1.0 op_sel_hi:[1,0]
	v_pk_add_f32 v[4:5], v[4:5], 1.0 op_sel_hi:[1,0]
	v_pk_add_f32 v[0:1], v[0:1], 1.0 op_sel_hi:[1,0]
	v_pk_mul_f32 v[8:9], v[12:13], v[24:25]
	v_pk_mul_f32 v[10:11], v[16:17], v[26:27]
	;; [unrolled: 1-line block ×8, first 2 shown]
	v_perm_b32 v3, v3, v2, s33
	v_perm_b32 v1, v11, v10, s33
	;; [unrolled: 1-line block ×4, first 2 shown]
	v_cmp_le_i64_e32 vcc, s[20:21], v[20:21]
	buffer_store_dwordx4 v[0:3], v29, s[4:7], 0 offen
	s_or_b64 s[24:25], vcc, s[24:25]
	v_add_u32_e32 v29, s27, v29
	s_andn2_b64 exec, exec, s[24:25]
	s_cbranch_execnz .LBB294_8
.LBB294_9:
	s_endpgm
	.section	.rodata,"a",@progbits
	.p2align	6, 0x0
	.amdhsa_kernel _ZN5aiter30swiglu_act_and_mul_bias_kernelIttsfLi8EEEvPT0_PKT_PKT1_PKT2_il
		.amdhsa_group_segment_fixed_size 0
		.amdhsa_private_segment_fixed_size 0
		.amdhsa_kernarg_size 304
		.amdhsa_user_sgpr_count 2
		.amdhsa_user_sgpr_dispatch_ptr 0
		.amdhsa_user_sgpr_queue_ptr 0
		.amdhsa_user_sgpr_kernarg_segment_ptr 1
		.amdhsa_user_sgpr_dispatch_id 0
		.amdhsa_user_sgpr_kernarg_preload_length 0
		.amdhsa_user_sgpr_kernarg_preload_offset 0
		.amdhsa_user_sgpr_private_segment_size 0
		.amdhsa_uses_dynamic_stack 0
		.amdhsa_enable_private_segment 0
		.amdhsa_system_sgpr_workgroup_id_x 1
		.amdhsa_system_sgpr_workgroup_id_y 0
		.amdhsa_system_sgpr_workgroup_id_z 0
		.amdhsa_system_sgpr_workgroup_info 0
		.amdhsa_system_vgpr_workitem_id 0
		.amdhsa_next_free_vgpr 47
		.amdhsa_next_free_sgpr 34
		.amdhsa_accum_offset 48
		.amdhsa_reserve_vcc 1
		.amdhsa_float_round_mode_32 0
		.amdhsa_float_round_mode_16_64 0
		.amdhsa_float_denorm_mode_32 3
		.amdhsa_float_denorm_mode_16_64 3
		.amdhsa_dx10_clamp 1
		.amdhsa_ieee_mode 1
		.amdhsa_fp16_overflow 0
		.amdhsa_tg_split 0
		.amdhsa_exception_fp_ieee_invalid_op 0
		.amdhsa_exception_fp_denorm_src 0
		.amdhsa_exception_fp_ieee_div_zero 0
		.amdhsa_exception_fp_ieee_overflow 0
		.amdhsa_exception_fp_ieee_underflow 0
		.amdhsa_exception_fp_ieee_inexact 0
		.amdhsa_exception_int_div_zero 0
	.end_amdhsa_kernel
	.section	.text._ZN5aiter30swiglu_act_and_mul_bias_kernelIttsfLi8EEEvPT0_PKT_PKT1_PKT2_il,"axG",@progbits,_ZN5aiter30swiglu_act_and_mul_bias_kernelIttsfLi8EEEvPT0_PKT_PKT1_PKT2_il,comdat
.Lfunc_end294:
	.size	_ZN5aiter30swiglu_act_and_mul_bias_kernelIttsfLi8EEEvPT0_PKT_PKT1_PKT2_il, .Lfunc_end294-_ZN5aiter30swiglu_act_and_mul_bias_kernelIttsfLi8EEEvPT0_PKT_PKT1_PKT2_il
                                        ; -- End function
	.section	.AMDGPU.csdata,"",@progbits
; Kernel info:
; codeLenInByte = 1796
; NumSgprs: 40
; NumVgprs: 47
; NumAgprs: 0
; TotalNumVgprs: 47
; ScratchSize: 0
; MemoryBound: 0
; FloatMode: 240
; IeeeMode: 1
; LDSByteSize: 0 bytes/workgroup (compile time only)
; SGPRBlocks: 4
; VGPRBlocks: 5
; NumSGPRsForWavesPerEU: 40
; NumVGPRsForWavesPerEU: 47
; AccumOffset: 48
; Occupancy: 8
; WaveLimiterHint : 0
; COMPUTE_PGM_RSRC2:SCRATCH_EN: 0
; COMPUTE_PGM_RSRC2:USER_SGPR: 2
; COMPUTE_PGM_RSRC2:TRAP_HANDLER: 0
; COMPUTE_PGM_RSRC2:TGID_X_EN: 1
; COMPUTE_PGM_RSRC2:TGID_Y_EN: 0
; COMPUTE_PGM_RSRC2:TGID_Z_EN: 0
; COMPUTE_PGM_RSRC2:TIDIG_COMP_CNT: 0
; COMPUTE_PGM_RSRC3_GFX90A:ACCUM_OFFSET: 11
; COMPUTE_PGM_RSRC3_GFX90A:TG_SPLIT: 0
	.section	.text._ZN5aiter30swiglu_act_and_mul_bias_kernelIttsfLi4EEEvPT0_PKT_PKT1_PKT2_il,"axG",@progbits,_ZN5aiter30swiglu_act_and_mul_bias_kernelIttsfLi4EEEvPT0_PKT_PKT1_PKT2_il,comdat
	.protected	_ZN5aiter30swiglu_act_and_mul_bias_kernelIttsfLi4EEEvPT0_PKT_PKT1_PKT2_il ; -- Begin function _ZN5aiter30swiglu_act_and_mul_bias_kernelIttsfLi4EEEvPT0_PKT_PKT1_PKT2_il
	.globl	_ZN5aiter30swiglu_act_and_mul_bias_kernelIttsfLi4EEEvPT0_PKT_PKT1_PKT2_il
	.p2align	8
	.type	_ZN5aiter30swiglu_act_and_mul_bias_kernelIttsfLi4EEEvPT0_PKT_PKT1_PKT2_il,@function
_ZN5aiter30swiglu_act_and_mul_bias_kernelIttsfLi4EEEvPT0_PKT_PKT1_PKT2_il: ; @_ZN5aiter30swiglu_act_and_mul_bias_kernelIttsfLi4EEEvPT0_PKT_PKT1_PKT2_il
; %bb.0:
	s_load_dword s20, s[0:1], 0x20
	s_load_dwordx2 s[4:5], s[0:1], 0x10
	s_load_dwordx2 s[6:7], s[0:1], 0x28
	s_mov_b32 s3, 0
	s_lshl_b64 s[8:9], s[2:3], 1
	s_waitcnt lgkmcnt(0)
	s_ashr_i32 s21, s20, 31
	s_add_u32 s4, s4, s8
	s_addc_u32 s5, s5, s9
	v_mov_b32_e32 v1, 0
	global_load_ushort v1, v1, s[4:5]
	s_mul_hi_u32 s3, s20, s2
	v_mov_b64_e32 v[2:3], s[6:7]
	s_mul_i32 s6, s21, s2
	s_add_i32 s7, s20, 1
	s_add_i32 s9, s3, s6
	s_lshr_b32 s3, s7, 31
	s_load_dwordx2 s[4:5], s[0:1], 0x0
	s_add_i32 s7, s7, s3
	s_lshl_b32 s3, s7, 1
	s_mul_i32 s8, s20, s2
	s_and_b32 s6, s3, -4
	s_lshl_b64 s[12:13], s[8:9], 1
	s_mov_b64 s[10:11], -1
	v_lshlrev_b32_e32 v8, 2, v0
	s_waitcnt vmcnt(0)
	v_readfirstlane_b32 s3, v1
	s_sext_i32_i16 s8, s3
	s_ashr_i32 s9, s8, 31
	s_waitcnt lgkmcnt(0)
	s_add_u32 s4, s4, s12
	s_addc_u32 s3, s5, s13
	s_and_b32 s5, s3, 0xffff
	s_cmp_gt_i32 s8, -1
	v_cmp_lt_i64_e32 vcc, s[8:9], v[2:3]
	s_cselect_b64 s[12:13], -1, 0
	s_and_b64 s[12:13], s[12:13], vcc
	s_and_b64 vcc, exec, s[12:13]
	s_cbranch_vccnz .LBB295_5
; %bb.1:
	v_cmp_gt_i32_e32 vcc, s20, v8
	s_and_saveexec_b64 s[10:11], vcc
	s_cbranch_execz .LBB295_4
; %bb.2:
	s_load_dword s3, s[0:1], 0x3c
	v_mov_b32_e32 v9, 0
	s_mov_b32 s13, 0
	v_lshlrev_b32_e32 v1, 3, v0
	s_mov_b64 s[14:15], 0
	s_waitcnt lgkmcnt(0)
	s_and_b32 s3, s3, 0xffff
	s_lshl_b32 s12, s3, 2
	s_lshl_b32 s3, s3, 3
	s_mov_b32 s7, 0x20000
	v_mov_b32_e32 v2, v9
	v_mov_b32_e32 v3, v9
	v_mov_b64_e32 v[4:5], v[8:9]
.LBB295_3:                              ; =>This Inner Loop Header: Depth=1
	v_lshl_add_u64 v[4:5], s[12:13], 0, v[4:5]
	v_cmp_le_i64_e32 vcc, s[20:21], v[4:5]
	buffer_store_dwordx2 v[2:3], v1, s[4:7], 0 offen
	s_or_b64 s[14:15], vcc, s[14:15]
	v_add_u32_e32 v1, s3, v1
	s_andn2_b64 exec, exec, s[14:15]
	s_cbranch_execnz .LBB295_3
.LBB295_4:
	s_or_b64 exec, exec, s[10:11]
	s_mov_b64 s[10:11], 0
.LBB295_5:
	s_andn2_b64 vcc, exec, s[10:11]
	s_cbranch_vccnz .LBB295_9
; %bb.6:
	v_cmp_gt_i32_e32 vcc, s20, v8
	s_and_saveexec_b64 s[10:11], vcc
	s_cbranch_execz .LBB295_9
; %bb.7:
	s_load_dwordx2 s[12:13], s[0:1], 0x8
	s_load_dwordx2 s[10:11], s[0:1], 0x18
	s_mul_hi_i32 s9, s20, s8
	s_mul_i32 s8, s20, s8
	s_lshl_b64 s[8:9], s[8:9], 3
	s_load_dword s14, s[0:1], 0x3c
	s_waitcnt lgkmcnt(0)
	s_add_u32 s8, s10, s8
	s_addc_u32 s3, s11, s9
	s_lshl_b64 s[0:1], s[20:21], 2
	s_add_u32 s0, s8, s0
	s_addc_u32 s1, s3, s1
	s_and_b32 s9, s3, 0xffff
	s_mul_i32 s3, s2, s21
	s_mul_hi_u32 s15, s2, s20
	s_add_i32 s3, s15, s3
	s_mul_i32 s2, s2, s20
	s_lshl_b32 s10, s20, 2
	s_and_b32 s1, s1, 0xffff
	s_lshl_b64 s[2:3], s[2:3], 2
	s_add_u32 s12, s12, s2
	s_addc_u32 s13, s13, s3
	s_lshl_b64 s[2:3], s[20:21], 1
	s_add_u32 s16, s12, s2
	s_addc_u32 s2, s13, s3
	s_mov_b32 s7, 0x20000
	s_and_b32 s17, s2, 0xffff
	s_and_b32 s2, s14, 0xffff
	s_mov_b32 s11, s7
	s_and_b32 s13, s13, 0xffff
	s_mov_b32 s23, 0
	v_mov_b32_e32 v9, 0
	s_lshl_b32 s22, s2, 2
	v_lshlrev_b32_e32 v14, 4, v0
	s_lshl_b32 s26, s2, 4
	v_lshlrev_b32_e32 v15, 3, v0
	s_lshl_b32 s27, s2, 3
	s_mov_b64 s[24:25], 0
	s_mov_b32 s19, s7
	s_mov_b32 s18, s6
	s_mov_b32 s28, 0x3fb8aa3b
	s_mov_b32 s29, 0xc2ce8ed0
	s_mov_b32 s30, 0x42b17218
	v_mov_b32_e32 v16, 0x7f800000
	s_mov_b32 s31, 0xc0e00000
	v_mov_b32_e32 v17, 0x40e00000
	s_mov_b32 s33, 0x7060302
	s_mov_b32 s14, s6
	s_mov_b32 s15, s7
.LBB295_8:                              ; =>This Inner Loop Header: Depth=1
	buffer_load_dwordx2 v[10:11], v15, s[12:15], 0 offen
	buffer_load_dwordx2 v[12:13], v15, s[16:19], 0 offen
	buffer_load_dwordx4 v[0:3], v14, s[8:11], 0 offen
	s_mov_b32 s2, s10
	s_mov_b32 s3, s11
	buffer_load_dwordx4 v[4:7], v14, s[0:3], 0 offen
	v_lshl_add_u64 v[8:9], s[22:23], 0, v[8:9]
	v_cmp_le_i64_e32 vcc, s[20:21], v[8:9]
	s_or_b64 s[24:25], vcc, s[24:25]
	v_add_u32_e32 v14, s26, v14
	s_waitcnt vmcnt(3)
	v_and_b32_e32 v19, 0xffff0000, v10
	v_lshlrev_b32_e32 v18, 16, v10
	s_waitcnt vmcnt(1)
	v_pk_add_f32 v[0:1], v[0:1], v[18:19]
	v_and_b32_e32 v21, 0xffff0000, v11
	v_lshlrev_b32_e32 v20, 16, v11
	v_and_b32_e32 v11, 0xffff0000, v12
	v_lshlrev_b32_e32 v10, 16, v12
	v_min_f32_e32 v0, 0x40e00000, v0
	v_pk_add_f32 v[2:3], v[2:3], v[20:21]
	s_waitcnt vmcnt(0)
	v_pk_add_f32 v[4:5], v[4:5], v[10:11]
	v_min_f32_e32 v1, 0x40e00000, v1
	v_mul_f32_e32 v10, 0xbfd9db23, v0
	v_and_b32_e32 v23, 0xffff0000, v13
	v_lshlrev_b32_e32 v22, 16, v13
	v_min_f32_e32 v2, 0x40e00000, v2
	v_mul_f32_e32 v11, 0xbfd9db23, v1
	v_mul_f32_e32 v18, 0x3fb8aa3b, v10
	v_pk_add_f32 v[6:7], v[6:7], v[22:23]
	v_min_f32_e32 v3, 0x40e00000, v3
	v_mul_f32_e32 v12, 0xbfd9db23, v2
	v_mul_f32_e32 v19, 0x3fb8aa3b, v11
	v_fma_f32 v22, v10, s28, -v18
	v_rndne_f32_e32 v23, v18
	v_mul_f32_e32 v13, 0xbfd9db23, v3
	v_mul_f32_e32 v20, 0x3fb8aa3b, v12
	v_fma_f32 v24, v11, s28, -v19
	v_rndne_f32_e32 v25, v19
	v_fmac_f32_e32 v22, 0x32a5705f, v10
	v_sub_f32_e32 v18, v18, v23
	v_mul_f32_e32 v21, 0x3fb8aa3b, v13
	v_fma_f32 v26, v12, s28, -v20
	v_rndne_f32_e32 v27, v20
	v_fmac_f32_e32 v24, 0x32a5705f, v11
	v_sub_f32_e32 v19, v19, v25
	v_add_f32_e32 v18, v18, v22
	v_fma_f32 v28, v13, s28, -v21
	v_rndne_f32_e32 v29, v21
	v_cvt_i32_f32_e32 v23, v23
	v_fmac_f32_e32 v26, 0x32a5705f, v12
	v_sub_f32_e32 v20, v20, v27
	v_add_f32_e32 v19, v19, v24
	v_exp_f32_e32 v18, v18
	v_cvt_i32_f32_e32 v25, v25
	v_fmac_f32_e32 v28, 0x32a5705f, v13
	v_sub_f32_e32 v21, v21, v29
	v_add_f32_e32 v20, v20, v26
	v_exp_f32_e32 v19, v19
	v_cvt_i32_f32_e32 v27, v27
	v_add_f32_e32 v21, v21, v28
	v_exp_f32_e32 v20, v20
	v_cvt_i32_f32_e32 v29, v29
	v_exp_f32_e32 v21, v21
	v_ldexp_f32 v18, v18, v23
	v_cmp_ngt_f32_e32 vcc, s29, v10
	v_ldexp_f32 v19, v19, v25
	v_ldexp_f32 v20, v20, v27
	v_cndmask_b32_e32 v18, 0, v18, vcc
	v_cmp_ngt_f32_e32 vcc, s29, v11
	v_ldexp_f32 v21, v21, v29
	v_med3_f32 v7, v7, s31, v17
	v_cndmask_b32_e32 v19, 0, v19, vcc
	v_cmp_ngt_f32_e32 vcc, s29, v12
	v_med3_f32 v6, v6, s31, v17
	v_med3_f32 v5, v5, s31, v17
	v_cndmask_b32_e32 v20, 0, v20, vcc
	v_cmp_ngt_f32_e32 vcc, s29, v13
	v_med3_f32 v4, v4, s31, v17
	v_pk_add_f32 v[6:7], v[6:7], 1.0 op_sel_hi:[1,0]
	v_cndmask_b32_e32 v21, 0, v21, vcc
	v_cmp_nlt_f32_e32 vcc, s30, v10
	v_pk_add_f32 v[4:5], v[4:5], 1.0 op_sel_hi:[1,0]
	s_nop 0
	v_cndmask_b32_e32 v10, v16, v18, vcc
	v_cmp_nlt_f32_e32 vcc, s30, v11
	v_add_f32_e32 v10, 1.0, v10
	v_rcp_f32_e32 v10, v10
	v_cndmask_b32_e32 v11, v16, v19, vcc
	v_cmp_nlt_f32_e32 vcc, s30, v12
	v_add_f32_e32 v11, 1.0, v11
	v_rcp_f32_e32 v11, v11
	;; [unrolled: 4-line block ×3, first 2 shown]
	v_cndmask_b32_e32 v13, v16, v21, vcc
	v_add_f32_e32 v13, 1.0, v13
	v_rcp_f32_e32 v13, v13
	v_pk_mul_f32 v[0:1], v[0:1], v[10:11]
	v_pk_mul_f32 v[2:3], v[2:3], v[12:13]
	s_nop 0
	v_pk_mul_f32 v[2:3], v[6:7], v[2:3]
	v_pk_mul_f32 v[0:1], v[4:5], v[0:1]
	v_perm_b32 v3, v3, v2, s33
	v_perm_b32 v2, v1, v0, s33
	buffer_store_dwordx2 v[2:3], v15, s[4:7], 0 offen
	v_add_u32_e32 v15, s27, v15
	s_andn2_b64 exec, exec, s[24:25]
	s_cbranch_execnz .LBB295_8
.LBB295_9:
	s_endpgm
	.section	.rodata,"a",@progbits
	.p2align	6, 0x0
	.amdhsa_kernel _ZN5aiter30swiglu_act_and_mul_bias_kernelIttsfLi4EEEvPT0_PKT_PKT1_PKT2_il
		.amdhsa_group_segment_fixed_size 0
		.amdhsa_private_segment_fixed_size 0
		.amdhsa_kernarg_size 304
		.amdhsa_user_sgpr_count 2
		.amdhsa_user_sgpr_dispatch_ptr 0
		.amdhsa_user_sgpr_queue_ptr 0
		.amdhsa_user_sgpr_kernarg_segment_ptr 1
		.amdhsa_user_sgpr_dispatch_id 0
		.amdhsa_user_sgpr_kernarg_preload_length 0
		.amdhsa_user_sgpr_kernarg_preload_offset 0
		.amdhsa_user_sgpr_private_segment_size 0
		.amdhsa_uses_dynamic_stack 0
		.amdhsa_enable_private_segment 0
		.amdhsa_system_sgpr_workgroup_id_x 1
		.amdhsa_system_sgpr_workgroup_id_y 0
		.amdhsa_system_sgpr_workgroup_id_z 0
		.amdhsa_system_sgpr_workgroup_info 0
		.amdhsa_system_vgpr_workitem_id 0
		.amdhsa_next_free_vgpr 30
		.amdhsa_next_free_sgpr 34
		.amdhsa_accum_offset 32
		.amdhsa_reserve_vcc 1
		.amdhsa_float_round_mode_32 0
		.amdhsa_float_round_mode_16_64 0
		.amdhsa_float_denorm_mode_32 3
		.amdhsa_float_denorm_mode_16_64 3
		.amdhsa_dx10_clamp 1
		.amdhsa_ieee_mode 1
		.amdhsa_fp16_overflow 0
		.amdhsa_tg_split 0
		.amdhsa_exception_fp_ieee_invalid_op 0
		.amdhsa_exception_fp_denorm_src 0
		.amdhsa_exception_fp_ieee_div_zero 0
		.amdhsa_exception_fp_ieee_overflow 0
		.amdhsa_exception_fp_ieee_underflow 0
		.amdhsa_exception_fp_ieee_inexact 0
		.amdhsa_exception_int_div_zero 0
	.end_amdhsa_kernel
	.section	.text._ZN5aiter30swiglu_act_and_mul_bias_kernelIttsfLi4EEEvPT0_PKT_PKT1_PKT2_il,"axG",@progbits,_ZN5aiter30swiglu_act_and_mul_bias_kernelIttsfLi4EEEvPT0_PKT_PKT1_PKT2_il,comdat
.Lfunc_end295:
	.size	_ZN5aiter30swiglu_act_and_mul_bias_kernelIttsfLi4EEEvPT0_PKT_PKT1_PKT2_il, .Lfunc_end295-_ZN5aiter30swiglu_act_and_mul_bias_kernelIttsfLi4EEEvPT0_PKT_PKT1_PKT2_il
                                        ; -- End function
	.section	.AMDGPU.csdata,"",@progbits
; Kernel info:
; codeLenInByte = 1228
; NumSgprs: 40
; NumVgprs: 30
; NumAgprs: 0
; TotalNumVgprs: 30
; ScratchSize: 0
; MemoryBound: 0
; FloatMode: 240
; IeeeMode: 1
; LDSByteSize: 0 bytes/workgroup (compile time only)
; SGPRBlocks: 4
; VGPRBlocks: 3
; NumSGPRsForWavesPerEU: 40
; NumVGPRsForWavesPerEU: 30
; AccumOffset: 32
; Occupancy: 8
; WaveLimiterHint : 0
; COMPUTE_PGM_RSRC2:SCRATCH_EN: 0
; COMPUTE_PGM_RSRC2:USER_SGPR: 2
; COMPUTE_PGM_RSRC2:TRAP_HANDLER: 0
; COMPUTE_PGM_RSRC2:TGID_X_EN: 1
; COMPUTE_PGM_RSRC2:TGID_Y_EN: 0
; COMPUTE_PGM_RSRC2:TGID_Z_EN: 0
; COMPUTE_PGM_RSRC2:TIDIG_COMP_CNT: 0
; COMPUTE_PGM_RSRC3_GFX90A:ACCUM_OFFSET: 7
; COMPUTE_PGM_RSRC3_GFX90A:TG_SPLIT: 0
	.section	.text._ZN5aiter30swiglu_act_and_mul_bias_kernelIttsfLi2EEEvPT0_PKT_PKT1_PKT2_il,"axG",@progbits,_ZN5aiter30swiglu_act_and_mul_bias_kernelIttsfLi2EEEvPT0_PKT_PKT1_PKT2_il,comdat
	.protected	_ZN5aiter30swiglu_act_and_mul_bias_kernelIttsfLi2EEEvPT0_PKT_PKT1_PKT2_il ; -- Begin function _ZN5aiter30swiglu_act_and_mul_bias_kernelIttsfLi2EEEvPT0_PKT_PKT1_PKT2_il
	.globl	_ZN5aiter30swiglu_act_and_mul_bias_kernelIttsfLi2EEEvPT0_PKT_PKT1_PKT2_il
	.p2align	8
	.type	_ZN5aiter30swiglu_act_and_mul_bias_kernelIttsfLi2EEEvPT0_PKT_PKT1_PKT2_il,@function
_ZN5aiter30swiglu_act_and_mul_bias_kernelIttsfLi2EEEvPT0_PKT_PKT1_PKT2_il: ; @_ZN5aiter30swiglu_act_and_mul_bias_kernelIttsfLi2EEEvPT0_PKT_PKT1_PKT2_il
; %bb.0:
	s_load_dword s20, s[0:1], 0x20
	s_load_dwordx2 s[4:5], s[0:1], 0x10
	s_load_dwordx2 s[6:7], s[0:1], 0x28
	s_mov_b32 s3, 0
	s_lshl_b64 s[8:9], s[2:3], 1
	s_waitcnt lgkmcnt(0)
	s_ashr_i32 s21, s20, 31
	s_add_u32 s4, s4, s8
	s_addc_u32 s5, s5, s9
	v_mov_b32_e32 v1, 0
	global_load_ushort v1, v1, s[4:5]
	s_mul_hi_u32 s3, s20, s2
	v_mov_b64_e32 v[2:3], s[6:7]
	s_mul_i32 s6, s21, s2
	s_add_i32 s7, s20, 1
	s_add_i32 s9, s3, s6
	s_lshr_b32 s3, s7, 31
	s_load_dwordx2 s[4:5], s[0:1], 0x0
	s_add_i32 s7, s7, s3
	s_lshl_b32 s3, s7, 1
	s_mul_i32 s8, s20, s2
	s_and_b32 s6, s3, -4
	s_lshl_b64 s[12:13], s[8:9], 1
	s_mov_b64 s[10:11], -1
	s_waitcnt vmcnt(0)
	v_readfirstlane_b32 s3, v1
	s_sext_i32_i16 s8, s3
	s_ashr_i32 s9, s8, 31
	s_waitcnt lgkmcnt(0)
	s_add_u32 s4, s4, s12
	s_addc_u32 s3, s5, s13
	s_and_b32 s5, s3, 0xffff
	s_cmp_gt_i32 s8, -1
	v_cmp_lt_i64_e32 vcc, s[8:9], v[2:3]
	s_cselect_b64 s[12:13], -1, 0
	s_and_b64 s[12:13], s[12:13], vcc
	s_and_b64 vcc, exec, s[12:13]
	v_lshlrev_b32_e32 v2, 1, v0
	s_cbranch_vccnz .LBB296_5
; %bb.1:
	v_cmp_gt_i32_e32 vcc, s20, v2
	s_and_saveexec_b64 s[10:11], vcc
	s_cbranch_execz .LBB296_4
; %bb.2:
	s_load_dword s3, s[0:1], 0x3c
	v_mov_b32_e32 v3, 0
	s_mov_b32 s13, 0
	v_lshlrev_b32_e32 v1, 2, v0
	s_mov_b64 s[14:15], 0
	s_waitcnt lgkmcnt(0)
	s_and_b32 s3, s3, 0xffff
	s_lshl_b32 s12, s3, 1
	s_lshl_b32 s3, s3, 2
	s_mov_b32 s7, 0x20000
	v_mov_b64_e32 v[4:5], v[2:3]
.LBB296_3:                              ; =>This Inner Loop Header: Depth=1
	v_lshl_add_u64 v[4:5], s[12:13], 0, v[4:5]
	v_cmp_le_i64_e32 vcc, s[20:21], v[4:5]
	buffer_store_dword v3, v1, s[4:7], 0 offen
	s_or_b64 s[14:15], vcc, s[14:15]
	v_add_u32_e32 v1, s3, v1
	s_andn2_b64 exec, exec, s[14:15]
	s_cbranch_execnz .LBB296_3
.LBB296_4:
	s_or_b64 exec, exec, s[10:11]
	s_mov_b64 s[10:11], 0
.LBB296_5:
	s_andn2_b64 vcc, exec, s[10:11]
	s_cbranch_vccnz .LBB296_9
; %bb.6:
	v_cmp_gt_i32_e32 vcc, s20, v2
	s_and_saveexec_b64 s[10:11], vcc
	s_cbranch_execz .LBB296_9
; %bb.7:
	s_load_dwordx2 s[12:13], s[0:1], 0x8
	s_load_dwordx2 s[10:11], s[0:1], 0x18
	s_mul_hi_i32 s9, s20, s8
	s_mul_i32 s8, s20, s8
	s_lshl_b64 s[8:9], s[8:9], 3
	s_load_dword s14, s[0:1], 0x3c
	s_waitcnt lgkmcnt(0)
	s_add_u32 s8, s10, s8
	s_addc_u32 s3, s11, s9
	s_lshl_b64 s[0:1], s[20:21], 2
	s_add_u32 s0, s8, s0
	s_addc_u32 s1, s3, s1
	s_and_b32 s9, s3, 0xffff
	s_mul_i32 s3, s2, s21
	s_mul_hi_u32 s15, s2, s20
	s_add_i32 s3, s15, s3
	s_mul_i32 s2, s2, s20
	s_lshl_b32 s10, s20, 2
	s_and_b32 s1, s1, 0xffff
	s_lshl_b64 s[2:3], s[2:3], 2
	s_add_u32 s12, s12, s2
	s_addc_u32 s13, s13, s3
	s_lshl_b64 s[2:3], s[20:21], 1
	s_add_u32 s16, s12, s2
	s_addc_u32 s2, s13, s3
	s_mov_b32 s7, 0x20000
	s_and_b32 s17, s2, 0xffff
	s_and_b32 s2, s14, 0xffff
	s_mov_b32 s11, s7
	s_and_b32 s13, s13, 0xffff
	s_mov_b32 s23, 0
	v_mov_b32_e32 v3, 0
	s_lshl_b32 s22, s2, 1
	v_lshlrev_b32_e32 v1, 3, v0
	s_lshl_b32 s26, s2, 3
	v_lshlrev_b32_e32 v0, 2, v0
	s_lshl_b32 s27, s2, 2
	s_mov_b64 s[24:25], 0
	s_mov_b32 s19, s7
	s_mov_b32 s18, s6
	;; [unrolled: 1-line block ×5, first 2 shown]
	v_mov_b32_e32 v4, 0x7f800000
	s_mov_b32 s31, 0xc0e00000
	v_mov_b32_e32 v5, 0x40e00000
	s_mov_b32 s33, 0x7060302
	s_mov_b32 s14, s6
	;; [unrolled: 1-line block ×3, first 2 shown]
.LBB296_8:                              ; =>This Inner Loop Header: Depth=1
	buffer_load_dword v11, v0, s[12:15], 0 offen
	buffer_load_dword v13, v0, s[16:19], 0 offen
	buffer_load_dwordx2 v[6:7], v1, s[8:11], 0 offen
	s_mov_b32 s2, s10
	s_mov_b32 s3, s11
	buffer_load_dwordx2 v[8:9], v1, s[0:3], 0 offen
	v_lshl_add_u64 v[2:3], s[22:23], 0, v[2:3]
	v_cmp_le_i64_e32 vcc, s[20:21], v[2:3]
	s_or_b64 s[24:25], vcc, s[24:25]
	v_add_u32_e32 v1, s26, v1
	s_waitcnt vmcnt(3)
	v_lshlrev_b32_e32 v10, 16, v11
	v_and_b32_e32 v11, 0xffff0000, v11
	s_waitcnt vmcnt(1)
	v_pk_add_f32 v[6:7], v[6:7], v[10:11]
	v_lshlrev_b32_e32 v12, 16, v13
	v_min_f32_e32 v6, 0x40e00000, v6
	v_min_f32_e32 v7, 0x40e00000, v7
	v_mul_f32_e32 v10, 0xbfd9db23, v6
	v_mul_f32_e32 v11, 0xbfd9db23, v7
	;; [unrolled: 1-line block ×4, first 2 shown]
	v_fma_f32 v16, v10, s28, -v14
	v_rndne_f32_e32 v17, v14
	v_fma_f32 v18, v11, s28, -v15
	v_rndne_f32_e32 v19, v15
	v_fmac_f32_e32 v16, 0x32a5705f, v10
	v_sub_f32_e32 v14, v14, v17
	v_fmac_f32_e32 v18, 0x32a5705f, v11
	v_sub_f32_e32 v15, v15, v19
	v_add_f32_e32 v14, v14, v16
	v_cvt_i32_f32_e32 v17, v17
	v_add_f32_e32 v15, v15, v18
	v_exp_f32_e32 v14, v14
	v_cvt_i32_f32_e32 v19, v19
	v_exp_f32_e32 v15, v15
	v_and_b32_e32 v13, 0xffff0000, v13
	s_waitcnt vmcnt(0)
	v_pk_add_f32 v[8:9], v[8:9], v[12:13]
	v_ldexp_f32 v12, v14, v17
	v_cmp_ngt_f32_e32 vcc, s29, v10
	v_ldexp_f32 v13, v15, v19
	v_med3_f32 v9, v9, s31, v5
	v_cndmask_b32_e32 v12, 0, v12, vcc
	v_cmp_ngt_f32_e32 vcc, s29, v11
	v_med3_f32 v8, v8, s31, v5
	v_pk_add_f32 v[8:9], v[8:9], 1.0 op_sel_hi:[1,0]
	v_cndmask_b32_e32 v13, 0, v13, vcc
	v_cmp_nlt_f32_e32 vcc, s30, v10
	s_nop 1
	v_cndmask_b32_e32 v10, v4, v12, vcc
	v_cmp_nlt_f32_e32 vcc, s30, v11
	v_add_f32_e32 v10, 1.0, v10
	v_rcp_f32_e32 v10, v10
	v_cndmask_b32_e32 v11, v4, v13, vcc
	v_add_f32_e32 v11, 1.0, v11
	v_rcp_f32_e32 v11, v11
	s_nop 0
	v_pk_mul_f32 v[6:7], v[6:7], v[10:11]
	s_nop 0
	v_pk_mul_f32 v[6:7], v[8:9], v[6:7]
	s_nop 0
	v_perm_b32 v6, v7, v6, s33
	buffer_store_dword v6, v0, s[4:7], 0 offen
	v_add_u32_e32 v0, s27, v0
	s_andn2_b64 exec, exec, s[24:25]
	s_cbranch_execnz .LBB296_8
.LBB296_9:
	s_endpgm
	.section	.rodata,"a",@progbits
	.p2align	6, 0x0
	.amdhsa_kernel _ZN5aiter30swiglu_act_and_mul_bias_kernelIttsfLi2EEEvPT0_PKT_PKT1_PKT2_il
		.amdhsa_group_segment_fixed_size 0
		.amdhsa_private_segment_fixed_size 0
		.amdhsa_kernarg_size 304
		.amdhsa_user_sgpr_count 2
		.amdhsa_user_sgpr_dispatch_ptr 0
		.amdhsa_user_sgpr_queue_ptr 0
		.amdhsa_user_sgpr_kernarg_segment_ptr 1
		.amdhsa_user_sgpr_dispatch_id 0
		.amdhsa_user_sgpr_kernarg_preload_length 0
		.amdhsa_user_sgpr_kernarg_preload_offset 0
		.amdhsa_user_sgpr_private_segment_size 0
		.amdhsa_uses_dynamic_stack 0
		.amdhsa_enable_private_segment 0
		.amdhsa_system_sgpr_workgroup_id_x 1
		.amdhsa_system_sgpr_workgroup_id_y 0
		.amdhsa_system_sgpr_workgroup_id_z 0
		.amdhsa_system_sgpr_workgroup_info 0
		.amdhsa_system_vgpr_workitem_id 0
		.amdhsa_next_free_vgpr 20
		.amdhsa_next_free_sgpr 34
		.amdhsa_accum_offset 20
		.amdhsa_reserve_vcc 1
		.amdhsa_float_round_mode_32 0
		.amdhsa_float_round_mode_16_64 0
		.amdhsa_float_denorm_mode_32 3
		.amdhsa_float_denorm_mode_16_64 3
		.amdhsa_dx10_clamp 1
		.amdhsa_ieee_mode 1
		.amdhsa_fp16_overflow 0
		.amdhsa_tg_split 0
		.amdhsa_exception_fp_ieee_invalid_op 0
		.amdhsa_exception_fp_denorm_src 0
		.amdhsa_exception_fp_ieee_div_zero 0
		.amdhsa_exception_fp_ieee_overflow 0
		.amdhsa_exception_fp_ieee_underflow 0
		.amdhsa_exception_fp_ieee_inexact 0
		.amdhsa_exception_int_div_zero 0
	.end_amdhsa_kernel
	.section	.text._ZN5aiter30swiglu_act_and_mul_bias_kernelIttsfLi2EEEvPT0_PKT_PKT1_PKT2_il,"axG",@progbits,_ZN5aiter30swiglu_act_and_mul_bias_kernelIttsfLi2EEEvPT0_PKT_PKT1_PKT2_il,comdat
.Lfunc_end296:
	.size	_ZN5aiter30swiglu_act_and_mul_bias_kernelIttsfLi2EEEvPT0_PKT_PKT1_PKT2_il, .Lfunc_end296-_ZN5aiter30swiglu_act_and_mul_bias_kernelIttsfLi2EEEvPT0_PKT_PKT1_PKT2_il
                                        ; -- End function
	.section	.AMDGPU.csdata,"",@progbits
; Kernel info:
; codeLenInByte = 956
; NumSgprs: 40
; NumVgprs: 20
; NumAgprs: 0
; TotalNumVgprs: 20
; ScratchSize: 0
; MemoryBound: 0
; FloatMode: 240
; IeeeMode: 1
; LDSByteSize: 0 bytes/workgroup (compile time only)
; SGPRBlocks: 4
; VGPRBlocks: 2
; NumSGPRsForWavesPerEU: 40
; NumVGPRsForWavesPerEU: 20
; AccumOffset: 20
; Occupancy: 8
; WaveLimiterHint : 0
; COMPUTE_PGM_RSRC2:SCRATCH_EN: 0
; COMPUTE_PGM_RSRC2:USER_SGPR: 2
; COMPUTE_PGM_RSRC2:TRAP_HANDLER: 0
; COMPUTE_PGM_RSRC2:TGID_X_EN: 1
; COMPUTE_PGM_RSRC2:TGID_Y_EN: 0
; COMPUTE_PGM_RSRC2:TGID_Z_EN: 0
; COMPUTE_PGM_RSRC2:TIDIG_COMP_CNT: 0
; COMPUTE_PGM_RSRC3_GFX90A:ACCUM_OFFSET: 4
; COMPUTE_PGM_RSRC3_GFX90A:TG_SPLIT: 0
	.section	.text._ZN5aiter30swiglu_act_and_mul_bias_kernelIttsfLi1EEEvPT0_PKT_PKT1_PKT2_il,"axG",@progbits,_ZN5aiter30swiglu_act_and_mul_bias_kernelIttsfLi1EEEvPT0_PKT_PKT1_PKT2_il,comdat
	.protected	_ZN5aiter30swiglu_act_and_mul_bias_kernelIttsfLi1EEEvPT0_PKT_PKT1_PKT2_il ; -- Begin function _ZN5aiter30swiglu_act_and_mul_bias_kernelIttsfLi1EEEvPT0_PKT_PKT1_PKT2_il
	.globl	_ZN5aiter30swiglu_act_and_mul_bias_kernelIttsfLi1EEEvPT0_PKT_PKT1_PKT2_il
	.p2align	8
	.type	_ZN5aiter30swiglu_act_and_mul_bias_kernelIttsfLi1EEEvPT0_PKT_PKT1_PKT2_il,@function
_ZN5aiter30swiglu_act_and_mul_bias_kernelIttsfLi1EEEvPT0_PKT_PKT1_PKT2_il: ; @_ZN5aiter30swiglu_act_and_mul_bias_kernelIttsfLi1EEEvPT0_PKT_PKT1_PKT2_il
; %bb.0:
	s_load_dword s20, s[0:1], 0x20
	s_load_dwordx2 s[4:5], s[0:1], 0x10
	s_load_dwordx2 s[6:7], s[0:1], 0x28
	s_mov_b32 s3, 0
	s_lshl_b64 s[8:9], s[2:3], 1
	s_waitcnt lgkmcnt(0)
	s_ashr_i32 s21, s20, 31
	s_add_u32 s4, s4, s8
	s_addc_u32 s5, s5, s9
	v_mov_b32_e32 v1, 0
	global_load_ushort v1, v1, s[4:5]
	s_mul_hi_u32 s3, s20, s2
	v_mov_b64_e32 v[2:3], s[6:7]
	s_mul_i32 s6, s21, s2
	s_add_i32 s7, s20, 1
	s_add_i32 s9, s3, s6
	s_lshr_b32 s3, s7, 31
	s_load_dwordx2 s[4:5], s[0:1], 0x0
	s_add_i32 s7, s7, s3
	s_lshl_b32 s3, s7, 1
	s_and_b32 s10, s3, -4
	s_mul_i32 s8, s20, s2
	s_lshl_b64 s[8:9], s[8:9], 1
	s_mov_b64 s[12:13], -1
	s_waitcnt vmcnt(0)
	v_readfirstlane_b32 s3, v1
	s_sext_i32_i16 s6, s3
	s_ashr_i32 s7, s6, 31
	s_waitcnt lgkmcnt(0)
	s_add_u32 s8, s4, s8
	s_addc_u32 s3, s5, s9
	s_and_b32 s9, s3, 0xffff
	s_cmp_gt_i32 s6, -1
	v_cmp_lt_i64_e32 vcc, s[6:7], v[2:3]
	s_cselect_b64 s[4:5], -1, 0
	s_and_b64 s[4:5], s[4:5], vcc
	s_and_b64 vcc, exec, s[4:5]
	v_cmp_gt_i32_e64 s[4:5], s20, v0
	s_cbranch_vccnz .LBB297_5
; %bb.1:
	s_and_saveexec_b64 s[12:13], s[4:5]
	s_cbranch_execz .LBB297_4
; %bb.2:
	s_load_dword s3, s[0:1], 0x3c
	v_mov_b32_e32 v1, 0
	s_mov_b32 s5, 0
	v_lshlrev_b32_e32 v4, 1, v0
	s_mov_b64 s[14:15], 0
	s_waitcnt lgkmcnt(0)
	s_and_b32 s4, s3, 0xffff
	s_lshl_b32 s3, s4, 1
	s_mov_b32 s11, 0x20000
	v_mov_b64_e32 v[2:3], v[0:1]
.LBB297_3:                              ; =>This Inner Loop Header: Depth=1
	v_lshl_add_u64 v[2:3], v[2:3], 0, s[4:5]
	v_cmp_le_i64_e32 vcc, s[20:21], v[2:3]
	buffer_store_short v1, v4, s[8:11], 0 offen
	s_or_b64 s[14:15], vcc, s[14:15]
	v_add_u32_e32 v4, s3, v4
	s_andn2_b64 exec, exec, s[14:15]
	s_cbranch_execnz .LBB297_3
.LBB297_4:
	s_or_b64 exec, exec, s[12:13]
	s_mov_b64 s[12:13], 0
.LBB297_5:
	s_andn2_b64 vcc, exec, s[12:13]
	s_cbranch_vccnz .LBB297_9
; %bb.6:
	v_cmp_gt_i32_e32 vcc, s20, v0
	s_and_saveexec_b64 s[4:5], vcc
	s_cbranch_execz .LBB297_9
; %bb.7:
	s_load_dwordx2 s[12:13], s[0:1], 0x8
	s_load_dwordx2 s[4:5], s[0:1], 0x18
	s_mul_hi_i32 s7, s20, s6
	s_mul_i32 s6, s20, s6
	s_lshl_b64 s[6:7], s[6:7], 3
	s_load_dword s14, s[0:1], 0x3c
	s_waitcnt lgkmcnt(0)
	s_add_u32 s4, s4, s6
	s_addc_u32 s3, s5, s7
	s_lshl_b64 s[0:1], s[20:21], 2
	s_add_u32 s0, s4, s0
	s_addc_u32 s1, s3, s1
	s_and_b32 s5, s3, 0xffff
	s_mul_i32 s3, s2, s21
	s_mul_hi_u32 s15, s2, s20
	s_add_i32 s3, s15, s3
	s_mul_i32 s2, s2, s20
	s_lshl_b32 s6, s20, 2
	s_and_b32 s1, s1, 0xffff
	s_lshl_b64 s[2:3], s[2:3], 2
	s_add_u32 s12, s12, s2
	s_addc_u32 s13, s13, s3
	s_lshl_b64 s[2:3], s[20:21], 1
	s_add_u32 s16, s12, s2
	s_mov_b32 s11, 0x20000
	s_addc_u32 s2, s13, s3
	s_and_b32 s22, s14, 0xffff
	s_mov_b32 s7, s11
	s_and_b32 s13, s13, 0xffff
	s_and_b32 s17, s2, 0xffff
	s_mov_b32 s23, 0
	v_mov_b32_e32 v1, 0
	v_lshlrev_b32_e32 v2, 2, v0
	s_lshl_b32 s26, s22, 2
	v_lshlrev_b32_e32 v3, 1, v0
	s_lshl_b32 s27, s22, 1
	s_mov_b64 s[24:25], 0
	s_mov_b32 s14, s10
	s_mov_b32 s15, s11
	;; [unrolled: 1-line block ×5, first 2 shown]
	v_mov_b32_e32 v4, 0x7f800000
	s_mov_b32 s18, s10
	s_mov_b32 s19, s11
.LBB297_8:                              ; =>This Inner Loop Header: Depth=1
	buffer_load_ushort v5, v3, s[12:15], 0 offen
	buffer_load_dword v6, v2, s[4:7], 0 offen
	buffer_load_ushort v7, v3, s[16:19], 0 offen
	s_mov_b32 s2, s6
	s_mov_b32 s3, s7
	buffer_load_dword v8, v2, s[0:3], 0 offen
	v_lshl_add_u64 v[0:1], v[0:1], 0, s[22:23]
	v_cmp_le_i64_e32 vcc, s[20:21], v[0:1]
	s_or_b64 s[24:25], vcc, s[24:25]
	v_add_u32_e32 v2, s26, v2
	s_waitcnt vmcnt(3)
	v_lshlrev_b32_e32 v5, 16, v5
	s_waitcnt vmcnt(2)
	v_add_f32_e32 v5, v5, v6
	v_min_f32_e32 v5, 0x40e00000, v5
	v_mul_f32_e32 v6, 0xbfd9db23, v5
	v_mul_f32_e32 v9, 0x3fb8aa3b, v6
	v_fma_f32 v10, v6, s28, -v9
	v_rndne_f32_e32 v11, v9
	v_fmac_f32_e32 v10, 0x32a5705f, v6
	v_sub_f32_e32 v9, v9, v11
	v_add_f32_e32 v9, v9, v10
	v_cvt_i32_f32_e32 v11, v11
	v_exp_f32_e32 v9, v9
	s_waitcnt vmcnt(1)
	v_lshlrev_b32_e32 v7, 16, v7
	s_waitcnt vmcnt(0)
	v_add_f32_e32 v7, v7, v8
	v_cmp_ngt_f32_e32 vcc, s29, v6
	v_ldexp_f32 v8, v9, v11
	v_max_f32_e32 v7, 0xc0e00000, v7
	v_cndmask_b32_e32 v8, 0, v8, vcc
	v_cmp_nlt_f32_e32 vcc, s30, v6
	v_min_f32_e32 v7, 0x40e00000, v7
	v_add_f32_e32 v7, 1.0, v7
	v_cndmask_b32_e32 v6, v4, v8, vcc
	v_add_f32_e32 v6, 1.0, v6
	v_rcp_f32_e32 v6, v6
	s_nop 0
	v_mul_f32_e32 v5, v5, v6
	v_mul_f32_e32 v5, v7, v5
	v_lshrrev_b32_e32 v5, 16, v5
	buffer_store_short v5, v3, s[8:11], 0 offen
	v_add_u32_e32 v3, s27, v3
	s_andn2_b64 exec, exec, s[24:25]
	s_cbranch_execnz .LBB297_8
.LBB297_9:
	s_endpgm
	.section	.rodata,"a",@progbits
	.p2align	6, 0x0
	.amdhsa_kernel _ZN5aiter30swiglu_act_and_mul_bias_kernelIttsfLi1EEEvPT0_PKT_PKT1_PKT2_il
		.amdhsa_group_segment_fixed_size 0
		.amdhsa_private_segment_fixed_size 0
		.amdhsa_kernarg_size 304
		.amdhsa_user_sgpr_count 2
		.amdhsa_user_sgpr_dispatch_ptr 0
		.amdhsa_user_sgpr_queue_ptr 0
		.amdhsa_user_sgpr_kernarg_segment_ptr 1
		.amdhsa_user_sgpr_dispatch_id 0
		.amdhsa_user_sgpr_kernarg_preload_length 0
		.amdhsa_user_sgpr_kernarg_preload_offset 0
		.amdhsa_user_sgpr_private_segment_size 0
		.amdhsa_uses_dynamic_stack 0
		.amdhsa_enable_private_segment 0
		.amdhsa_system_sgpr_workgroup_id_x 1
		.amdhsa_system_sgpr_workgroup_id_y 0
		.amdhsa_system_sgpr_workgroup_id_z 0
		.amdhsa_system_sgpr_workgroup_info 0
		.amdhsa_system_vgpr_workitem_id 0
		.amdhsa_next_free_vgpr 12
		.amdhsa_next_free_sgpr 31
		.amdhsa_accum_offset 12
		.amdhsa_reserve_vcc 1
		.amdhsa_float_round_mode_32 0
		.amdhsa_float_round_mode_16_64 0
		.amdhsa_float_denorm_mode_32 3
		.amdhsa_float_denorm_mode_16_64 3
		.amdhsa_dx10_clamp 1
		.amdhsa_ieee_mode 1
		.amdhsa_fp16_overflow 0
		.amdhsa_tg_split 0
		.amdhsa_exception_fp_ieee_invalid_op 0
		.amdhsa_exception_fp_denorm_src 0
		.amdhsa_exception_fp_ieee_div_zero 0
		.amdhsa_exception_fp_ieee_overflow 0
		.amdhsa_exception_fp_ieee_underflow 0
		.amdhsa_exception_fp_ieee_inexact 0
		.amdhsa_exception_int_div_zero 0
	.end_amdhsa_kernel
	.section	.text._ZN5aiter30swiglu_act_and_mul_bias_kernelIttsfLi1EEEvPT0_PKT_PKT1_PKT2_il,"axG",@progbits,_ZN5aiter30swiglu_act_and_mul_bias_kernelIttsfLi1EEEvPT0_PKT_PKT1_PKT2_il,comdat
.Lfunc_end297:
	.size	_ZN5aiter30swiglu_act_and_mul_bias_kernelIttsfLi1EEEvPT0_PKT_PKT1_PKT2_il, .Lfunc_end297-_ZN5aiter30swiglu_act_and_mul_bias_kernelIttsfLi1EEEvPT0_PKT_PKT1_PKT2_il
                                        ; -- End function
	.section	.AMDGPU.csdata,"",@progbits
; Kernel info:
; codeLenInByte = 784
; NumSgprs: 37
; NumVgprs: 12
; NumAgprs: 0
; TotalNumVgprs: 12
; ScratchSize: 0
; MemoryBound: 0
; FloatMode: 240
; IeeeMode: 1
; LDSByteSize: 0 bytes/workgroup (compile time only)
; SGPRBlocks: 4
; VGPRBlocks: 1
; NumSGPRsForWavesPerEU: 37
; NumVGPRsForWavesPerEU: 12
; AccumOffset: 12
; Occupancy: 8
; WaveLimiterHint : 0
; COMPUTE_PGM_RSRC2:SCRATCH_EN: 0
; COMPUTE_PGM_RSRC2:USER_SGPR: 2
; COMPUTE_PGM_RSRC2:TRAP_HANDLER: 0
; COMPUTE_PGM_RSRC2:TGID_X_EN: 1
; COMPUTE_PGM_RSRC2:TGID_Y_EN: 0
; COMPUTE_PGM_RSRC2:TGID_Z_EN: 0
; COMPUTE_PGM_RSRC2:TIDIG_COMP_CNT: 0
; COMPUTE_PGM_RSRC3_GFX90A:ACCUM_OFFSET: 2
; COMPUTE_PGM_RSRC3_GFX90A:TG_SPLIT: 0
	.section	.text._ZN5aiter30swiglu_act_and_mul_bias_kernelIftifLi16EEEvPT0_PKT_PKT1_PKT2_il,"axG",@progbits,_ZN5aiter30swiglu_act_and_mul_bias_kernelIftifLi16EEEvPT0_PKT_PKT1_PKT2_il,comdat
	.protected	_ZN5aiter30swiglu_act_and_mul_bias_kernelIftifLi16EEEvPT0_PKT_PKT1_PKT2_il ; -- Begin function _ZN5aiter30swiglu_act_and_mul_bias_kernelIftifLi16EEEvPT0_PKT_PKT1_PKT2_il
	.globl	_ZN5aiter30swiglu_act_and_mul_bias_kernelIftifLi16EEEvPT0_PKT_PKT1_PKT2_il
	.p2align	8
	.type	_ZN5aiter30swiglu_act_and_mul_bias_kernelIftifLi16EEEvPT0_PKT_PKT1_PKT2_il,@function
_ZN5aiter30swiglu_act_and_mul_bias_kernelIftifLi16EEEvPT0_PKT_PKT1_PKT2_il: ; @_ZN5aiter30swiglu_act_and_mul_bias_kernelIftifLi16EEEvPT0_PKT_PKT1_PKT2_il
; %bb.0:
	s_load_dwordx2 s[4:5], s[0:1], 0x10
	s_load_dword s58, s[0:1], 0x20
	s_load_dwordx2 s[8:9], s[0:1], 0x28
	s_mov_b32 s3, 0
	s_lshl_b64 s[6:7], s[2:3], 2
	s_waitcnt lgkmcnt(0)
	s_add_u32 s6, s4, s6
	s_addc_u32 s7, s5, s7
	s_load_dword s4, s[6:7], 0x0
	s_load_dwordx2 s[10:11], s[0:1], 0x0
	s_ashr_i32 s59, s58, 31
	s_mul_hi_u32 s3, s58, s2
	s_mul_i32 s14, s59, s2
	s_add_i32 s15, s3, s14
	s_mul_i32 s14, s58, s2
	s_waitcnt lgkmcnt(0)
	s_ashr_i32 s5, s4, 31
	s_lshl_b64 s[14:15], s[14:15], 1
	s_add_u32 s60, s10, s14
	s_addc_u32 s3, s11, s15
	s_add_i32 s10, s58, 1
	s_lshr_b32 s11, s10, 31
	v_mov_b64_e32 v[2:3], s[8:9]
	v_cmp_gt_i64_e64 s[12:13], s[4:5], -1
	s_add_i32 s10, s10, s11
	v_cmp_lt_i64_e32 vcc, s[4:5], v[2:3]
	s_lshl_b32 s10, s10, 1
	s_and_b64 s[8:9], s[12:13], vcc
	s_mov_b64 s[6:7], -1
	s_and_b32 s62, s10, -4
	s_and_b32 s61, s3, 0xffff
	s_and_b64 vcc, exec, s[8:9]
	v_lshlrev_b32_e32 v44, 4, v0
	s_cbranch_vccnz .LBB298_5
; %bb.1:
	v_cmp_gt_i32_e32 vcc, s58, v44
	s_and_saveexec_b64 s[6:7], vcc
	s_cbranch_execz .LBB298_4
; %bb.2:
	s_load_dword s3, s[0:1], 0x3c
	s_mov_b32 s9, 0
	s_mov_b32 s12, s9
	;; [unrolled: 1-line block ×3, first 2 shown]
	v_mov_b32_e32 v45, 0
	s_waitcnt lgkmcnt(0)
	s_and_b32 s3, s3, 0xffff
	s_mov_b32 s14, s9
	s_mov_b32 s15, s9
	v_mov_b64_e32 v[2:3], s[12:13]
	v_lshlrev_b32_e32 v1, 5, v0
	s_lshl_b32 s8, s3, 4
	s_lshl_b32 s3, s3, 5
	s_mov_b64 s[10:11], 0
	s_mov_b32 s63, 0x20000
	v_mov_b64_e32 v[4:5], s[14:15]
	v_mov_b64_e32 v[6:7], v[44:45]
.LBB298_3:                              ; =>This Inner Loop Header: Depth=1
	v_lshl_add_u64 v[6:7], s[8:9], 0, v[6:7]
	v_cmp_le_i64_e32 vcc, s[58:59], v[6:7]
	buffer_store_dwordx4 v[2:5], v1, s[60:63], 0 offen
	buffer_store_dwordx4 v[2:5], v1, s[60:63], 16 offen
	s_or_b64 s[10:11], vcc, s[10:11]
	v_add_u32_e32 v1, s3, v1
	s_andn2_b64 exec, exec, s[10:11]
	s_cbranch_execnz .LBB298_3
.LBB298_4:
	s_or_b64 exec, exec, s[6:7]
	s_mov_b64 s[6:7], 0
.LBB298_5:
	s_andn2_b64 vcc, exec, s[6:7]
	s_cbranch_vccnz .LBB298_9
; %bb.6:
	v_cmp_gt_i32_e32 vcc, s58, v44
	s_and_saveexec_b64 s[6:7], vcc
	s_cbranch_execz .LBB298_9
; %bb.7:
	s_load_dwordx2 s[6:7], s[0:1], 0x8
	s_load_dwordx2 s[8:9], s[0:1], 0x18
	s_mul_hi_i32 s5, s58, s4
	s_mul_i32 s4, s58, s4
	s_lshl_b32 s66, s58, 2
	s_lshl_b64 s[4:5], s[4:5], 3
	s_waitcnt lgkmcnt(0)
	s_add_u32 s64, s8, s4
	s_load_dword s10, s[0:1], 0x3c
	s_addc_u32 s3, s9, s5
	s_lshl_b64 s[0:1], s[58:59], 2
	s_add_u32 s68, s64, s0
	s_addc_u32 s4, s3, s1
	s_and_b32 s65, s3, 0xffff
	s_and_b32 s69, s4, 0xffff
	s_mul_i32 s3, s2, s59
	s_mul_hi_u32 s4, s2, s58
	s_add_i32 s3, s4, s3
	s_mul_i32 s2, s2, s58
	s_lshl_b64 s[2:3], s[2:3], 3
	s_add_u32 s72, s6, s2
	s_addc_u32 s2, s7, s3
	s_add_u32 s76, s72, s0
	s_addc_u32 s0, s2, s1
	s_mov_b32 s63, 0x20000
	s_and_b32 s77, s0, 0xffff
	s_waitcnt lgkmcnt(0)
	s_and_b32 s0, s10, 0xffff
	s_mov_b32 s67, s63
	s_and_b32 s73, s2, 0xffff
	s_mov_b32 s81, 0
	v_mov_b32_e32 v45, 0
	s_lshl_b32 s80, s0, 4
	v_lshlrev_b32_e32 v54, 5, v0
	s_lshl_b32 s33, s0, 5
	v_lshlrev_b32_e32 v55, 6, v0
	s_lshl_b32 s84, s0, 6
	s_mov_b64 s[82:83], 0
	s_mov_b32 s74, s66
	s_mov_b32 s75, s63
	;; [unrolled: 1-line block ×5, first 2 shown]
	v_mov_b32_e32 v56, 0x7f800000
	s_mov_b32 s88, 0xc0e00000
	v_mov_b32_e32 v57, 0x40e00000
	s_mov_b32 s89, 0x7060302
	s_mov_b32 s78, s66
	;; [unrolled: 1-line block ×3, first 2 shown]
.LBB298_8:                              ; =>This Inner Loop Header: Depth=1
	buffer_load_dwordx4 v[20:23], v55, s[72:75], 0 offen
	buffer_load_dwordx4 v[24:27], v55, s[64:67], 0 offen
	;; [unrolled: 1-line block ×12, first 2 shown]
	s_mov_b32 s70, s66
	s_mov_b32 s71, s67
	buffer_load_dwordx4 v[16:19], v55, s[68:71], 0 offen
	v_lshl_add_u64 v[44:45], s[80:81], 0, v[44:45]
	v_cmp_le_i64_e64 s[52:53], s[58:59], v[44:45]
	s_or_b64 s[82:83], s[52:53], s[82:83]
	s_waitcnt vmcnt(11)
	v_pk_add_f32 v[46:47], v[22:23], v[26:27]
	v_pk_add_f32 v[48:49], v[20:21], v[24:25]
	buffer_load_dwordx4 v[20:23], v55, s[68:71], 16 offen
	buffer_load_dwordx4 v[24:27], v55, s[68:71], 32 offen
	s_waitcnt vmcnt(9)
	v_pk_add_f32 v[42:43], v[38:39], v[42:43]
	v_pk_add_f32 v[40:41], v[36:37], v[40:41]
	buffer_load_dwordx4 v[36:39], v55, s[68:71], 48 offen
	v_pk_add_f32 v[50:51], v[60:61], v[64:65]
	s_waitcnt vmcnt(8)
	v_pk_add_f32 v[60:61], v[28:29], v[32:33]
	v_min_f32_e32 v28, 0x40e00000, v48
	v_min_f32_e32 v29, 0x40e00000, v49
	v_pk_add_f32 v[52:53], v[58:59], v[62:63]
	v_pk_add_f32 v[58:59], v[30:31], v[34:35]
	s_waitcnt vmcnt(3)
	v_pk_add_f32 v[8:9], v[8:9], v[16:17]
	v_min_f32_e32 v30, 0x40e00000, v46
	v_min_f32_e32 v31, 0x40e00000, v47
	;; [unrolled: 1-line block ×3, first 2 shown]
	v_pk_add_f32 v[10:11], v[10:11], v[18:19]
	v_min_f32_e32 v32, 0x40e00000, v52
	v_min_f32_e32 v33, 0x40e00000, v53
	;; [unrolled: 1-line block ×6, first 2 shown]
	v_mul_f32_e32 v50, 0xbfd9db23, v40
	v_min_f32_e32 v42, 0x40e00000, v42
	v_mul_f32_e32 v51, 0xbfd9db23, v41
	v_mul_f32_e32 v53, 0x3fb8aa3b, v50
	v_min_f32_e32 v46, 0x40e00000, v60
	v_mul_f32_e32 v52, 0xbfd9db23, v42
	v_mul_f32_e32 v60, 0x3fb8aa3b, v51
	v_min_f32_e32 v43, 0x40e00000, v43
	v_min_f32_e32 v47, 0x40e00000, v61
	v_cmp_ngt_f32_e64 s[24:25], s86, v50
	v_cmp_nlt_f32_e64 s[14:15], s87, v50
	v_mul_f32_e32 v61, 0x3fb8aa3b, v52
	v_cmp_ngt_f32_e64 s[26:27], s86, v51
	v_cmp_nlt_f32_e64 s[16:17], s87, v51
	v_fma_f32 v62, v52, s85, -v61
	v_cmp_ngt_f32_e64 s[28:29], s86, v52
	v_cmp_nlt_f32_e64 s[18:19], s87, v52
	v_fmac_f32_e32 v62, 0x32a5705f, v52
	v_min_f32_e32 v49, 0x40e00000, v59
	v_add_u32_e32 v55, s84, v55
	s_waitcnt vmcnt(2)
	v_pk_add_f32 v[12:13], v[12:13], v[20:21]
	s_waitcnt vmcnt(1)
	v_pk_add_f32 v[16:17], v[2:3], v[26:27]
	v_pk_add_f32 v[20:21], v[0:1], v[24:25]
	v_mul_f32_e32 v24, 0xbfd9db23, v28
	v_mul_f32_e32 v25, 0xbfd9db23, v29
	v_med3_f32 v2, v8, s88, v57
	v_med3_f32 v8, v16, s88, v57
	v_mul_f32_e32 v16, 0x3fb8aa3b, v24
	s_waitcnt vmcnt(0)
	v_pk_add_f32 v[18:19], v[6:7], v[38:39]
	v_mul_f32_e32 v26, 0xbfd9db23, v30
	v_med3_f32 v3, v9, s88, v57
	v_med3_f32 v9, v17, s88, v57
	v_mul_f32_e32 v17, 0x3fb8aa3b, v25
	v_fma_f32 v58, v24, s85, -v16
	v_mul_f32_e32 v27, 0xbfd9db23, v31
	v_med3_f32 v6, v12, s88, v57
	v_med3_f32 v12, v18, s88, v57
	v_cmp_ngt_f32_e64 s[42:43], s86, v24
	v_cmp_nlt_f32_e32 vcc, s87, v24
	v_mul_f32_e32 v18, 0x3fb8aa3b, v26
	v_fmac_f32_e32 v58, 0x32a5705f, v24
	v_fma_f32 v24, v25, s85, -v17
	v_pk_add_f32 v[14:15], v[14:15], v[22:23]
	v_pk_add_f32 v[22:23], v[4:5], v[36:37]
	v_mul_f32_e32 v36, 0xbfd9db23, v32
	v_med3_f32 v7, v13, s88, v57
	v_med3_f32 v13, v19, s88, v57
	v_cmp_ngt_f32_e64 s[44:45], s86, v25
	v_cmp_nlt_f32_e64 s[0:1], s87, v25
	v_mul_f32_e32 v19, 0x3fb8aa3b, v27
	v_fmac_f32_e32 v24, 0x32a5705f, v25
	v_fma_f32 v25, v26, s85, -v18
	v_mul_f32_e32 v37, 0xbfd9db23, v33
	v_med3_f32 v0, v10, s88, v57
	v_med3_f32 v10, v20, s88, v57
	v_cmp_ngt_f32_e64 s[46:47], s86, v26
	v_cmp_nlt_f32_e64 s[2:3], s87, v26
	v_mul_f32_e32 v20, 0x3fb8aa3b, v36
	v_fmac_f32_e32 v25, 0x32a5705f, v26
	v_fma_f32 v26, v27, s85, -v19
	;; [unrolled: 8-line block ×4, first 2 shown]
	v_med3_f32 v5, v15, s88, v57
	v_med3_f32 v15, v23, s88, v57
	v_cmp_ngt_f32_e64 s[40:41], s86, v37
	v_cmp_nlt_f32_e64 s[8:9], s87, v37
	v_mul_f32_e32 v23, 0x3fb8aa3b, v39
	v_fmac_f32_e32 v36, 0x32a5705f, v37
	v_fma_f32 v37, v38, s85, -v22
	v_rndne_f32_e32 v66, v16
	v_cmp_ngt_f32_e64 s[20:21], s86, v38
	v_cmp_nlt_f32_e64 s[10:11], s87, v38
	v_fmac_f32_e32 v37, 0x32a5705f, v38
	v_fma_f32 v38, v39, s85, -v23
	v_sub_f32_e32 v16, v16, v66
	v_rndne_f32_e32 v68, v17
	v_cmp_ngt_f32_e64 s[22:23], s86, v39
	v_cmp_nlt_f32_e64 s[12:13], s87, v39
	v_fmac_f32_e32 v38, 0x32a5705f, v39
	v_fma_f32 v39, v50, s85, -v53
	v_add_f32_e32 v67, v16, v58
	v_sub_f32_e32 v16, v17, v68
	v_rndne_f32_e32 v70, v18
	v_fmac_f32_e32 v39, 0x32a5705f, v50
	v_fma_f32 v50, v51, s85, -v60
	v_add_f32_e32 v69, v16, v24
	v_sub_f32_e32 v16, v18, v70
	v_rndne_f32_e32 v72, v19
	v_fmac_f32_e32 v50, 0x32a5705f, v51
	v_mul_f32_e32 v51, 0xbfd9db23, v43
	v_add_f32_e32 v71, v16, v25
	v_sub_f32_e32 v16, v19, v72
	v_rndne_f32_e32 v74, v20
	v_mul_f32_e32 v52, 0x3fb8aa3b, v51
	v_add_f32_e32 v73, v16, v26
	v_sub_f32_e32 v16, v20, v74
	v_rndne_f32_e32 v58, v21
	v_fma_f32 v63, v51, s85, -v52
	v_add_f32_e32 v75, v16, v27
	v_sub_f32_e32 v16, v21, v58
	v_cmp_ngt_f32_e64 s[36:37], s86, v51
	v_cmp_nlt_f32_e64 s[30:31], s87, v51
	v_fmac_f32_e32 v63, 0x32a5705f, v51
	v_mul_f32_e32 v51, 0xbfd9db23, v46
	v_add_f32_e32 v59, v16, v36
	v_rndne_f32_e32 v16, v22
	v_mul_f32_e32 v64, 0x3fb8aa3b, v51
	v_sub_f32_e32 v17, v22, v16
	v_rndne_f32_e32 v18, v23
	v_fma_f32 v65, v51, s85, -v64
	v_add_f32_e32 v19, v17, v37
	v_sub_f32_e32 v17, v23, v18
	v_cmp_ngt_f32_e64 s[38:39], s86, v51
	v_cmp_nlt_f32_e64 s[34:35], s87, v51
	v_fmac_f32_e32 v65, 0x32a5705f, v51
	v_add_f32_e32 v51, v17, v38
	v_rndne_f32_e32 v17, v53
	v_sub_f32_e32 v20, v53, v17
	v_rndne_f32_e32 v23, v60
	v_add_f32_e32 v39, v20, v39
	v_sub_f32_e32 v20, v60, v23
	v_mul_f32_e32 v60, 0xbfd9db23, v47
	v_mul_f32_e32 v27, 0x3fb8aa3b, v60
	v_rndne_f32_e32 v25, v61
	v_fma_f32 v37, v60, s85, -v27
	v_rndne_f32_e32 v38, v27
	v_sub_f32_e32 v21, v61, v25
	v_fmac_f32_e32 v37, 0x32a5705f, v60
	v_sub_f32_e32 v27, v27, v38
	v_mul_f32_e32 v61, 0xbfd9db23, v48
	v_rndne_f32_e32 v26, v52
	v_add_f32_e32 v27, v27, v37
	v_mul_f32_e32 v37, 0x3fb8aa3b, v61
	v_add_f32_e32 v20, v20, v50
	v_sub_f32_e32 v22, v52, v26
	v_fma_f32 v50, v61, s85, -v37
	v_rndne_f32_e32 v52, v37
	v_add_f32_e32 v21, v21, v62
	v_fmac_f32_e32 v50, 0x32a5705f, v61
	v_sub_f32_e32 v37, v37, v52
	v_mul_f32_e32 v62, 0xbfd9db23, v49
	v_add_f32_e32 v37, v37, v50
	v_mul_f32_e32 v50, 0x3fb8aa3b, v62
	v_add_f32_e32 v22, v22, v63
	v_fma_f32 v63, v62, s85, -v50
	v_rndne_f32_e32 v53, v50
	v_rndne_f32_e32 v36, v64
	v_fmac_f32_e32 v63, 0x32a5705f, v62
	v_sub_f32_e32 v50, v50, v53
	v_sub_f32_e32 v24, v64, v36
	v_add_f32_e32 v50, v50, v63
	v_cvt_i32_f32_e32 v63, v66
	v_exp_f32_e32 v64, v67
	v_add_f32_e32 v24, v24, v65
	v_exp_f32_e32 v65, v69
	v_cvt_i32_f32_e32 v58, v58
	v_ldexp_f32 v63, v64, v63
	v_cvt_i32_f32_e32 v64, v68
	v_exp_f32_e32 v59, v59
	v_cvt_i32_f32_e32 v16, v16
	v_exp_f32_e32 v19, v19
	v_ldexp_f32 v64, v65, v64
	v_cvt_i32_f32_e32 v65, v70
	v_exp_f32_e32 v66, v71
	v_ldexp_f32 v58, v59, v58
	v_ldexp_f32 v59, v19, v16
	v_cvt_i32_f32_e32 v16, v18
	v_exp_f32_e32 v18, v51
	v_ldexp_f32 v65, v66, v65
	v_cvt_i32_f32_e32 v66, v72
	v_exp_f32_e32 v67, v73
	v_cndmask_b32_e64 v51, 0, v58, s[40:41]
	v_ldexp_f32 v58, v18, v16
	v_cvt_i32_f32_e32 v16, v17
	v_exp_f32_e32 v17, v39
	v_ldexp_f32 v66, v67, v66
	v_cvt_i32_f32_e32 v67, v74
	v_exp_f32_e32 v68, v75
	v_ldexp_f32 v39, v17, v16
	v_pk_add_f32 v[16:17], v[0:1], 1.0 op_sel_hi:[1,0]
	v_pk_add_f32 v[0:1], v[6:7], 1.0 op_sel_hi:[1,0]
	;; [unrolled: 1-line block ×5, first 2 shown]
	v_cvt_i32_f32_e32 v12, v23
	v_cvt_i32_f32_e32 v13, v25
	;; [unrolled: 1-line block ×7, first 2 shown]
	v_exp_f32_e32 v20, v20
	v_exp_f32_e32 v21, v21
	;; [unrolled: 1-line block ×7, first 2 shown]
	v_ldexp_f32 v67, v68, v67
	v_cmp_ngt_f32_e64 s[52:53], s86, v60
	v_cmp_nlt_f32_e64 s[54:55], s87, v60
	v_cndmask_b32_e64 v60, 0, v63, s[42:43]
	v_cmp_ngt_f32_e64 s[56:57], s86, v61
	v_cndmask_b32_e64 v63, 0, v64, s[44:45]
	v_cmp_nlt_f32_e64 s[42:43], s87, v61
	v_cndmask_b32_e64 v61, 0, v65, s[46:47]
	v_cmp_ngt_f32_e64 s[46:47], s86, v62
	v_cndmask_b32_e64 v64, 0, v66, s[48:49]
	v_cmp_nlt_f32_e64 s[44:45], s87, v62
	v_cndmask_b32_e64 v62, 0, v67, s[50:51]
	v_ldexp_f32 v12, v20, v12
	v_ldexp_f32 v13, v21, v13
	;; [unrolled: 1-line block ×7, first 2 shown]
	v_cndmask_b32_e64 v23, 0, v59, s[20:21]
	v_cndmask_b32_e64 v24, 0, v58, s[22:23]
	;; [unrolled: 1-line block ×10, first 2 shown]
	v_cndmask_b32_e32 v26, v56, v60, vcc
	v_cndmask_b32_e64 v27, v56, v63, s[0:1]
	v_cndmask_b32_e64 v36, v56, v61, s[2:3]
	;; [unrolled: 1-line block ×15, first 2 shown]
	v_add_f32_e32 v26, 1.0, v26
	v_add_f32_e32 v27, 1.0, v27
	;; [unrolled: 1-line block ×16, first 2 shown]
	v_rcp_f32_e32 v12, v26
	v_rcp_f32_e32 v13, v27
	;; [unrolled: 1-line block ×16, first 2 shown]
	v_pk_add_f32 v[4:5], v[4:5], 1.0 op_sel_hi:[1,0]
	v_pk_mul_f32 v[12:13], v[28:29], v[12:13]
	v_pk_mul_f32 v[14:15], v[30:31], v[14:15]
	;; [unrolled: 1-line block ×4, first 2 shown]
	v_pk_add_f32 v[8:9], v[8:9], 1.0 op_sel_hi:[1,0]
	v_pk_add_f32 v[10:11], v[10:11], 1.0 op_sel_hi:[1,0]
	v_pk_mul_f32 v[24:25], v[40:41], v[24:25]
	v_pk_mul_f32 v[26:27], v[42:43], v[26:27]
	;; [unrolled: 1-line block ×12, first 2 shown]
	v_perm_b32 v3, v5, v4, s89
	v_perm_b32 v1, v15, v14, s89
	;; [unrolled: 1-line block ×8, first 2 shown]
	buffer_store_dwordx4 v[0:3], v54, s[60:63], 0 offen
	buffer_store_dwordx4 v[4:7], v54, s[60:63], 16 offen
	v_add_u32_e32 v54, s33, v54
	s_andn2_b64 exec, exec, s[82:83]
	s_cbranch_execnz .LBB298_8
.LBB298_9:
	s_endpgm
	.section	.rodata,"a",@progbits
	.p2align	6, 0x0
	.amdhsa_kernel _ZN5aiter30swiglu_act_and_mul_bias_kernelIftifLi16EEEvPT0_PKT_PKT1_PKT2_il
		.amdhsa_group_segment_fixed_size 0
		.amdhsa_private_segment_fixed_size 0
		.amdhsa_kernarg_size 304
		.amdhsa_user_sgpr_count 2
		.amdhsa_user_sgpr_dispatch_ptr 0
		.amdhsa_user_sgpr_queue_ptr 0
		.amdhsa_user_sgpr_kernarg_segment_ptr 1
		.amdhsa_user_sgpr_dispatch_id 0
		.amdhsa_user_sgpr_kernarg_preload_length 0
		.amdhsa_user_sgpr_kernarg_preload_offset 0
		.amdhsa_user_sgpr_private_segment_size 0
		.amdhsa_uses_dynamic_stack 0
		.amdhsa_enable_private_segment 0
		.amdhsa_system_sgpr_workgroup_id_x 1
		.amdhsa_system_sgpr_workgroup_id_y 0
		.amdhsa_system_sgpr_workgroup_id_z 0
		.amdhsa_system_sgpr_workgroup_info 0
		.amdhsa_system_vgpr_workitem_id 0
		.amdhsa_next_free_vgpr 76
		.amdhsa_next_free_sgpr 90
		.amdhsa_accum_offset 76
		.amdhsa_reserve_vcc 1
		.amdhsa_float_round_mode_32 0
		.amdhsa_float_round_mode_16_64 0
		.amdhsa_float_denorm_mode_32 3
		.amdhsa_float_denorm_mode_16_64 3
		.amdhsa_dx10_clamp 1
		.amdhsa_ieee_mode 1
		.amdhsa_fp16_overflow 0
		.amdhsa_tg_split 0
		.amdhsa_exception_fp_ieee_invalid_op 0
		.amdhsa_exception_fp_denorm_src 0
		.amdhsa_exception_fp_ieee_div_zero 0
		.amdhsa_exception_fp_ieee_overflow 0
		.amdhsa_exception_fp_ieee_underflow 0
		.amdhsa_exception_fp_ieee_inexact 0
		.amdhsa_exception_int_div_zero 0
	.end_amdhsa_kernel
	.section	.text._ZN5aiter30swiglu_act_and_mul_bias_kernelIftifLi16EEEvPT0_PKT_PKT1_PKT2_il,"axG",@progbits,_ZN5aiter30swiglu_act_and_mul_bias_kernelIftifLi16EEEvPT0_PKT_PKT1_PKT2_il,comdat
.Lfunc_end298:
	.size	_ZN5aiter30swiglu_act_and_mul_bias_kernelIftifLi16EEEvPT0_PKT_PKT1_PKT2_il, .Lfunc_end298-_ZN5aiter30swiglu_act_and_mul_bias_kernelIftifLi16EEEvPT0_PKT_PKT1_PKT2_il
                                        ; -- End function
	.section	.AMDGPU.csdata,"",@progbits
; Kernel info:
; codeLenInByte = 3040
; NumSgprs: 96
; NumVgprs: 76
; NumAgprs: 0
; TotalNumVgprs: 76
; ScratchSize: 0
; MemoryBound: 0
; FloatMode: 240
; IeeeMode: 1
; LDSByteSize: 0 bytes/workgroup (compile time only)
; SGPRBlocks: 11
; VGPRBlocks: 9
; NumSGPRsForWavesPerEU: 96
; NumVGPRsForWavesPerEU: 76
; AccumOffset: 76
; Occupancy: 6
; WaveLimiterHint : 0
; COMPUTE_PGM_RSRC2:SCRATCH_EN: 0
; COMPUTE_PGM_RSRC2:USER_SGPR: 2
; COMPUTE_PGM_RSRC2:TRAP_HANDLER: 0
; COMPUTE_PGM_RSRC2:TGID_X_EN: 1
; COMPUTE_PGM_RSRC2:TGID_Y_EN: 0
; COMPUTE_PGM_RSRC2:TGID_Z_EN: 0
; COMPUTE_PGM_RSRC2:TIDIG_COMP_CNT: 0
; COMPUTE_PGM_RSRC3_GFX90A:ACCUM_OFFSET: 18
; COMPUTE_PGM_RSRC3_GFX90A:TG_SPLIT: 0
	.section	.text._ZN5aiter30swiglu_act_and_mul_bias_kernelIftifLi8EEEvPT0_PKT_PKT1_PKT2_il,"axG",@progbits,_ZN5aiter30swiglu_act_and_mul_bias_kernelIftifLi8EEEvPT0_PKT_PKT1_PKT2_il,comdat
	.protected	_ZN5aiter30swiglu_act_and_mul_bias_kernelIftifLi8EEEvPT0_PKT_PKT1_PKT2_il ; -- Begin function _ZN5aiter30swiglu_act_and_mul_bias_kernelIftifLi8EEEvPT0_PKT_PKT1_PKT2_il
	.globl	_ZN5aiter30swiglu_act_and_mul_bias_kernelIftifLi8EEEvPT0_PKT_PKT1_PKT2_il
	.p2align	8
	.type	_ZN5aiter30swiglu_act_and_mul_bias_kernelIftifLi8EEEvPT0_PKT_PKT1_PKT2_il,@function
_ZN5aiter30swiglu_act_and_mul_bias_kernelIftifLi8EEEvPT0_PKT_PKT1_PKT2_il: ; @_ZN5aiter30swiglu_act_and_mul_bias_kernelIftifLi8EEEvPT0_PKT_PKT1_PKT2_il
; %bb.0:
	s_load_dwordx2 s[4:5], s[0:1], 0x10
	s_load_dword s14, s[0:1], 0x20
	s_load_dwordx2 s[8:9], s[0:1], 0x28
	s_mov_b32 s3, 0
	s_lshl_b64 s[6:7], s[2:3], 2
	s_waitcnt lgkmcnt(0)
	s_add_u32 s6, s4, s6
	s_addc_u32 s7, s5, s7
	s_load_dword s4, s[6:7], 0x0
	s_load_dwordx2 s[10:11], s[0:1], 0x0
	s_ashr_i32 s15, s14, 31
	s_mul_hi_u32 s3, s14, s2
	s_mul_i32 s16, s15, s2
	s_add_i32 s17, s3, s16
	s_mul_i32 s16, s14, s2
	s_waitcnt lgkmcnt(0)
	s_ashr_i32 s5, s4, 31
	s_lshl_b64 s[16:17], s[16:17], 1
	s_add_u32 s16, s10, s16
	s_addc_u32 s3, s11, s17
	s_add_i32 s10, s14, 1
	s_lshr_b32 s11, s10, 31
	v_mov_b64_e32 v[2:3], s[8:9]
	v_cmp_gt_i64_e64 s[12:13], s[4:5], -1
	s_add_i32 s10, s10, s11
	v_cmp_lt_i64_e32 vcc, s[4:5], v[2:3]
	s_lshl_b32 s10, s10, 1
	s_and_b64 s[8:9], s[12:13], vcc
	s_mov_b64 s[6:7], -1
	s_and_b32 s18, s10, -4
	s_and_b32 s17, s3, 0xffff
	s_and_b64 vcc, exec, s[8:9]
	v_lshlrev_b32_e32 v24, 3, v0
	s_cbranch_vccnz .LBB299_5
; %bb.1:
	v_cmp_gt_i32_e32 vcc, s14, v24
	s_and_saveexec_b64 s[6:7], vcc
	s_cbranch_execz .LBB299_4
; %bb.2:
	s_load_dword s3, s[0:1], 0x3c
	v_mov_b32_e32 v25, 0
	s_mov_b32 s9, 0
	v_lshlrev_b32_e32 v1, 4, v0
	s_mov_b64 s[10:11], 0
	s_waitcnt lgkmcnt(0)
	s_and_b32 s3, s3, 0xffff
	s_lshl_b32 s8, s3, 3
	s_lshl_b32 s3, s3, 4
	s_mov_b32 s19, 0x20000
	v_mov_b32_e32 v2, v25
	v_mov_b32_e32 v3, v25
	;; [unrolled: 1-line block ×4, first 2 shown]
	v_mov_b64_e32 v[6:7], v[24:25]
.LBB299_3:                              ; =>This Inner Loop Header: Depth=1
	v_lshl_add_u64 v[6:7], s[8:9], 0, v[6:7]
	v_cmp_le_i64_e32 vcc, s[14:15], v[6:7]
	buffer_store_dwordx4 v[2:5], v1, s[16:19], 0 offen
	s_or_b64 s[10:11], vcc, s[10:11]
	v_add_u32_e32 v1, s3, v1
	s_andn2_b64 exec, exec, s[10:11]
	s_cbranch_execnz .LBB299_3
.LBB299_4:
	s_or_b64 exec, exec, s[6:7]
	s_mov_b64 s[6:7], 0
.LBB299_5:
	s_andn2_b64 vcc, exec, s[6:7]
	s_cbranch_vccnz .LBB299_9
; %bb.6:
	v_cmp_gt_i32_e32 vcc, s14, v24
	s_and_saveexec_b64 s[6:7], vcc
	s_cbranch_execz .LBB299_9
; %bb.7:
	s_load_dwordx2 s[6:7], s[0:1], 0x8
	s_load_dwordx2 s[8:9], s[0:1], 0x18
	s_mul_hi_i32 s5, s14, s4
	s_mul_i32 s4, s14, s4
	s_lshl_b32 s22, s14, 2
	s_lshl_b64 s[4:5], s[4:5], 3
	s_waitcnt lgkmcnt(0)
	s_add_u32 s20, s8, s4
	s_load_dword s10, s[0:1], 0x3c
	s_addc_u32 s3, s9, s5
	s_lshl_b64 s[0:1], s[14:15], 2
	s_add_u32 s24, s20, s0
	s_addc_u32 s4, s3, s1
	s_and_b32 s21, s3, 0xffff
	s_and_b32 s25, s4, 0xffff
	s_mul_i32 s3, s2, s15
	s_mul_hi_u32 s4, s2, s14
	s_add_i32 s3, s4, s3
	s_mul_i32 s2, s2, s14
	s_lshl_b64 s[2:3], s[2:3], 3
	s_add_u32 s28, s6, s2
	s_addc_u32 s2, s7, s3
	s_add_u32 s36, s28, s0
	s_addc_u32 s0, s2, s1
	s_mov_b32 s19, 0x20000
	s_and_b32 s37, s0, 0xffff
	s_waitcnt lgkmcnt(0)
	s_and_b32 s0, s10, 0xffff
	s_mov_b32 s23, s19
	s_and_b32 s29, s2, 0xffff
	s_mov_b32 s35, 0
	v_mov_b32_e32 v25, 0
	s_lshl_b32 s34, s0, 3
	v_lshlrev_b32_e32 v26, 4, v0
	s_lshl_b32 s33, s0, 4
	v_lshlrev_b32_e32 v27, 5, v0
	s_lshl_b32 s42, s0, 5
	s_mov_b64 s[40:41], 0
	s_mov_b32 s30, s22
	s_mov_b32 s31, s19
	;; [unrolled: 1-line block ×5, first 2 shown]
	v_mov_b32_e32 v28, 0x7f800000
	s_mov_b32 s46, 0xc0e00000
	v_mov_b32_e32 v29, 0x40e00000
	s_mov_b32 s47, 0x7060302
	s_mov_b32 s38, s22
	;; [unrolled: 1-line block ×3, first 2 shown]
.LBB299_8:                              ; =>This Inner Loop Header: Depth=1
	buffer_load_dwordx4 v[12:15], v27, s[20:23], 0 offen
	buffer_load_dwordx4 v[16:19], v27, s[28:31], 0 offen
	;; [unrolled: 1-line block ×6, first 2 shown]
	s_mov_b32 s26, s22
	s_mov_b32 s27, s23
	buffer_load_dwordx4 v[30:33], v27, s[24:27], 0 offen
	buffer_load_dwordx4 v[34:37], v27, s[24:27], 16 offen
	v_lshl_add_u64 v[24:25], s[34:35], 0, v[24:25]
	v_cmp_le_i64_e32 vcc, s[14:15], v[24:25]
	s_or_b64 s[40:41], vcc, s[40:41]
	v_add_u32_e32 v27, s42, v27
	s_waitcnt vmcnt(6)
	v_pk_add_f32 v[14:15], v[18:19], v[14:15]
	v_pk_add_f32 v[12:13], v[16:17], v[12:13]
	s_waitcnt vmcnt(4)
	v_pk_add_f32 v[16:17], v[10:11], v[22:23]
	v_pk_add_f32 v[18:19], v[8:9], v[20:21]
	v_min_f32_e32 v9, 0x40e00000, v13
	v_min_f32_e32 v8, 0x40e00000, v12
	;; [unrolled: 1-line block ×8, first 2 shown]
	v_mul_f32_e32 v16, 0xbfd9db23, v8
	v_mul_f32_e32 v17, 0xbfd9db23, v9
	;; [unrolled: 1-line block ×8, first 2 shown]
	s_waitcnt vmcnt(1)
	v_pk_add_f32 v[2:3], v[2:3], v[32:33]
	s_waitcnt vmcnt(0)
	v_pk_add_f32 v[6:7], v[6:7], v[36:37]
	v_pk_add_f32 v[0:1], v[0:1], v[30:31]
	;; [unrolled: 1-line block ×3, first 2 shown]
	v_mul_f32_e32 v30, 0x3fb8aa3b, v16
	v_mul_f32_e32 v31, 0x3fb8aa3b, v17
	;; [unrolled: 1-line block ×8, first 2 shown]
	v_fma_f32 v38, v16, s43, -v30
	v_rndne_f32_e32 v39, v30
	v_fma_f32 v40, v17, s43, -v31
	v_rndne_f32_e32 v41, v31
	;; [unrolled: 2-line block ×8, first 2 shown]
	v_fmac_f32_e32 v38, 0x32a5705f, v16
	v_sub_f32_e32 v30, v30, v39
	v_fmac_f32_e32 v40, 0x32a5705f, v17
	v_sub_f32_e32 v31, v31, v41
	;; [unrolled: 2-line block ×8, first 2 shown]
	v_add_f32_e32 v30, v30, v38
	v_add_f32_e32 v31, v31, v40
	;; [unrolled: 1-line block ×8, first 2 shown]
	v_cvt_i32_f32_e32 v39, v39
	v_cvt_i32_f32_e32 v41, v41
	v_cvt_i32_f32_e32 v43, v43
	v_cvt_i32_f32_e32 v45, v45
	v_cvt_i32_f32_e32 v47, v47
	v_cvt_i32_f32_e32 v49, v49
	v_cvt_i32_f32_e32 v51, v51
	v_cvt_i32_f32_e32 v53, v53
	v_exp_f32_e32 v30, v30
	v_exp_f32_e32 v31, v31
	;; [unrolled: 1-line block ×8, first 2 shown]
	v_ldexp_f32 v30, v30, v39
	v_ldexp_f32 v31, v31, v41
	v_cmp_ngt_f32_e32 vcc, s44, v17
	v_ldexp_f32 v32, v32, v43
	v_cmp_ngt_f32_e64 s[0:1], s44, v18
	v_ldexp_f32 v33, v33, v45
	v_cmp_ngt_f32_e64 s[2:3], s44, v19
	;; [unrolled: 2-line block ×6, first 2 shown]
	v_cmp_ngt_f32_e64 s[12:13], s44, v16
	v_cndmask_b32_e32 v31, 0, v31, vcc
	v_cmp_nlt_f32_e32 vcc, s45, v17
	v_cndmask_b32_e64 v30, 0, v30, s[12:13]
	v_cndmask_b32_e64 v17, 0, v32, s[0:1]
	v_cmp_nlt_f32_e64 s[0:1], s45, v18
	v_cndmask_b32_e64 v18, 0, v33, s[2:3]
	v_cmp_nlt_f32_e64 s[2:3], s45, v19
	;; [unrolled: 2-line block ×6, first 2 shown]
	v_cmp_nlt_f32_e64 s[12:13], s45, v16
	v_cndmask_b32_e32 v23, v28, v31, vcc
	v_cndmask_b32_e64 v17, v28, v17, s[0:1]
	v_cndmask_b32_e64 v16, v28, v30, s[12:13]
	;; [unrolled: 1-line block ×7, first 2 shown]
	v_add_f32_e32 v16, 1.0, v16
	v_add_f32_e32 v23, 1.0, v23
	;; [unrolled: 1-line block ×8, first 2 shown]
	v_rcp_f32_e32 v16, v16
	v_rcp_f32_e32 v17, v23
	;; [unrolled: 1-line block ×8, first 2 shown]
	v_med3_f32 v3, v3, s46, v29
	v_med3_f32 v2, v2, s46, v29
	;; [unrolled: 1-line block ×8, first 2 shown]
	v_pk_add_f32 v[6:7], v[6:7], 1.0 op_sel_hi:[1,0]
	v_pk_add_f32 v[2:3], v[2:3], 1.0 op_sel_hi:[1,0]
	;; [unrolled: 1-line block ×4, first 2 shown]
	v_pk_mul_f32 v[8:9], v[8:9], v[16:17]
	v_pk_mul_f32 v[10:11], v[10:11], v[18:19]
	;; [unrolled: 1-line block ×8, first 2 shown]
	v_perm_b32 v3, v3, v2, s47
	v_perm_b32 v1, v11, v10, s47
	v_perm_b32 v2, v5, v4, s47
	v_perm_b32 v0, v7, v6, s47
	buffer_store_dwordx4 v[0:3], v26, s[16:19], 0 offen
	v_add_u32_e32 v26, s33, v26
	s_andn2_b64 exec, exec, s[40:41]
	s_cbranch_execnz .LBB299_8
.LBB299_9:
	s_endpgm
	.section	.rodata,"a",@progbits
	.p2align	6, 0x0
	.amdhsa_kernel _ZN5aiter30swiglu_act_and_mul_bias_kernelIftifLi8EEEvPT0_PKT_PKT1_PKT2_il
		.amdhsa_group_segment_fixed_size 0
		.amdhsa_private_segment_fixed_size 0
		.amdhsa_kernarg_size 304
		.amdhsa_user_sgpr_count 2
		.amdhsa_user_sgpr_dispatch_ptr 0
		.amdhsa_user_sgpr_queue_ptr 0
		.amdhsa_user_sgpr_kernarg_segment_ptr 1
		.amdhsa_user_sgpr_dispatch_id 0
		.amdhsa_user_sgpr_kernarg_preload_length 0
		.amdhsa_user_sgpr_kernarg_preload_offset 0
		.amdhsa_user_sgpr_private_segment_size 0
		.amdhsa_uses_dynamic_stack 0
		.amdhsa_enable_private_segment 0
		.amdhsa_system_sgpr_workgroup_id_x 1
		.amdhsa_system_sgpr_workgroup_id_y 0
		.amdhsa_system_sgpr_workgroup_id_z 0
		.amdhsa_system_sgpr_workgroup_info 0
		.amdhsa_system_vgpr_workitem_id 0
		.amdhsa_next_free_vgpr 54
		.amdhsa_next_free_sgpr 48
		.amdhsa_accum_offset 56
		.amdhsa_reserve_vcc 1
		.amdhsa_float_round_mode_32 0
		.amdhsa_float_round_mode_16_64 0
		.amdhsa_float_denorm_mode_32 3
		.amdhsa_float_denorm_mode_16_64 3
		.amdhsa_dx10_clamp 1
		.amdhsa_ieee_mode 1
		.amdhsa_fp16_overflow 0
		.amdhsa_tg_split 0
		.amdhsa_exception_fp_ieee_invalid_op 0
		.amdhsa_exception_fp_denorm_src 0
		.amdhsa_exception_fp_ieee_div_zero 0
		.amdhsa_exception_fp_ieee_overflow 0
		.amdhsa_exception_fp_ieee_underflow 0
		.amdhsa_exception_fp_ieee_inexact 0
		.amdhsa_exception_int_div_zero 0
	.end_amdhsa_kernel
	.section	.text._ZN5aiter30swiglu_act_and_mul_bias_kernelIftifLi8EEEvPT0_PKT_PKT1_PKT2_il,"axG",@progbits,_ZN5aiter30swiglu_act_and_mul_bias_kernelIftifLi8EEEvPT0_PKT_PKT1_PKT2_il,comdat
.Lfunc_end299:
	.size	_ZN5aiter30swiglu_act_and_mul_bias_kernelIftifLi8EEEvPT0_PKT_PKT1_PKT2_il, .Lfunc_end299-_ZN5aiter30swiglu_act_and_mul_bias_kernelIftifLi8EEEvPT0_PKT_PKT1_PKT2_il
                                        ; -- End function
	.section	.AMDGPU.csdata,"",@progbits
; Kernel info:
; codeLenInByte = 1808
; NumSgprs: 54
; NumVgprs: 54
; NumAgprs: 0
; TotalNumVgprs: 54
; ScratchSize: 0
; MemoryBound: 0
; FloatMode: 240
; IeeeMode: 1
; LDSByteSize: 0 bytes/workgroup (compile time only)
; SGPRBlocks: 6
; VGPRBlocks: 6
; NumSGPRsForWavesPerEU: 54
; NumVGPRsForWavesPerEU: 54
; AccumOffset: 56
; Occupancy: 8
; WaveLimiterHint : 0
; COMPUTE_PGM_RSRC2:SCRATCH_EN: 0
; COMPUTE_PGM_RSRC2:USER_SGPR: 2
; COMPUTE_PGM_RSRC2:TRAP_HANDLER: 0
; COMPUTE_PGM_RSRC2:TGID_X_EN: 1
; COMPUTE_PGM_RSRC2:TGID_Y_EN: 0
; COMPUTE_PGM_RSRC2:TGID_Z_EN: 0
; COMPUTE_PGM_RSRC2:TIDIG_COMP_CNT: 0
; COMPUTE_PGM_RSRC3_GFX90A:ACCUM_OFFSET: 13
; COMPUTE_PGM_RSRC3_GFX90A:TG_SPLIT: 0
	.section	.text._ZN5aiter30swiglu_act_and_mul_bias_kernelIftifLi4EEEvPT0_PKT_PKT1_PKT2_il,"axG",@progbits,_ZN5aiter30swiglu_act_and_mul_bias_kernelIftifLi4EEEvPT0_PKT_PKT1_PKT2_il,comdat
	.protected	_ZN5aiter30swiglu_act_and_mul_bias_kernelIftifLi4EEEvPT0_PKT_PKT1_PKT2_il ; -- Begin function _ZN5aiter30swiglu_act_and_mul_bias_kernelIftifLi4EEEvPT0_PKT_PKT1_PKT2_il
	.globl	_ZN5aiter30swiglu_act_and_mul_bias_kernelIftifLi4EEEvPT0_PKT_PKT1_PKT2_il
	.p2align	8
	.type	_ZN5aiter30swiglu_act_and_mul_bias_kernelIftifLi4EEEvPT0_PKT_PKT1_PKT2_il,@function
_ZN5aiter30swiglu_act_and_mul_bias_kernelIftifLi4EEEvPT0_PKT_PKT1_PKT2_il: ; @_ZN5aiter30swiglu_act_and_mul_bias_kernelIftifLi4EEEvPT0_PKT_PKT1_PKT2_il
; %bb.0:
	s_load_dwordx2 s[4:5], s[0:1], 0x10
	s_load_dword s6, s[0:1], 0x20
	s_load_dwordx2 s[14:15], s[0:1], 0x28
	s_mov_b32 s3, 0
	s_lshl_b64 s[8:9], s[2:3], 2
	s_waitcnt lgkmcnt(0)
	s_add_u32 s8, s4, s8
	s_addc_u32 s9, s5, s9
	s_load_dword s4, s[8:9], 0x0
	s_load_dwordx2 s[10:11], s[0:1], 0x0
	s_ashr_i32 s7, s6, 31
	s_mul_hi_u32 s3, s6, s2
	s_mul_i32 s8, s7, s2
	s_add_i32 s9, s3, s8
	s_mul_i32 s8, s6, s2
	s_waitcnt lgkmcnt(0)
	s_ashr_i32 s5, s4, 31
	s_lshl_b64 s[8:9], s[8:9], 1
	s_add_u32 s8, s10, s8
	s_addc_u32 s3, s11, s9
	s_add_i32 s9, s6, 1
	s_lshr_b32 s10, s9, 31
	v_mov_b64_e32 v[2:3], s[14:15]
	v_cmp_gt_i64_e64 s[16:17], s[4:5], -1
	s_add_i32 s9, s9, s10
	v_cmp_lt_i64_e32 vcc, s[4:5], v[2:3]
	s_lshl_b32 s9, s9, 1
	s_and_b64 s[14:15], s[16:17], vcc
	s_mov_b64 s[12:13], -1
	s_and_b32 s10, s9, -4
	s_and_b32 s9, s3, 0xffff
	s_and_b64 vcc, exec, s[14:15]
	v_lshlrev_b32_e32 v12, 2, v0
	s_cbranch_vccnz .LBB300_5
; %bb.1:
	v_cmp_gt_i32_e32 vcc, s6, v12
	s_and_saveexec_b64 s[12:13], vcc
	s_cbranch_execz .LBB300_4
; %bb.2:
	s_load_dword s3, s[0:1], 0x3c
	v_mov_b32_e32 v13, 0
	s_mov_b32 s15, 0
	v_lshlrev_b32_e32 v1, 3, v0
	s_mov_b64 s[16:17], 0
	s_waitcnt lgkmcnt(0)
	s_and_b32 s3, s3, 0xffff
	s_lshl_b32 s14, s3, 2
	s_lshl_b32 s3, s3, 3
	s_mov_b32 s11, 0x20000
	v_mov_b32_e32 v2, v13
	v_mov_b32_e32 v3, v13
	v_mov_b64_e32 v[4:5], v[12:13]
.LBB300_3:                              ; =>This Inner Loop Header: Depth=1
	v_lshl_add_u64 v[4:5], s[14:15], 0, v[4:5]
	v_cmp_le_i64_e32 vcc, s[6:7], v[4:5]
	buffer_store_dwordx2 v[2:3], v1, s[8:11], 0 offen
	s_or_b64 s[16:17], vcc, s[16:17]
	v_add_u32_e32 v1, s3, v1
	s_andn2_b64 exec, exec, s[16:17]
	s_cbranch_execnz .LBB300_3
.LBB300_4:
	s_or_b64 exec, exec, s[12:13]
	s_mov_b64 s[12:13], 0
.LBB300_5:
	s_andn2_b64 vcc, exec, s[12:13]
	s_cbranch_vccnz .LBB300_9
; %bb.6:
	v_cmp_gt_i32_e32 vcc, s6, v12
	s_and_saveexec_b64 s[12:13], vcc
	s_cbranch_execz .LBB300_9
; %bb.7:
	s_load_dwordx2 s[18:19], s[0:1], 0x8
	s_load_dwordx2 s[12:13], s[0:1], 0x18
	s_mul_hi_i32 s5, s6, s4
	s_mul_i32 s4, s6, s4
	s_lshl_b32 s14, s6, 2
	s_lshl_b64 s[4:5], s[4:5], 3
	s_waitcnt lgkmcnt(0)
	s_add_u32 s12, s12, s4
	s_load_dword s22, s[0:1], 0x3c
	s_addc_u32 s3, s13, s5
	s_lshl_b64 s[0:1], s[6:7], 2
	s_add_u32 s16, s12, s0
	s_addc_u32 s4, s3, s1
	s_and_b32 s13, s3, 0xffff
	s_and_b32 s17, s4, 0xffff
	s_mul_i32 s3, s2, s7
	s_mul_hi_u32 s4, s2, s6
	s_add_i32 s3, s4, s3
	s_mul_i32 s2, s2, s6
	s_lshl_b64 s[2:3], s[2:3], 3
	s_add_u32 s20, s18, s2
	s_addc_u32 s2, s19, s3
	s_add_u32 s24, s20, s0
	s_addc_u32 s0, s2, s1
	s_mov_b32 s11, 0x20000
	s_and_b32 s25, s0, 0xffff
	s_waitcnt lgkmcnt(0)
	s_and_b32 s0, s22, 0xffff
	s_mov_b32 s15, s11
	s_and_b32 s21, s2, 0xffff
	s_mov_b32 s29, 0
	v_mov_b32_e32 v13, 0
	s_lshl_b32 s28, s0, 2
	v_lshlrev_b32_e32 v14, 3, v0
	s_lshl_b32 s33, s0, 3
	v_lshlrev_b32_e32 v15, 4, v0
	s_lshl_b32 s34, s0, 4
	s_mov_b64 s[30:31], 0
	s_mov_b32 s22, s14
	s_mov_b32 s23, s11
	;; [unrolled: 1-line block ×5, first 2 shown]
	v_mov_b32_e32 v16, 0x7f800000
	s_mov_b32 s38, 0xc0e00000
	v_mov_b32_e32 v17, 0x40e00000
	s_mov_b32 s39, 0x7060302
	s_mov_b32 s26, s14
	;; [unrolled: 1-line block ×3, first 2 shown]
.LBB300_8:                              ; =>This Inner Loop Header: Depth=1
	buffer_load_dwordx4 v[4:7], v15, s[12:15], 0 offen
	buffer_load_dwordx4 v[8:11], v15, s[20:23], 0 offen
	;; [unrolled: 1-line block ×3, first 2 shown]
	s_mov_b32 s18, s14
	s_mov_b32 s19, s15
	buffer_load_dwordx4 v[18:21], v15, s[16:19], 0 offen
	v_lshl_add_u64 v[12:13], s[28:29], 0, v[12:13]
	v_cmp_le_i64_e32 vcc, s[6:7], v[12:13]
	s_or_b64 s[30:31], vcc, s[30:31]
	v_add_u32_e32 v15, s34, v15
	s_waitcnt vmcnt(2)
	v_pk_add_f32 v[6:7], v[10:11], v[6:7]
	v_pk_add_f32 v[4:5], v[8:9], v[4:5]
	v_min_f32_e32 v7, 0x40e00000, v7
	v_min_f32_e32 v5, 0x40e00000, v5
	;; [unrolled: 1-line block ×4, first 2 shown]
	v_mul_f32_e32 v8, 0xbfd9db23, v4
	v_mul_f32_e32 v9, 0xbfd9db23, v5
	;; [unrolled: 1-line block ×4, first 2 shown]
	s_waitcnt vmcnt(0)
	v_pk_add_f32 v[2:3], v[2:3], v[20:21]
	v_pk_add_f32 v[0:1], v[0:1], v[18:19]
	v_mul_f32_e32 v18, 0x3fb8aa3b, v8
	v_mul_f32_e32 v19, 0x3fb8aa3b, v9
	;; [unrolled: 1-line block ×4, first 2 shown]
	v_fma_f32 v22, v8, s35, -v18
	v_rndne_f32_e32 v23, v18
	v_fma_f32 v24, v9, s35, -v19
	v_rndne_f32_e32 v25, v19
	;; [unrolled: 2-line block ×4, first 2 shown]
	v_fmac_f32_e32 v22, 0x32a5705f, v8
	v_sub_f32_e32 v18, v18, v23
	v_fmac_f32_e32 v24, 0x32a5705f, v9
	v_sub_f32_e32 v19, v19, v25
	;; [unrolled: 2-line block ×4, first 2 shown]
	v_add_f32_e32 v18, v18, v22
	v_add_f32_e32 v19, v19, v24
	;; [unrolled: 1-line block ×4, first 2 shown]
	v_cvt_i32_f32_e32 v23, v23
	v_cvt_i32_f32_e32 v25, v25
	;; [unrolled: 1-line block ×4, first 2 shown]
	v_exp_f32_e32 v18, v18
	v_exp_f32_e32 v19, v19
	;; [unrolled: 1-line block ×4, first 2 shown]
	v_ldexp_f32 v18, v18, v23
	v_ldexp_f32 v19, v19, v25
	v_cmp_ngt_f32_e32 vcc, s36, v9
	v_ldexp_f32 v20, v20, v27
	v_cmp_ngt_f32_e64 s[0:1], s36, v10
	v_ldexp_f32 v21, v21, v29
	v_cmp_ngt_f32_e64 s[2:3], s36, v11
	v_cmp_ngt_f32_e64 s[4:5], s36, v8
	v_cndmask_b32_e32 v19, 0, v19, vcc
	v_cmp_nlt_f32_e32 vcc, s37, v9
	v_cndmask_b32_e64 v18, 0, v18, s[4:5]
	v_cndmask_b32_e64 v9, 0, v20, s[0:1]
	v_cmp_nlt_f32_e64 s[0:1], s37, v10
	v_cndmask_b32_e64 v10, 0, v21, s[2:3]
	v_cmp_nlt_f32_e64 s[2:3], s37, v11
	v_cmp_nlt_f32_e64 s[4:5], s37, v8
	v_cndmask_b32_e32 v11, v16, v19, vcc
	v_cndmask_b32_e64 v9, v16, v9, s[0:1]
	v_cndmask_b32_e64 v8, v16, v18, s[4:5]
	;; [unrolled: 1-line block ×3, first 2 shown]
	v_add_f32_e32 v8, 1.0, v8
	v_add_f32_e32 v11, 1.0, v11
	;; [unrolled: 1-line block ×4, first 2 shown]
	v_rcp_f32_e32 v8, v8
	v_rcp_f32_e32 v9, v11
	;; [unrolled: 1-line block ×4, first 2 shown]
	v_med3_f32 v3, v3, s38, v17
	v_med3_f32 v2, v2, s38, v17
	;; [unrolled: 1-line block ×4, first 2 shown]
	v_pk_add_f32 v[2:3], v[2:3], 1.0 op_sel_hi:[1,0]
	v_pk_add_f32 v[0:1], v[0:1], 1.0 op_sel_hi:[1,0]
	v_pk_mul_f32 v[4:5], v[4:5], v[8:9]
	v_pk_mul_f32 v[6:7], v[6:7], v[10:11]
	;; [unrolled: 1-line block ×4, first 2 shown]
	s_nop 0
	v_perm_b32 v3, v3, v2, s39
	v_perm_b32 v2, v1, v0, s39
	buffer_store_dwordx2 v[2:3], v14, s[8:11], 0 offen
	v_add_u32_e32 v14, s33, v14
	s_andn2_b64 exec, exec, s[30:31]
	s_cbranch_execnz .LBB300_8
.LBB300_9:
	s_endpgm
	.section	.rodata,"a",@progbits
	.p2align	6, 0x0
	.amdhsa_kernel _ZN5aiter30swiglu_act_and_mul_bias_kernelIftifLi4EEEvPT0_PKT_PKT1_PKT2_il
		.amdhsa_group_segment_fixed_size 0
		.amdhsa_private_segment_fixed_size 0
		.amdhsa_kernarg_size 304
		.amdhsa_user_sgpr_count 2
		.amdhsa_user_sgpr_dispatch_ptr 0
		.amdhsa_user_sgpr_queue_ptr 0
		.amdhsa_user_sgpr_kernarg_segment_ptr 1
		.amdhsa_user_sgpr_dispatch_id 0
		.amdhsa_user_sgpr_kernarg_preload_length 0
		.amdhsa_user_sgpr_kernarg_preload_offset 0
		.amdhsa_user_sgpr_private_segment_size 0
		.amdhsa_uses_dynamic_stack 0
		.amdhsa_enable_private_segment 0
		.amdhsa_system_sgpr_workgroup_id_x 1
		.amdhsa_system_sgpr_workgroup_id_y 0
		.amdhsa_system_sgpr_workgroup_id_z 0
		.amdhsa_system_sgpr_workgroup_info 0
		.amdhsa_system_vgpr_workitem_id 0
		.amdhsa_next_free_vgpr 30
		.amdhsa_next_free_sgpr 40
		.amdhsa_accum_offset 32
		.amdhsa_reserve_vcc 1
		.amdhsa_float_round_mode_32 0
		.amdhsa_float_round_mode_16_64 0
		.amdhsa_float_denorm_mode_32 3
		.amdhsa_float_denorm_mode_16_64 3
		.amdhsa_dx10_clamp 1
		.amdhsa_ieee_mode 1
		.amdhsa_fp16_overflow 0
		.amdhsa_tg_split 0
		.amdhsa_exception_fp_ieee_invalid_op 0
		.amdhsa_exception_fp_denorm_src 0
		.amdhsa_exception_fp_ieee_div_zero 0
		.amdhsa_exception_fp_ieee_overflow 0
		.amdhsa_exception_fp_ieee_underflow 0
		.amdhsa_exception_fp_ieee_inexact 0
		.amdhsa_exception_int_div_zero 0
	.end_amdhsa_kernel
	.section	.text._ZN5aiter30swiglu_act_and_mul_bias_kernelIftifLi4EEEvPT0_PKT_PKT1_PKT2_il,"axG",@progbits,_ZN5aiter30swiglu_act_and_mul_bias_kernelIftifLi4EEEvPT0_PKT_PKT1_PKT2_il,comdat
.Lfunc_end300:
	.size	_ZN5aiter30swiglu_act_and_mul_bias_kernelIftifLi4EEEvPT0_PKT_PKT1_PKT2_il, .Lfunc_end300-_ZN5aiter30swiglu_act_and_mul_bias_kernelIftifLi4EEEvPT0_PKT_PKT1_PKT2_il
                                        ; -- End function
	.section	.AMDGPU.csdata,"",@progbits
; Kernel info:
; codeLenInByte = 1204
; NumSgprs: 46
; NumVgprs: 30
; NumAgprs: 0
; TotalNumVgprs: 30
; ScratchSize: 0
; MemoryBound: 0
; FloatMode: 240
; IeeeMode: 1
; LDSByteSize: 0 bytes/workgroup (compile time only)
; SGPRBlocks: 5
; VGPRBlocks: 3
; NumSGPRsForWavesPerEU: 46
; NumVGPRsForWavesPerEU: 30
; AccumOffset: 32
; Occupancy: 8
; WaveLimiterHint : 0
; COMPUTE_PGM_RSRC2:SCRATCH_EN: 0
; COMPUTE_PGM_RSRC2:USER_SGPR: 2
; COMPUTE_PGM_RSRC2:TRAP_HANDLER: 0
; COMPUTE_PGM_RSRC2:TGID_X_EN: 1
; COMPUTE_PGM_RSRC2:TGID_Y_EN: 0
; COMPUTE_PGM_RSRC2:TGID_Z_EN: 0
; COMPUTE_PGM_RSRC2:TIDIG_COMP_CNT: 0
; COMPUTE_PGM_RSRC3_GFX90A:ACCUM_OFFSET: 7
; COMPUTE_PGM_RSRC3_GFX90A:TG_SPLIT: 0
	.section	.text._ZN5aiter30swiglu_act_and_mul_bias_kernelIftifLi2EEEvPT0_PKT_PKT1_PKT2_il,"axG",@progbits,_ZN5aiter30swiglu_act_and_mul_bias_kernelIftifLi2EEEvPT0_PKT_PKT1_PKT2_il,comdat
	.protected	_ZN5aiter30swiglu_act_and_mul_bias_kernelIftifLi2EEEvPT0_PKT_PKT1_PKT2_il ; -- Begin function _ZN5aiter30swiglu_act_and_mul_bias_kernelIftifLi2EEEvPT0_PKT_PKT1_PKT2_il
	.globl	_ZN5aiter30swiglu_act_and_mul_bias_kernelIftifLi2EEEvPT0_PKT_PKT1_PKT2_il
	.p2align	8
	.type	_ZN5aiter30swiglu_act_and_mul_bias_kernelIftifLi2EEEvPT0_PKT_PKT1_PKT2_il,@function
_ZN5aiter30swiglu_act_and_mul_bias_kernelIftifLi2EEEvPT0_PKT_PKT1_PKT2_il: ; @_ZN5aiter30swiglu_act_and_mul_bias_kernelIftifLi2EEEvPT0_PKT_PKT1_PKT2_il
; %bb.0:
	s_load_dwordx2 s[4:5], s[0:1], 0x10
	s_load_dword s24, s[0:1], 0x20
	s_load_dwordx2 s[12:13], s[0:1], 0x28
	s_mov_b32 s3, 0
	s_lshl_b64 s[6:7], s[2:3], 2
	s_waitcnt lgkmcnt(0)
	s_add_u32 s4, s4, s6
	s_addc_u32 s5, s5, s7
	s_load_dword s8, s[4:5], 0x0
	s_load_dwordx2 s[6:7], s[0:1], 0x0
	s_ashr_i32 s25, s24, 31
	s_mul_hi_u32 s3, s24, s2
	s_mul_i32 s4, s25, s2
	s_add_i32 s5, s3, s4
	s_mul_i32 s4, s24, s2
	s_waitcnt lgkmcnt(0)
	s_ashr_i32 s9, s8, 31
	s_lshl_b64 s[4:5], s[4:5], 1
	s_add_u32 s4, s6, s4
	s_addc_u32 s3, s7, s5
	s_add_i32 s5, s24, 1
	s_lshr_b32 s6, s5, 31
	v_mov_b64_e32 v[2:3], s[12:13]
	v_cmp_gt_i64_e64 s[14:15], s[8:9], -1
	s_add_i32 s5, s5, s6
	v_cmp_lt_i64_e32 vcc, s[8:9], v[2:3]
	s_lshl_b32 s5, s5, 1
	s_and_b64 s[12:13], s[14:15], vcc
	s_mov_b64 s[10:11], -1
	s_and_b32 s6, s5, -4
	s_and_b32 s5, s3, 0xffff
	s_and_b64 vcc, exec, s[12:13]
	v_lshlrev_b32_e32 v2, 1, v0
	s_cbranch_vccnz .LBB301_5
; %bb.1:
	v_cmp_gt_i32_e32 vcc, s24, v2
	s_and_saveexec_b64 s[10:11], vcc
	s_cbranch_execz .LBB301_4
; %bb.2:
	s_load_dword s3, s[0:1], 0x3c
	v_mov_b32_e32 v3, 0
	s_mov_b32 s13, 0
	v_lshlrev_b32_e32 v1, 2, v0
	s_mov_b64 s[14:15], 0
	s_waitcnt lgkmcnt(0)
	s_and_b32 s3, s3, 0xffff
	s_lshl_b32 s12, s3, 1
	s_lshl_b32 s3, s3, 2
	s_mov_b32 s7, 0x20000
	v_mov_b64_e32 v[4:5], v[2:3]
.LBB301_3:                              ; =>This Inner Loop Header: Depth=1
	v_lshl_add_u64 v[4:5], s[12:13], 0, v[4:5]
	v_cmp_le_i64_e32 vcc, s[24:25], v[4:5]
	buffer_store_dword v3, v1, s[4:7], 0 offen
	s_or_b64 s[14:15], vcc, s[14:15]
	v_add_u32_e32 v1, s3, v1
	s_andn2_b64 exec, exec, s[14:15]
	s_cbranch_execnz .LBB301_3
.LBB301_4:
	s_or_b64 exec, exec, s[10:11]
	s_mov_b64 s[10:11], 0
.LBB301_5:
	s_andn2_b64 vcc, exec, s[10:11]
	s_cbranch_vccnz .LBB301_9
; %bb.6:
	v_cmp_gt_i32_e32 vcc, s24, v2
	s_and_saveexec_b64 s[10:11], vcc
	s_cbranch_execz .LBB301_9
; %bb.7:
	s_load_dwordx2 s[14:15], s[0:1], 0x8
	s_load_dwordx2 s[12:13], s[0:1], 0x18
	s_mul_hi_i32 s9, s24, s8
	s_mul_i32 s8, s24, s8
	s_lshl_b32 s10, s24, 2
	s_lshl_b64 s[8:9], s[8:9], 3
	s_waitcnt lgkmcnt(0)
	s_add_u32 s8, s12, s8
	s_load_dword s18, s[0:1], 0x3c
	s_addc_u32 s3, s13, s9
	s_lshl_b64 s[0:1], s[24:25], 2
	s_add_u32 s12, s8, s0
	s_addc_u32 s13, s3, s1
	s_and_b32 s9, s3, 0xffff
	s_mul_i32 s3, s2, s25
	s_mul_hi_u32 s16, s2, s24
	s_add_i32 s3, s16, s3
	s_mul_i32 s2, s2, s24
	s_and_b32 s13, s13, 0xffff
	s_lshl_b64 s[2:3], s[2:3], 3
	s_add_u32 s16, s14, s2
	s_addc_u32 s2, s15, s3
	s_add_u32 s20, s16, s0
	s_addc_u32 s0, s2, s1
	s_mov_b32 s7, 0x20000
	s_and_b32 s21, s0, 0xffff
	s_waitcnt lgkmcnt(0)
	s_and_b32 s0, s18, 0xffff
	s_mov_b32 s11, s7
	s_and_b32 s17, s2, 0xffff
	s_mov_b32 s3, 0
	v_mov_b32_e32 v3, 0
	s_lshl_b32 s2, s0, 1
	v_lshlrev_b32_e32 v1, 2, v0
	s_lshl_b32 s28, s0, 2
	v_lshlrev_b32_e32 v0, 3, v0
	s_lshl_b32 s29, s0, 3
	s_mov_b64 s[26:27], 0
	s_mov_b32 s18, s10
	s_mov_b32 s19, s7
	;; [unrolled: 1-line block ×5, first 2 shown]
	v_mov_b32_e32 v4, 0x7f800000
	s_mov_b32 s34, 0xc0e00000
	v_mov_b32_e32 v5, 0x40e00000
	s_mov_b32 s35, 0x7060302
	s_mov_b32 s22, s10
	;; [unrolled: 1-line block ×3, first 2 shown]
.LBB301_8:                              ; =>This Inner Loop Header: Depth=1
	buffer_load_dwordx2 v[6:7], v0, s[16:19], 0 offen
	buffer_load_dwordx2 v[8:9], v0, s[20:23], 0 offen
	;; [unrolled: 1-line block ×3, first 2 shown]
	s_mov_b32 s14, s10
	s_mov_b32 s15, s11
	buffer_load_dwordx2 v[12:13], v0, s[12:15], 0 offen
	v_lshl_add_u64 v[2:3], s[2:3], 0, v[2:3]
	v_cmp_le_i64_e32 vcc, s[24:25], v[2:3]
	s_or_b64 s[26:27], vcc, s[26:27]
	v_add_u32_e32 v0, s29, v0
	s_waitcnt vmcnt(1)
	v_pk_add_f32 v[6:7], v[6:7], v[10:11]
	s_nop 0
	v_min_f32_e32 v7, 0x40e00000, v7
	v_min_f32_e32 v6, 0x40e00000, v6
	v_mul_f32_e32 v10, 0xbfd9db23, v6
	v_mul_f32_e32 v11, 0xbfd9db23, v7
	s_waitcnt vmcnt(0)
	v_pk_add_f32 v[8:9], v[8:9], v[12:13]
	v_mul_f32_e32 v12, 0x3fb8aa3b, v10
	v_mul_f32_e32 v13, 0x3fb8aa3b, v11
	v_fma_f32 v14, v10, s30, -v12
	v_rndne_f32_e32 v15, v12
	v_fma_f32 v16, v11, s30, -v13
	v_rndne_f32_e32 v17, v13
	v_fmac_f32_e32 v14, 0x32a5705f, v10
	v_sub_f32_e32 v12, v12, v15
	v_fmac_f32_e32 v16, 0x32a5705f, v11
	v_sub_f32_e32 v13, v13, v17
	v_add_f32_e32 v12, v12, v14
	v_add_f32_e32 v13, v13, v16
	v_cvt_i32_f32_e32 v15, v15
	v_cvt_i32_f32_e32 v17, v17
	v_exp_f32_e32 v12, v12
	v_exp_f32_e32 v13, v13
	v_cmp_ngt_f32_e32 vcc, s31, v11
	v_cmp_ngt_f32_e64 s[0:1], s31, v10
	v_ldexp_f32 v12, v12, v15
	v_ldexp_f32 v13, v13, v17
	v_cndmask_b32_e64 v12, 0, v12, s[0:1]
	v_cndmask_b32_e32 v13, 0, v13, vcc
	v_cmp_nlt_f32_e32 vcc, s33, v11
	v_cmp_nlt_f32_e64 s[0:1], s33, v10
	v_med3_f32 v9, v9, s34, v5
	v_cndmask_b32_e32 v11, v4, v13, vcc
	v_cndmask_b32_e64 v10, v4, v12, s[0:1]
	v_add_f32_e32 v10, 1.0, v10
	v_add_f32_e32 v11, 1.0, v11
	v_rcp_f32_e32 v10, v10
	v_rcp_f32_e32 v11, v11
	v_med3_f32 v8, v8, s34, v5
	v_pk_add_f32 v[8:9], v[8:9], 1.0 op_sel_hi:[1,0]
	v_pk_mul_f32 v[6:7], v[6:7], v[10:11]
	s_nop 0
	v_pk_mul_f32 v[6:7], v[8:9], v[6:7]
	s_nop 0
	v_perm_b32 v6, v7, v6, s35
	buffer_store_dword v6, v1, s[4:7], 0 offen
	v_add_u32_e32 v1, s28, v1
	s_andn2_b64 exec, exec, s[26:27]
	s_cbranch_execnz .LBB301_8
.LBB301_9:
	s_endpgm
	.section	.rodata,"a",@progbits
	.p2align	6, 0x0
	.amdhsa_kernel _ZN5aiter30swiglu_act_and_mul_bias_kernelIftifLi2EEEvPT0_PKT_PKT1_PKT2_il
		.amdhsa_group_segment_fixed_size 0
		.amdhsa_private_segment_fixed_size 0
		.amdhsa_kernarg_size 304
		.amdhsa_user_sgpr_count 2
		.amdhsa_user_sgpr_dispatch_ptr 0
		.amdhsa_user_sgpr_queue_ptr 0
		.amdhsa_user_sgpr_kernarg_segment_ptr 1
		.amdhsa_user_sgpr_dispatch_id 0
		.amdhsa_user_sgpr_kernarg_preload_length 0
		.amdhsa_user_sgpr_kernarg_preload_offset 0
		.amdhsa_user_sgpr_private_segment_size 0
		.amdhsa_uses_dynamic_stack 0
		.amdhsa_enable_private_segment 0
		.amdhsa_system_sgpr_workgroup_id_x 1
		.amdhsa_system_sgpr_workgroup_id_y 0
		.amdhsa_system_sgpr_workgroup_id_z 0
		.amdhsa_system_sgpr_workgroup_info 0
		.amdhsa_system_vgpr_workitem_id 0
		.amdhsa_next_free_vgpr 18
		.amdhsa_next_free_sgpr 36
		.amdhsa_accum_offset 20
		.amdhsa_reserve_vcc 1
		.amdhsa_float_round_mode_32 0
		.amdhsa_float_round_mode_16_64 0
		.amdhsa_float_denorm_mode_32 3
		.amdhsa_float_denorm_mode_16_64 3
		.amdhsa_dx10_clamp 1
		.amdhsa_ieee_mode 1
		.amdhsa_fp16_overflow 0
		.amdhsa_tg_split 0
		.amdhsa_exception_fp_ieee_invalid_op 0
		.amdhsa_exception_fp_denorm_src 0
		.amdhsa_exception_fp_ieee_div_zero 0
		.amdhsa_exception_fp_ieee_overflow 0
		.amdhsa_exception_fp_ieee_underflow 0
		.amdhsa_exception_fp_ieee_inexact 0
		.amdhsa_exception_int_div_zero 0
	.end_amdhsa_kernel
	.section	.text._ZN5aiter30swiglu_act_and_mul_bias_kernelIftifLi2EEEvPT0_PKT_PKT1_PKT2_il,"axG",@progbits,_ZN5aiter30swiglu_act_and_mul_bias_kernelIftifLi2EEEvPT0_PKT_PKT1_PKT2_il,comdat
.Lfunc_end301:
	.size	_ZN5aiter30swiglu_act_and_mul_bias_kernelIftifLi2EEEvPT0_PKT_PKT1_PKT2_il, .Lfunc_end301-_ZN5aiter30swiglu_act_and_mul_bias_kernelIftifLi2EEEvPT0_PKT_PKT1_PKT2_il
                                        ; -- End function
	.section	.AMDGPU.csdata,"",@progbits
; Kernel info:
; codeLenInByte = 924
; NumSgprs: 42
; NumVgprs: 18
; NumAgprs: 0
; TotalNumVgprs: 18
; ScratchSize: 0
; MemoryBound: 0
; FloatMode: 240
; IeeeMode: 1
; LDSByteSize: 0 bytes/workgroup (compile time only)
; SGPRBlocks: 5
; VGPRBlocks: 2
; NumSGPRsForWavesPerEU: 42
; NumVGPRsForWavesPerEU: 18
; AccumOffset: 20
; Occupancy: 8
; WaveLimiterHint : 0
; COMPUTE_PGM_RSRC2:SCRATCH_EN: 0
; COMPUTE_PGM_RSRC2:USER_SGPR: 2
; COMPUTE_PGM_RSRC2:TRAP_HANDLER: 0
; COMPUTE_PGM_RSRC2:TGID_X_EN: 1
; COMPUTE_PGM_RSRC2:TGID_Y_EN: 0
; COMPUTE_PGM_RSRC2:TGID_Z_EN: 0
; COMPUTE_PGM_RSRC2:TIDIG_COMP_CNT: 0
; COMPUTE_PGM_RSRC3_GFX90A:ACCUM_OFFSET: 4
; COMPUTE_PGM_RSRC3_GFX90A:TG_SPLIT: 0
	.section	.text._ZN5aiter30swiglu_act_and_mul_bias_kernelIftifLi1EEEvPT0_PKT_PKT1_PKT2_il,"axG",@progbits,_ZN5aiter30swiglu_act_and_mul_bias_kernelIftifLi1EEEvPT0_PKT_PKT1_PKT2_il,comdat
	.protected	_ZN5aiter30swiglu_act_and_mul_bias_kernelIftifLi1EEEvPT0_PKT_PKT1_PKT2_il ; -- Begin function _ZN5aiter30swiglu_act_and_mul_bias_kernelIftifLi1EEEvPT0_PKT_PKT1_PKT2_il
	.globl	_ZN5aiter30swiglu_act_and_mul_bias_kernelIftifLi1EEEvPT0_PKT_PKT1_PKT2_il
	.p2align	8
	.type	_ZN5aiter30swiglu_act_and_mul_bias_kernelIftifLi1EEEvPT0_PKT_PKT1_PKT2_il,@function
_ZN5aiter30swiglu_act_and_mul_bias_kernelIftifLi1EEEvPT0_PKT_PKT1_PKT2_il: ; @_ZN5aiter30swiglu_act_and_mul_bias_kernelIftifLi1EEEvPT0_PKT_PKT1_PKT2_il
; %bb.0:
	s_load_dwordx2 s[4:5], s[0:1], 0x10
	s_load_dword s20, s[0:1], 0x20
	s_load_dwordx2 s[14:15], s[0:1], 0x28
	s_mov_b32 s3, 0
	s_lshl_b64 s[6:7], s[2:3], 2
	s_waitcnt lgkmcnt(0)
	s_add_u32 s4, s4, s6
	s_addc_u32 s5, s5, s7
	s_load_dword s12, s[4:5], 0x0
	s_load_dwordx2 s[8:9], s[0:1], 0x0
	s_ashr_i32 s21, s20, 31
	s_mul_hi_u32 s3, s20, s2
	s_mul_i32 s10, s21, s2
	s_add_i32 s11, s3, s10
	s_mul_i32 s10, s20, s2
	s_waitcnt lgkmcnt(0)
	s_ashr_i32 s13, s12, 31
	s_lshl_b64 s[10:11], s[10:11], 1
	s_add_u32 s8, s8, s10
	s_addc_u32 s3, s9, s11
	s_add_i32 s9, s20, 1
	s_lshr_b32 s10, s9, 31
	v_mov_b64_e32 v[2:3], s[14:15]
	v_cmp_gt_i64_e64 s[4:5], s[12:13], -1
	s_add_i32 s9, s9, s10
	v_cmp_lt_i64_e32 vcc, s[12:13], v[2:3]
	s_lshl_b32 s9, s9, 1
	s_and_b64 s[4:5], s[4:5], vcc
	s_mov_b64 s[6:7], -1
	s_and_b32 s10, s9, -4
	s_and_b32 s9, s3, 0xffff
	s_and_b64 vcc, exec, s[4:5]
	v_cmp_gt_i32_e64 s[4:5], s20, v0
	s_cbranch_vccnz .LBB302_5
; %bb.1:
	s_and_saveexec_b64 s[6:7], s[4:5]
	s_cbranch_execz .LBB302_4
; %bb.2:
	s_load_dword s3, s[0:1], 0x3c
	v_mov_b32_e32 v1, 0
	s_mov_b32 s5, 0
	v_lshlrev_b32_e32 v4, 1, v0
	s_mov_b64 s[14:15], 0
	s_waitcnt lgkmcnt(0)
	s_and_b32 s4, s3, 0xffff
	s_lshl_b32 s3, s4, 1
	s_mov_b32 s11, 0x20000
	v_mov_b64_e32 v[2:3], v[0:1]
.LBB302_3:                              ; =>This Inner Loop Header: Depth=1
	v_lshl_add_u64 v[2:3], v[2:3], 0, s[4:5]
	v_cmp_le_i64_e32 vcc, s[20:21], v[2:3]
	buffer_store_short v1, v4, s[8:11], 0 offen
	s_or_b64 s[14:15], vcc, s[14:15]
	v_add_u32_e32 v4, s3, v4
	s_andn2_b64 exec, exec, s[14:15]
	s_cbranch_execnz .LBB302_3
.LBB302_4:
	s_or_b64 exec, exec, s[6:7]
	s_mov_b64 s[6:7], 0
.LBB302_5:
	s_andn2_b64 vcc, exec, s[6:7]
	s_cbranch_vccnz .LBB302_9
; %bb.6:
	v_cmp_gt_i32_e32 vcc, s20, v0
	s_and_saveexec_b64 s[4:5], vcc
	s_cbranch_execz .LBB302_9
; %bb.7:
	s_load_dwordx2 s[14:15], s[0:1], 0x8
	s_load_dwordx2 s[4:5], s[0:1], 0x18
	s_mul_hi_i32 s13, s20, s12
	s_mul_i32 s12, s20, s12
	s_lshl_b32 s6, s20, 2
	s_lshl_b64 s[12:13], s[12:13], 3
	s_waitcnt lgkmcnt(0)
	s_add_u32 s4, s4, s12
	s_load_dword s18, s[0:1], 0x3c
	s_addc_u32 s1, s5, s13
	s_lshl_b64 s[16:17], s[20:21], 2
	s_add_u32 s0, s4, s16
	s_addc_u32 s3, s1, s17
	s_and_b32 s5, s1, 0xffff
	s_and_b32 s1, s3, 0xffff
	s_mul_i32 s3, s2, s21
	s_mul_hi_u32 s12, s2, s20
	s_add_i32 s3, s12, s3
	s_mul_i32 s2, s2, s20
	s_lshl_b64 s[2:3], s[2:3], 3
	s_add_u32 s12, s14, s2
	s_addc_u32 s2, s15, s3
	s_add_u32 s16, s12, s16
	s_mov_b32 s11, 0x20000
	s_addc_u32 s3, s2, s17
	s_waitcnt lgkmcnt(0)
	s_and_b32 s22, s18, 0xffff
	s_mov_b32 s7, s11
	s_and_b32 s13, s2, 0xffff
	s_and_b32 s17, s3, 0xffff
	s_mov_b32 s23, 0
	v_mov_b32_e32 v1, 0
	v_lshlrev_b32_e32 v2, 1, v0
	s_lshl_b32 s26, s22, 1
	v_lshlrev_b32_e32 v3, 2, v0
	s_lshl_b32 s27, s22, 2
	s_mov_b64 s[24:25], 0
	s_mov_b32 s14, s6
	s_mov_b32 s15, s11
	;; [unrolled: 1-line block ×5, first 2 shown]
	v_mov_b32_e32 v4, 0x7f800000
	s_mov_b32 s18, s6
	s_mov_b32 s19, s11
.LBB302_8:                              ; =>This Inner Loop Header: Depth=1
	buffer_load_dword v5, v3, s[12:15], 0 offen
	buffer_load_dword v6, v3, s[16:19], 0 offen
	s_mov_b32 s2, s6
	s_mov_b32 s3, s7
	buffer_load_dword v7, v3, s[4:7], 0 offen
	buffer_load_dword v8, v3, s[0:3], 0 offen
	v_lshl_add_u64 v[0:1], v[0:1], 0, s[22:23]
	v_cmp_le_i64_e32 vcc, s[20:21], v[0:1]
	s_or_b64 s[24:25], vcc, s[24:25]
	v_add_u32_e32 v3, s27, v3
	s_waitcnt vmcnt(1)
	v_add_f32_e32 v5, v5, v7
	v_min_f32_e32 v5, 0x40e00000, v5
	v_mul_f32_e32 v7, 0xbfd9db23, v5
	s_waitcnt vmcnt(0)
	v_add_f32_e32 v6, v6, v8
	v_mul_f32_e32 v8, 0x3fb8aa3b, v7
	v_fma_f32 v9, v7, s28, -v8
	v_rndne_f32_e32 v10, v8
	v_fmac_f32_e32 v9, 0x32a5705f, v7
	v_sub_f32_e32 v8, v8, v10
	v_add_f32_e32 v8, v8, v9
	v_cvt_i32_f32_e32 v10, v10
	v_exp_f32_e32 v8, v8
	v_cmp_ngt_f32_e32 vcc, s29, v7
	v_max_f32_e32 v6, 0xc0e00000, v6
	v_min_f32_e32 v6, 0x40e00000, v6
	v_ldexp_f32 v8, v8, v10
	v_cndmask_b32_e32 v8, 0, v8, vcc
	v_cmp_nlt_f32_e32 vcc, s30, v7
	v_add_f32_e32 v6, 1.0, v6
	s_nop 0
	v_cndmask_b32_e32 v7, v4, v8, vcc
	v_add_f32_e32 v7, 1.0, v7
	v_rcp_f32_e32 v7, v7
	s_nop 0
	v_mul_f32_e32 v5, v5, v7
	v_mul_f32_e32 v5, v6, v5
	v_lshrrev_b32_e32 v5, 16, v5
	buffer_store_short v5, v2, s[8:11], 0 offen
	v_add_u32_e32 v2, s26, v2
	s_andn2_b64 exec, exec, s[24:25]
	s_cbranch_execnz .LBB302_8
.LBB302_9:
	s_endpgm
	.section	.rodata,"a",@progbits
	.p2align	6, 0x0
	.amdhsa_kernel _ZN5aiter30swiglu_act_and_mul_bias_kernelIftifLi1EEEvPT0_PKT_PKT1_PKT2_il
		.amdhsa_group_segment_fixed_size 0
		.amdhsa_private_segment_fixed_size 0
		.amdhsa_kernarg_size 304
		.amdhsa_user_sgpr_count 2
		.amdhsa_user_sgpr_dispatch_ptr 0
		.amdhsa_user_sgpr_queue_ptr 0
		.amdhsa_user_sgpr_kernarg_segment_ptr 1
		.amdhsa_user_sgpr_dispatch_id 0
		.amdhsa_user_sgpr_kernarg_preload_length 0
		.amdhsa_user_sgpr_kernarg_preload_offset 0
		.amdhsa_user_sgpr_private_segment_size 0
		.amdhsa_uses_dynamic_stack 0
		.amdhsa_enable_private_segment 0
		.amdhsa_system_sgpr_workgroup_id_x 1
		.amdhsa_system_sgpr_workgroup_id_y 0
		.amdhsa_system_sgpr_workgroup_id_z 0
		.amdhsa_system_sgpr_workgroup_info 0
		.amdhsa_system_vgpr_workitem_id 0
		.amdhsa_next_free_vgpr 11
		.amdhsa_next_free_sgpr 31
		.amdhsa_accum_offset 12
		.amdhsa_reserve_vcc 1
		.amdhsa_float_round_mode_32 0
		.amdhsa_float_round_mode_16_64 0
		.amdhsa_float_denorm_mode_32 3
		.amdhsa_float_denorm_mode_16_64 3
		.amdhsa_dx10_clamp 1
		.amdhsa_ieee_mode 1
		.amdhsa_fp16_overflow 0
		.amdhsa_tg_split 0
		.amdhsa_exception_fp_ieee_invalid_op 0
		.amdhsa_exception_fp_denorm_src 0
		.amdhsa_exception_fp_ieee_div_zero 0
		.amdhsa_exception_fp_ieee_overflow 0
		.amdhsa_exception_fp_ieee_underflow 0
		.amdhsa_exception_fp_ieee_inexact 0
		.amdhsa_exception_int_div_zero 0
	.end_amdhsa_kernel
	.section	.text._ZN5aiter30swiglu_act_and_mul_bias_kernelIftifLi1EEEvPT0_PKT_PKT1_PKT2_il,"axG",@progbits,_ZN5aiter30swiglu_act_and_mul_bias_kernelIftifLi1EEEvPT0_PKT_PKT1_PKT2_il,comdat
.Lfunc_end302:
	.size	_ZN5aiter30swiglu_act_and_mul_bias_kernelIftifLi1EEEvPT0_PKT_PKT1_PKT2_il, .Lfunc_end302-_ZN5aiter30swiglu_act_and_mul_bias_kernelIftifLi1EEEvPT0_PKT_PKT1_PKT2_il
                                        ; -- End function
	.section	.AMDGPU.csdata,"",@progbits
; Kernel info:
; codeLenInByte = 756
; NumSgprs: 37
; NumVgprs: 11
; NumAgprs: 0
; TotalNumVgprs: 11
; ScratchSize: 0
; MemoryBound: 0
; FloatMode: 240
; IeeeMode: 1
; LDSByteSize: 0 bytes/workgroup (compile time only)
; SGPRBlocks: 4
; VGPRBlocks: 1
; NumSGPRsForWavesPerEU: 37
; NumVGPRsForWavesPerEU: 11
; AccumOffset: 12
; Occupancy: 8
; WaveLimiterHint : 0
; COMPUTE_PGM_RSRC2:SCRATCH_EN: 0
; COMPUTE_PGM_RSRC2:USER_SGPR: 2
; COMPUTE_PGM_RSRC2:TRAP_HANDLER: 0
; COMPUTE_PGM_RSRC2:TGID_X_EN: 1
; COMPUTE_PGM_RSRC2:TGID_Y_EN: 0
; COMPUTE_PGM_RSRC2:TGID_Z_EN: 0
; COMPUTE_PGM_RSRC2:TIDIG_COMP_CNT: 0
; COMPUTE_PGM_RSRC3_GFX90A:ACCUM_OFFSET: 2
; COMPUTE_PGM_RSRC3_GFX90A:TG_SPLIT: 0
	.section	.text._ZN5aiter30swiglu_act_and_mul_bias_kernelIfDF16_ifLi16EEEvPT0_PKT_PKT1_PKT2_il,"axG",@progbits,_ZN5aiter30swiglu_act_and_mul_bias_kernelIfDF16_ifLi16EEEvPT0_PKT_PKT1_PKT2_il,comdat
	.protected	_ZN5aiter30swiglu_act_and_mul_bias_kernelIfDF16_ifLi16EEEvPT0_PKT_PKT1_PKT2_il ; -- Begin function _ZN5aiter30swiglu_act_and_mul_bias_kernelIfDF16_ifLi16EEEvPT0_PKT_PKT1_PKT2_il
	.globl	_ZN5aiter30swiglu_act_and_mul_bias_kernelIfDF16_ifLi16EEEvPT0_PKT_PKT1_PKT2_il
	.p2align	8
	.type	_ZN5aiter30swiglu_act_and_mul_bias_kernelIfDF16_ifLi16EEEvPT0_PKT_PKT1_PKT2_il,@function
_ZN5aiter30swiglu_act_and_mul_bias_kernelIfDF16_ifLi16EEEvPT0_PKT_PKT1_PKT2_il: ; @_ZN5aiter30swiglu_act_and_mul_bias_kernelIfDF16_ifLi16EEEvPT0_PKT_PKT1_PKT2_il
; %bb.0:
	s_load_dwordx2 s[4:5], s[0:1], 0x10
	s_load_dword s64, s[0:1], 0x20
	s_load_dwordx2 s[8:9], s[0:1], 0x28
	s_mov_b32 s3, 0
	s_lshl_b64 s[6:7], s[2:3], 2
	s_waitcnt lgkmcnt(0)
	s_add_u32 s6, s4, s6
	s_addc_u32 s7, s5, s7
	s_load_dword s4, s[6:7], 0x0
	s_load_dwordx2 s[10:11], s[0:1], 0x0
	s_ashr_i32 s65, s64, 31
	s_mul_hi_u32 s3, s64, s2
	s_mul_i32 s14, s65, s2
	s_add_i32 s15, s3, s14
	s_mul_i32 s14, s64, s2
	s_waitcnt lgkmcnt(0)
	s_ashr_i32 s5, s4, 31
	s_lshl_b64 s[14:15], s[14:15], 1
	s_add_u32 s44, s10, s14
	s_addc_u32 s3, s11, s15
	s_add_i32 s10, s64, 1
	s_lshr_b32 s11, s10, 31
	v_mov_b64_e32 v[2:3], s[8:9]
	v_cmp_gt_i64_e64 s[12:13], s[4:5], -1
	s_add_i32 s10, s10, s11
	v_cmp_lt_i64_e32 vcc, s[4:5], v[2:3]
	s_lshl_b32 s10, s10, 1
	s_and_b64 s[8:9], s[12:13], vcc
	s_mov_b64 s[6:7], -1
	s_and_b32 s46, s10, -4
	s_and_b32 s45, s3, 0xffff
	s_and_b64 vcc, exec, s[8:9]
	v_lshlrev_b32_e32 v40, 4, v0
	s_cbranch_vccnz .LBB303_5
; %bb.1:
	v_cmp_gt_i32_e32 vcc, s64, v40
	s_and_saveexec_b64 s[6:7], vcc
	s_cbranch_execz .LBB303_4
; %bb.2:
	s_load_dword s3, s[0:1], 0x3c
	s_mov_b32 s9, 0
	s_mov_b32 s12, s9
	;; [unrolled: 1-line block ×3, first 2 shown]
	v_mov_b32_e32 v41, 0
	s_waitcnt lgkmcnt(0)
	s_and_b32 s3, s3, 0xffff
	s_mov_b32 s14, s9
	s_mov_b32 s15, s9
	v_mov_b64_e32 v[2:3], s[12:13]
	v_lshlrev_b32_e32 v1, 5, v0
	s_lshl_b32 s8, s3, 4
	s_lshl_b32 s3, s3, 5
	s_mov_b64 s[10:11], 0
	s_mov_b32 s47, 0x20000
	v_mov_b64_e32 v[4:5], s[14:15]
	v_mov_b64_e32 v[6:7], v[40:41]
.LBB303_3:                              ; =>This Inner Loop Header: Depth=1
	v_lshl_add_u64 v[6:7], s[8:9], 0, v[6:7]
	v_cmp_le_i64_e32 vcc, s[64:65], v[6:7]
	buffer_store_dwordx4 v[2:5], v1, s[44:47], 0 offen
	buffer_store_dwordx4 v[2:5], v1, s[44:47], 16 offen
	s_or_b64 s[10:11], vcc, s[10:11]
	v_add_u32_e32 v1, s3, v1
	s_andn2_b64 exec, exec, s[10:11]
	s_cbranch_execnz .LBB303_3
.LBB303_4:
	s_or_b64 exec, exec, s[6:7]
	s_mov_b64 s[6:7], 0
.LBB303_5:
	s_andn2_b64 vcc, exec, s[6:7]
	s_cbranch_vccnz .LBB303_9
; %bb.6:
	v_cmp_gt_i32_e32 vcc, s64, v40
	s_and_saveexec_b64 s[6:7], vcc
	s_cbranch_execz .LBB303_9
; %bb.7:
	s_load_dwordx2 s[6:7], s[0:1], 0x8
	s_load_dwordx2 s[8:9], s[0:1], 0x18
	s_mul_hi_i32 s5, s64, s4
	s_mul_i32 s4, s64, s4
	s_lshl_b32 s50, s64, 2
	s_lshl_b64 s[4:5], s[4:5], 3
	s_waitcnt lgkmcnt(0)
	s_add_u32 s48, s8, s4
	s_load_dword s10, s[0:1], 0x3c
	s_addc_u32 s3, s9, s5
	s_lshl_b64 s[0:1], s[64:65], 2
	s_add_u32 s52, s48, s0
	s_addc_u32 s4, s3, s1
	s_and_b32 s49, s3, 0xffff
	s_and_b32 s53, s4, 0xffff
	s_mul_i32 s3, s2, s65
	s_mul_hi_u32 s4, s2, s64
	s_add_i32 s3, s4, s3
	s_mul_i32 s2, s2, s64
	s_lshl_b64 s[2:3], s[2:3], 3
	s_add_u32 s56, s6, s2
	s_addc_u32 s2, s7, s3
	s_add_u32 s60, s56, s0
	s_addc_u32 s0, s2, s1
	s_mov_b32 s47, 0x20000
	s_and_b32 s61, s0, 0xffff
	s_waitcnt lgkmcnt(0)
	s_and_b32 s0, s10, 0xffff
	s_mov_b32 s51, s47
	s_and_b32 s57, s2, 0xffff
	s_mov_b32 s67, 0
	v_mov_b32_e32 v41, 0
	s_lshl_b32 s66, s0, 4
	v_lshlrev_b32_e32 v50, 5, v0
	s_lshl_b32 s33, s0, 5
	v_lshlrev_b32_e32 v51, 6, v0
	s_lshl_b32 s70, s0, 6
	s_mov_b64 s[68:69], 0
	s_mov_b32 s58, s50
	s_mov_b32 s59, s47
	;; [unrolled: 1-line block ×5, first 2 shown]
	v_mov_b32_e32 v52, 0x7f800000
	s_mov_b32 s74, 0xc0e00000
	v_mov_b32_e32 v53, 0x40e00000
	s_mov_b32 s62, s50
	s_mov_b32 s63, s47
.LBB303_8:                              ; =>This Inner Loop Header: Depth=1
	buffer_load_dwordx4 v[0:3], v51, s[56:59], 0 offen
	buffer_load_dwordx4 v[44:47], v51, s[48:51], 0 offen
	;; [unrolled: 1-line block ×11, first 2 shown]
	s_mov_b32 s54, s50
	s_mov_b32 s55, s51
	buffer_load_dwordx4 v[54:57], v51, s[52:55], 32 offen
	v_lshl_add_u64 v[40:41], s[66:67], 0, v[40:41]
	v_cmp_le_i64_e64 s[40:41], s[64:65], v[40:41]
	s_or_b64 s[68:69], s[40:41], s[68:69]
	s_waitcnt vmcnt(10)
	v_pk_add_f32 v[42:43], v[2:3], v[46:47]
	v_pk_add_f32 v[44:45], v[0:1], v[44:45]
	s_waitcnt vmcnt(8)
	v_pk_add_f32 v[38:39], v[34:35], v[38:39]
	v_pk_add_f32 v[36:37], v[32:33], v[36:37]
	buffer_load_dwordx4 v[32:35], v51, s[52:55], 0 offen
	buffer_load_dwordx4 v[0:3], v51, s[60:63], 48 offen
	s_waitcnt vmcnt(7)
	v_pk_add_f32 v[30:31], v[26:27], v[30:31]
	v_pk_add_f32 v[46:47], v[24:25], v[28:29]
	buffer_load_dwordx4 v[24:27], v51, s[52:55], 16 offen
	v_min_f32_e32 v28, 0x40e00000, v44
	s_waitcnt vmcnt(4)
	v_pk_add_f32 v[48:49], v[14:15], v[22:23]
	v_pk_add_f32 v[58:59], v[12:13], v[20:21]
	v_min_f32_e32 v29, 0x40e00000, v45
	v_min_f32_e32 v14, 0x40e00000, v36
	v_mul_f32_e32 v36, 0xbfd9db23, v29
	v_min_f32_e32 v12, 0x40e00000, v42
	v_cmp_ngt_f32_e64 s[12:13], s72, v36
	v_cmp_nlt_f32_e64 s[14:15], s73, v36
	v_min_f32_e32 v13, 0x40e00000, v43
	v_mul_f32_e32 v44, 0xbfd9db23, v13
	v_min_f32_e32 v15, 0x40e00000, v37
	v_mul_f32_e32 v37, 0x3fb8aa3b, v44
	v_cmp_ngt_f32_e64 s[36:37], s72, v44
	v_cmp_nlt_f32_e64 s[0:1], s73, v44
	v_mul_f32_e32 v45, 0xbfd9db23, v14
	v_cmp_ngt_f32_e64 s[28:29], s72, v45
	v_cmp_nlt_f32_e64 s[2:3], s73, v45
	s_waitcnt vmcnt(2)
	v_pk_add_f32 v[18:19], v[18:19], v[34:35]
	v_pk_add_f32 v[16:17], v[16:17], v[32:33]
	buffer_load_dwordx4 v[32:35], v51, s[52:55], 48 offen
	v_pk_add_f32 v[22:23], v[4:5], v[54:55]
	s_waitcnt vmcnt(1)
	v_pk_add_f32 v[20:21], v[10:11], v[26:27]
	v_pk_add_f32 v[26:27], v[8:9], v[24:25]
	v_min_f32_e32 v5, 0x40e00000, v31
	v_min_f32_e32 v4, 0x40e00000, v30
	;; [unrolled: 1-line block ×4, first 2 shown]
	v_pk_add_f32 v[24:25], v[6:7], v[56:57]
	v_mul_f32_e32 v46, 0xbfd9db23, v15
	v_fma_f32 v56, v44, s71, -v37
	v_min_f32_e32 v9, 0x40e00000, v39
	v_fmac_f32_e32 v56, 0x32a5705f, v44
	v_mul_f32_e32 v44, 0xbfd9db23, v11
	v_min_f32_e32 v6, 0x40e00000, v58
	v_mul_f32_e32 v58, 0xbfd9db23, v9
	v_min_f32_e32 v8, 0x40e00000, v38
	v_cmp_ngt_f32_e64 s[30:31], s72, v46
	v_cmp_nlt_f32_e64 s[4:5], s73, v46
	v_mul_f32_e32 v47, 0xbfd9db23, v8
	v_cmp_ngt_f32_e64 s[24:25], s72, v44
	v_mul_f32_e32 v38, 0xbfd9db23, v12
	v_cmp_ngt_f32_e64 s[34:35], s72, v58
	v_min_f32_e32 v7, 0x40e00000, v59
	v_mul_f32_e32 v59, 0xbfd9db23, v10
	v_mul_f32_e32 v39, 0x3fb8aa3b, v38
	v_cmp_ngt_f32_e64 s[26:27], s72, v47
	v_cmp_nlt_f32_e64 s[6:7], s73, v47
	v_fma_f32 v57, v38, s71, -v39
	v_cmp_ngt_f32_e64 s[38:39], s72, v38
	v_cmp_nlt_f32_e32 vcc, s73, v38
	v_fmac_f32_e32 v57, 0x32a5705f, v38
	v_cmp_ngt_f32_e64 s[18:19], s72, v59
	v_med3_f32 v21, v21, s74, v53
	v_med3_f32 v20, v20, s74, v53
	;; [unrolled: 1-line block ×6, first 2 shown]
	v_pk_add_f32 v[20:21], v[20:21], 1.0 op_sel_hi:[1,0]
	v_pk_add_f32 v[22:23], v[22:23], 1.0 op_sel_hi:[1,0]
	v_pk_add_f32 v[24:25], v[24:25], 1.0 op_sel_hi:[1,0]
	v_add_u32_e32 v51, s70, v51
	s_waitcnt vmcnt(0)
	v_pk_add_f32 v[30:31], v[2:3], v[34:35]
	v_pk_add_f32 v[32:33], v[0:1], v[32:33]
	v_mul_f32_e32 v35, 0xbfd9db23, v28
	v_med3_f32 v2, v16, s74, v53
	v_med3_f32 v16, v18, s74, v53
	;; [unrolled: 1-line block ×4, first 2 shown]
	v_mul_f32_e32 v32, 0x3fb8aa3b, v35
	v_med3_f32 v3, v17, s74, v53
	v_med3_f32 v17, v19, s74, v53
	;; [unrolled: 1-line block ×4, first 2 shown]
	v_mul_f32_e32 v33, 0x3fb8aa3b, v36
	v_fma_f32 v42, v35, s71, -v32
	v_cmp_ngt_f32_e64 s[8:9], s72, v35
	v_cmp_nlt_f32_e64 s[10:11], s73, v35
	v_fmac_f32_e32 v42, 0x32a5705f, v35
	v_fma_f32 v35, v36, s71, -v33
	v_fmac_f32_e32 v35, 0x32a5705f, v36
	v_rndne_f32_e32 v36, v32
	v_sub_f32_e32 v32, v32, v36
	v_add_f32_e32 v32, v32, v42
	v_rndne_f32_e32 v42, v33
	v_sub_f32_e32 v33, v33, v42
	v_add_f32_e32 v43, v33, v35
	v_cvt_i32_f32_e32 v33, v36
	v_exp_f32_e32 v32, v32
	v_cvt_i32_f32_e32 v36, v42
	v_exp_f32_e32 v42, v43
	v_mul_f32_e32 v35, 0x3fb8aa3b, v46
	v_ldexp_f32 v32, v32, v33
	v_cndmask_b32_e64 v32, 0, v32, s[8:9]
	v_ldexp_f32 v36, v42, v36
	v_cndmask_b32_e64 v36, 0, v36, s[12:13]
	v_cndmask_b32_e64 v32, v52, v32, s[10:11]
	;; [unrolled: 1-line block ×3, first 2 shown]
	v_add_f32_e32 v32, 1.0, v32
	v_add_f32_e32 v36, 1.0, v36
	v_rcp_f32_e32 v42, v32
	v_rcp_f32_e32 v43, v36
	v_fma_f32 v54, v46, s71, -v35
	v_mul_f32_e32 v34, 0x3fb8aa3b, v45
	v_mul_f32_e32 v36, 0x3fb8aa3b, v58
	v_pk_mul_f32 v[28:29], v[28:29], v[42:43]
	v_mul_f32_e32 v42, 0x3fb8aa3b, v44
	v_fmac_f32_e32 v54, 0x32a5705f, v46
	v_fma_f32 v43, v44, s71, -v42
	v_mul_f32_e32 v46, 0xbfd9db23, v4
	v_min_f32_e32 v0, 0x40e00000, v48
	v_fma_f32 v55, v45, s71, -v34
	v_fma_f32 v48, v58, s71, -v36
	v_cmp_nlt_f32_e64 s[12:13], s73, v44
	v_fmac_f32_e32 v43, 0x32a5705f, v44
	v_mul_f32_e32 v44, 0x3fb8aa3b, v46
	v_mul_f32_e32 v33, 0x3fb8aa3b, v47
	v_cmp_nlt_f32_e64 s[8:9], s73, v58
	v_fmac_f32_e32 v55, 0x32a5705f, v45
	v_fmac_f32_e32 v48, 0x32a5705f, v58
	v_fma_f32 v45, v46, s71, -v44
	v_mul_f32_e32 v58, 0xbfd9db23, v5
	v_min_f32_e32 v1, 0x40e00000, v49
	v_fma_f32 v49, v47, s71, -v33
	v_cmp_ngt_f32_e64 s[22:23], s72, v46
	v_cmp_nlt_f32_e64 s[14:15], s73, v46
	v_fmac_f32_e32 v45, 0x32a5705f, v46
	v_mul_f32_e32 v46, 0x3fb8aa3b, v58
	v_mul_f32_e32 v32, 0x3fb8aa3b, v59
	v_fmac_f32_e32 v49, 0x32a5705f, v47
	v_fma_f32 v47, v58, s71, -v46
	v_fma_f32 v38, v59, s71, -v32
	v_cmp_ngt_f32_e64 s[20:21], s72, v58
	v_cmp_nlt_f32_e64 s[16:17], s73, v58
	v_fmac_f32_e32 v47, 0x32a5705f, v58
	v_mul_f32_e32 v58, 0xbfd9db23, v6
	v_cmp_nlt_f32_e64 s[10:11], s73, v59
	v_fmac_f32_e32 v38, 0x32a5705f, v59
	v_mul_f32_e32 v59, 0x3fb8aa3b, v58
	v_fma_f32 v60, v58, s71, -v59
	v_cmp_ngt_f32_e64 s[42:43], s72, v58
	v_cmp_nlt_f32_e64 s[40:41], s73, v58
	v_fmac_f32_e32 v60, 0x32a5705f, v58
	v_rndne_f32_e32 v58, v39
	v_sub_f32_e32 v39, v39, v58
	v_add_f32_e32 v39, v39, v57
	v_cvt_i32_f32_e32 v57, v58
	v_rndne_f32_e32 v58, v37
	v_sub_f32_e32 v37, v37, v58
	v_add_f32_e32 v37, v37, v56
	v_cvt_i32_f32_e32 v56, v58
	v_exp_f32_e32 v37, v37
	v_exp_f32_e32 v39, v39
	v_med3_f32 v31, v31, s74, v53
	v_med3_f32 v30, v30, s74, v53
	v_ldexp_f32 v37, v37, v56
	v_mul_f32_e32 v56, 0xbfd9db23, v7
	v_ldexp_f32 v39, v39, v57
	v_mul_f32_e32 v57, 0x3fb8aa3b, v56
	v_fma_f32 v58, v56, s71, -v57
	v_cndmask_b32_e64 v39, 0, v39, s[38:39]
	v_cndmask_b32_e64 v37, 0, v37, s[36:37]
	v_cmp_ngt_f32_e64 s[38:39], s72, v56
	v_cmp_nlt_f32_e64 s[36:37], s73, v56
	v_fmac_f32_e32 v58, 0x32a5705f, v56
	v_rndne_f32_e32 v56, v34
	v_sub_f32_e32 v34, v34, v56
	v_add_f32_e32 v34, v34, v55
	v_cvt_i32_f32_e32 v55, v56
	v_rndne_f32_e32 v56, v35
	v_sub_f32_e32 v35, v35, v56
	v_add_f32_e32 v35, v35, v54
	v_cvt_i32_f32_e32 v54, v56
	v_exp_f32_e32 v35, v35
	v_exp_f32_e32 v34, v34
	v_cndmask_b32_e32 v39, v52, v39, vcc
	v_cndmask_b32_e64 v37, v52, v37, s[0:1]
	v_ldexp_f32 v35, v35, v54
	v_mul_f32_e32 v54, 0xbfd9db23, v0
	v_ldexp_f32 v34, v34, v55
	v_mul_f32_e32 v55, 0x3fb8aa3b, v54
	v_fma_f32 v56, v54, s71, -v55
	v_cndmask_b32_e64 v34, 0, v34, s[28:29]
	v_cndmask_b32_e64 v35, 0, v35, s[30:31]
	v_cmp_ngt_f32_e64 s[28:29], s72, v54
	v_cmp_nlt_f32_e64 s[30:31], s73, v54
	v_fmac_f32_e32 v56, 0x32a5705f, v54
	v_rndne_f32_e32 v54, v33
	v_sub_f32_e32 v33, v33, v54
	v_add_f32_e32 v33, v33, v49
	v_cvt_i32_f32_e32 v49, v54
	v_rndne_f32_e32 v54, v36
	v_sub_f32_e32 v36, v36, v54
	v_add_f32_e32 v36, v36, v48
	v_cvt_i32_f32_e32 v48, v54
	v_exp_f32_e32 v36, v36
	v_exp_f32_e32 v33, v33
	v_cndmask_b32_e64 v34, v52, v34, s[2:3]
	v_cndmask_b32_e64 v35, v52, v35, s[4:5]
	v_ldexp_f32 v36, v36, v48
	v_mul_f32_e32 v48, 0xbfd9db23, v1
	v_ldexp_f32 v33, v33, v49
	v_mul_f32_e32 v49, 0x3fb8aa3b, v48
	v_fma_f32 v54, v48, s71, -v49
	v_cndmask_b32_e64 v33, 0, v33, s[26:27]
	v_cndmask_b32_e64 v36, 0, v36, s[34:35]
	v_cmp_ngt_f32_e64 s[26:27], s72, v48
	v_cmp_nlt_f32_e64 s[34:35], s73, v48
	v_fmac_f32_e32 v54, 0x32a5705f, v48
	v_rndne_f32_e32 v48, v32
	v_sub_f32_e32 v32, v32, v48
	v_add_f32_e32 v32, v32, v38
	v_rndne_f32_e32 v38, v42
	v_sub_f32_e32 v42, v42, v38
	v_add_f32_e32 v42, v42, v43
	v_cvt_i32_f32_e32 v38, v38
	v_exp_f32_e32 v42, v42
	v_rndne_f32_e32 v43, v44
	v_sub_f32_e32 v44, v44, v43
	v_add_f32_e32 v44, v44, v45
	v_ldexp_f32 v38, v42, v38
	v_cvt_i32_f32_e32 v42, v43
	v_exp_f32_e32 v43, v44
	v_rndne_f32_e32 v45, v46
	v_sub_f32_e32 v46, v46, v45
	v_add_f32_e32 v46, v46, v47
	v_ldexp_f32 v42, v43, v42
	;; [unrolled: 6-line block ×4, first 2 shown]
	v_cvt_i32_f32_e32 v45, v60
	v_exp_f32_e32 v46, v57
	v_rndne_f32_e32 v58, v55
	v_sub_f32_e32 v55, v55, v58
	v_cvt_i32_f32_e32 v48, v48
	v_exp_f32_e32 v32, v32
	v_add_f32_e32 v55, v55, v56
	v_ldexp_f32 v45, v46, v45
	v_cvt_i32_f32_e32 v46, v58
	v_exp_f32_e32 v47, v55
	v_rndne_f32_e32 v56, v49
	v_ldexp_f32 v32, v32, v48
	v_sub_f32_e32 v48, v49, v56
	v_add_f32_e32 v48, v48, v54
	v_ldexp_f32 v46, v47, v46
	v_cvt_i32_f32_e32 v47, v56
	v_exp_f32_e32 v48, v48
	v_cndmask_b32_e64 v32, 0, v32, s[18:19]
	v_cndmask_b32_e64 v38, 0, v38, s[24:25]
	;; [unrolled: 1-line block ×3, first 2 shown]
	v_ldexp_f32 v47, v48, v47
	v_cndmask_b32_e64 v43, 0, v43, s[20:21]
	v_cndmask_b32_e64 v44, 0, v44, s[42:43]
	;; [unrolled: 1-line block ×15, first 2 shown]
	v_add_f32_e32 v39, 1.0, v39
	v_add_f32_e32 v37, 1.0, v37
	;; [unrolled: 1-line block ×14, first 2 shown]
	v_rcp_f32_e32 v32, v39
	v_rcp_f32_e32 v33, v37
	;; [unrolled: 1-line block ×14, first 2 shown]
	v_pk_add_f32 v[2:3], v[2:3], 1.0 op_sel_hi:[1,0]
	v_pk_add_f32 v[16:17], v[16:17], 1.0 op_sel_hi:[1,0]
	;; [unrolled: 1-line block ×3, first 2 shown]
	v_pk_mul_f32 v[12:13], v[12:13], v[32:33]
	v_pk_mul_f32 v[14:15], v[14:15], v[34:35]
	;; [unrolled: 1-line block ×3, first 2 shown]
	v_pk_add_f32 v[26:27], v[26:27], 1.0 op_sel_hi:[1,0]
	v_pk_add_f32 v[30:31], v[30:31], 1.0 op_sel_hi:[1,0]
	v_pk_mul_f32 v[10:11], v[10:11], v[38:39]
	v_pk_mul_f32 v[4:5], v[4:5], v[42:43]
	;; [unrolled: 1-line block ×12, first 2 shown]
	v_cvt_f16_f32_e32 v16, v3
	v_cvt_f16_f32_e32 v17, v2
	;; [unrolled: 1-line block ×16, first 2 shown]
	v_pack_b32_f16 v3, v8, v3
	v_pack_b32_f16 v1, v12, v2
	;; [unrolled: 1-line block ×8, first 2 shown]
	buffer_store_dwordx4 v[0:3], v50, s[44:47], 0 offen
	buffer_store_dwordx4 v[4:7], v50, s[44:47], 16 offen
	v_add_u32_e32 v50, s33, v50
	s_andn2_b64 exec, exec, s[68:69]
	s_cbranch_execnz .LBB303_8
.LBB303_9:
	s_endpgm
	.section	.rodata,"a",@progbits
	.p2align	6, 0x0
	.amdhsa_kernel _ZN5aiter30swiglu_act_and_mul_bias_kernelIfDF16_ifLi16EEEvPT0_PKT_PKT1_PKT2_il
		.amdhsa_group_segment_fixed_size 0
		.amdhsa_private_segment_fixed_size 0
		.amdhsa_kernarg_size 304
		.amdhsa_user_sgpr_count 2
		.amdhsa_user_sgpr_dispatch_ptr 0
		.amdhsa_user_sgpr_queue_ptr 0
		.amdhsa_user_sgpr_kernarg_segment_ptr 1
		.amdhsa_user_sgpr_dispatch_id 0
		.amdhsa_user_sgpr_kernarg_preload_length 0
		.amdhsa_user_sgpr_kernarg_preload_offset 0
		.amdhsa_user_sgpr_private_segment_size 0
		.amdhsa_uses_dynamic_stack 0
		.amdhsa_enable_private_segment 0
		.amdhsa_system_sgpr_workgroup_id_x 1
		.amdhsa_system_sgpr_workgroup_id_y 0
		.amdhsa_system_sgpr_workgroup_id_z 0
		.amdhsa_system_sgpr_workgroup_info 0
		.amdhsa_system_vgpr_workitem_id 0
		.amdhsa_next_free_vgpr 61
		.amdhsa_next_free_sgpr 75
		.amdhsa_accum_offset 64
		.amdhsa_reserve_vcc 1
		.amdhsa_float_round_mode_32 0
		.amdhsa_float_round_mode_16_64 0
		.amdhsa_float_denorm_mode_32 3
		.amdhsa_float_denorm_mode_16_64 3
		.amdhsa_dx10_clamp 1
		.amdhsa_ieee_mode 1
		.amdhsa_fp16_overflow 0
		.amdhsa_tg_split 0
		.amdhsa_exception_fp_ieee_invalid_op 0
		.amdhsa_exception_fp_denorm_src 0
		.amdhsa_exception_fp_ieee_div_zero 0
		.amdhsa_exception_fp_ieee_overflow 0
		.amdhsa_exception_fp_ieee_underflow 0
		.amdhsa_exception_fp_ieee_inexact 0
		.amdhsa_exception_int_div_zero 0
	.end_amdhsa_kernel
	.section	.text._ZN5aiter30swiglu_act_and_mul_bias_kernelIfDF16_ifLi16EEEvPT0_PKT_PKT1_PKT2_il,"axG",@progbits,_ZN5aiter30swiglu_act_and_mul_bias_kernelIfDF16_ifLi16EEEvPT0_PKT_PKT1_PKT2_il,comdat
.Lfunc_end303:
	.size	_ZN5aiter30swiglu_act_and_mul_bias_kernelIfDF16_ifLi16EEEvPT0_PKT_PKT1_PKT2_il, .Lfunc_end303-_ZN5aiter30swiglu_act_and_mul_bias_kernelIfDF16_ifLi16EEEvPT0_PKT_PKT1_PKT2_il
                                        ; -- End function
	.section	.AMDGPU.csdata,"",@progbits
; Kernel info:
; codeLenInByte = 3096
; NumSgprs: 81
; NumVgprs: 61
; NumAgprs: 0
; TotalNumVgprs: 61
; ScratchSize: 0
; MemoryBound: 0
; FloatMode: 240
; IeeeMode: 1
; LDSByteSize: 0 bytes/workgroup (compile time only)
; SGPRBlocks: 10
; VGPRBlocks: 7
; NumSGPRsForWavesPerEU: 81
; NumVGPRsForWavesPerEU: 61
; AccumOffset: 64
; Occupancy: 8
; WaveLimiterHint : 0
; COMPUTE_PGM_RSRC2:SCRATCH_EN: 0
; COMPUTE_PGM_RSRC2:USER_SGPR: 2
; COMPUTE_PGM_RSRC2:TRAP_HANDLER: 0
; COMPUTE_PGM_RSRC2:TGID_X_EN: 1
; COMPUTE_PGM_RSRC2:TGID_Y_EN: 0
; COMPUTE_PGM_RSRC2:TGID_Z_EN: 0
; COMPUTE_PGM_RSRC2:TIDIG_COMP_CNT: 0
; COMPUTE_PGM_RSRC3_GFX90A:ACCUM_OFFSET: 15
; COMPUTE_PGM_RSRC3_GFX90A:TG_SPLIT: 0
	.section	.text._ZN5aiter30swiglu_act_and_mul_bias_kernelIfDF16_ifLi8EEEvPT0_PKT_PKT1_PKT2_il,"axG",@progbits,_ZN5aiter30swiglu_act_and_mul_bias_kernelIfDF16_ifLi8EEEvPT0_PKT_PKT1_PKT2_il,comdat
	.protected	_ZN5aiter30swiglu_act_and_mul_bias_kernelIfDF16_ifLi8EEEvPT0_PKT_PKT1_PKT2_il ; -- Begin function _ZN5aiter30swiglu_act_and_mul_bias_kernelIfDF16_ifLi8EEEvPT0_PKT_PKT1_PKT2_il
	.globl	_ZN5aiter30swiglu_act_and_mul_bias_kernelIfDF16_ifLi8EEEvPT0_PKT_PKT1_PKT2_il
	.p2align	8
	.type	_ZN5aiter30swiglu_act_and_mul_bias_kernelIfDF16_ifLi8EEEvPT0_PKT_PKT1_PKT2_il,@function
_ZN5aiter30swiglu_act_and_mul_bias_kernelIfDF16_ifLi8EEEvPT0_PKT_PKT1_PKT2_il: ; @_ZN5aiter30swiglu_act_and_mul_bias_kernelIfDF16_ifLi8EEEvPT0_PKT_PKT1_PKT2_il
; %bb.0:
	s_load_dwordx2 s[4:5], s[0:1], 0x10
	s_load_dword s14, s[0:1], 0x20
	s_load_dwordx2 s[8:9], s[0:1], 0x28
	s_mov_b32 s3, 0
	s_lshl_b64 s[6:7], s[2:3], 2
	s_waitcnt lgkmcnt(0)
	s_add_u32 s6, s4, s6
	s_addc_u32 s7, s5, s7
	s_load_dword s4, s[6:7], 0x0
	s_load_dwordx2 s[10:11], s[0:1], 0x0
	s_ashr_i32 s15, s14, 31
	s_mul_hi_u32 s3, s14, s2
	s_mul_i32 s16, s15, s2
	s_add_i32 s17, s3, s16
	s_mul_i32 s16, s14, s2
	s_waitcnt lgkmcnt(0)
	s_ashr_i32 s5, s4, 31
	s_lshl_b64 s[16:17], s[16:17], 1
	s_add_u32 s16, s10, s16
	s_addc_u32 s3, s11, s17
	s_add_i32 s10, s14, 1
	s_lshr_b32 s11, s10, 31
	v_mov_b64_e32 v[2:3], s[8:9]
	v_cmp_gt_i64_e64 s[12:13], s[4:5], -1
	s_add_i32 s10, s10, s11
	v_cmp_lt_i64_e32 vcc, s[4:5], v[2:3]
	s_lshl_b32 s10, s10, 1
	s_and_b64 s[8:9], s[12:13], vcc
	s_mov_b64 s[6:7], -1
	s_and_b32 s18, s10, -4
	s_and_b32 s17, s3, 0xffff
	s_and_b64 vcc, exec, s[8:9]
	v_lshlrev_b32_e32 v24, 3, v0
	s_cbranch_vccnz .LBB304_5
; %bb.1:
	v_cmp_gt_i32_e32 vcc, s14, v24
	s_and_saveexec_b64 s[6:7], vcc
	s_cbranch_execz .LBB304_4
; %bb.2:
	s_load_dword s3, s[0:1], 0x3c
	v_mov_b32_e32 v25, 0
	s_mov_b32 s9, 0
	v_lshlrev_b32_e32 v1, 4, v0
	s_mov_b64 s[10:11], 0
	s_waitcnt lgkmcnt(0)
	s_and_b32 s3, s3, 0xffff
	s_lshl_b32 s8, s3, 3
	s_lshl_b32 s3, s3, 4
	s_mov_b32 s19, 0x20000
	v_mov_b32_e32 v2, v25
	v_mov_b32_e32 v3, v25
	;; [unrolled: 1-line block ×4, first 2 shown]
	v_mov_b64_e32 v[6:7], v[24:25]
.LBB304_3:                              ; =>This Inner Loop Header: Depth=1
	v_lshl_add_u64 v[6:7], s[8:9], 0, v[6:7]
	v_cmp_le_i64_e32 vcc, s[14:15], v[6:7]
	buffer_store_dwordx4 v[2:5], v1, s[16:19], 0 offen
	s_or_b64 s[10:11], vcc, s[10:11]
	v_add_u32_e32 v1, s3, v1
	s_andn2_b64 exec, exec, s[10:11]
	s_cbranch_execnz .LBB304_3
.LBB304_4:
	s_or_b64 exec, exec, s[6:7]
	s_mov_b64 s[6:7], 0
.LBB304_5:
	s_andn2_b64 vcc, exec, s[6:7]
	s_cbranch_vccnz .LBB304_9
; %bb.6:
	v_cmp_gt_i32_e32 vcc, s14, v24
	s_and_saveexec_b64 s[6:7], vcc
	s_cbranch_execz .LBB304_9
; %bb.7:
	s_load_dwordx2 s[6:7], s[0:1], 0x8
	s_load_dwordx2 s[8:9], s[0:1], 0x18
	s_mul_hi_i32 s5, s14, s4
	s_mul_i32 s4, s14, s4
	s_lshl_b32 s22, s14, 2
	s_lshl_b64 s[4:5], s[4:5], 3
	s_waitcnt lgkmcnt(0)
	s_add_u32 s20, s8, s4
	s_load_dword s10, s[0:1], 0x3c
	s_addc_u32 s3, s9, s5
	s_lshl_b64 s[0:1], s[14:15], 2
	s_add_u32 s24, s20, s0
	s_addc_u32 s4, s3, s1
	s_and_b32 s21, s3, 0xffff
	s_and_b32 s25, s4, 0xffff
	s_mul_i32 s3, s2, s15
	s_mul_hi_u32 s4, s2, s14
	s_add_i32 s3, s4, s3
	s_mul_i32 s2, s2, s14
	s_lshl_b64 s[2:3], s[2:3], 3
	s_add_u32 s28, s6, s2
	s_addc_u32 s2, s7, s3
	s_add_u32 s36, s28, s0
	s_addc_u32 s0, s2, s1
	s_mov_b32 s19, 0x20000
	s_and_b32 s37, s0, 0xffff
	s_waitcnt lgkmcnt(0)
	s_and_b32 s0, s10, 0xffff
	s_mov_b32 s23, s19
	s_and_b32 s29, s2, 0xffff
	s_mov_b32 s35, 0
	v_mov_b32_e32 v25, 0
	s_lshl_b32 s34, s0, 3
	v_lshlrev_b32_e32 v26, 4, v0
	s_lshl_b32 s33, s0, 4
	v_lshlrev_b32_e32 v27, 5, v0
	s_lshl_b32 s42, s0, 5
	s_mov_b64 s[40:41], 0
	s_mov_b32 s30, s22
	s_mov_b32 s31, s19
	;; [unrolled: 1-line block ×5, first 2 shown]
	v_mov_b32_e32 v28, 0x7f800000
	s_mov_b32 s46, 0xc0e00000
	v_mov_b32_e32 v29, 0x40e00000
	s_mov_b32 s38, s22
	s_mov_b32 s39, s19
.LBB304_8:                              ; =>This Inner Loop Header: Depth=1
	buffer_load_dwordx4 v[0:3], v27, s[28:31], 0 offen
	buffer_load_dwordx4 v[4:7], v27, s[28:31], 16 offen
	;; [unrolled: 1-line block ×6, first 2 shown]
	s_mov_b32 s26, s22
	s_mov_b32 s27, s23
	buffer_load_dwordx4 v[30:33], v27, s[24:27], 0 offen
	buffer_load_dwordx4 v[34:37], v27, s[24:27], 16 offen
	v_lshl_add_u64 v[24:25], s[34:35], 0, v[24:25]
	v_cmp_le_i64_e32 vcc, s[14:15], v[24:25]
	s_or_b64 s[40:41], vcc, s[40:41]
	v_add_u32_e32 v27, s42, v27
	s_waitcnt vmcnt(5)
	v_pk_add_f32 v[2:3], v[2:3], v[18:19]
	v_pk_add_f32 v[0:1], v[0:1], v[16:17]
	v_min_f32_e32 v3, 0x40e00000, v3
	s_waitcnt vmcnt(2)
	v_pk_add_f32 v[6:7], v[6:7], v[22:23]
	v_pk_add_f32 v[4:5], v[4:5], v[20:21]
	v_min_f32_e32 v1, 0x40e00000, v1
	v_min_f32_e32 v0, 0x40e00000, v0
	;; [unrolled: 1-line block ×7, first 2 shown]
	v_mul_f32_e32 v16, 0xbfd9db23, v0
	v_mul_f32_e32 v17, 0xbfd9db23, v1
	;; [unrolled: 1-line block ×8, first 2 shown]
	s_waitcnt vmcnt(1)
	v_pk_add_f32 v[14:15], v[14:15], v[32:33]
	v_pk_add_f32 v[12:13], v[12:13], v[30:31]
	s_waitcnt vmcnt(0)
	v_pk_add_f32 v[10:11], v[10:11], v[36:37]
	v_pk_add_f32 v[8:9], v[8:9], v[34:35]
	v_mul_f32_e32 v30, 0x3fb8aa3b, v16
	v_mul_f32_e32 v31, 0x3fb8aa3b, v17
	;; [unrolled: 1-line block ×8, first 2 shown]
	v_fma_f32 v38, v16, s43, -v30
	v_rndne_f32_e32 v39, v30
	v_fma_f32 v40, v17, s43, -v31
	v_rndne_f32_e32 v41, v31
	;; [unrolled: 2-line block ×8, first 2 shown]
	v_fmac_f32_e32 v38, 0x32a5705f, v16
	v_sub_f32_e32 v30, v30, v39
	v_fmac_f32_e32 v40, 0x32a5705f, v17
	v_sub_f32_e32 v31, v31, v41
	;; [unrolled: 2-line block ×8, first 2 shown]
	v_add_f32_e32 v30, v30, v38
	v_add_f32_e32 v31, v31, v40
	;; [unrolled: 1-line block ×8, first 2 shown]
	v_cvt_i32_f32_e32 v39, v39
	v_cvt_i32_f32_e32 v41, v41
	;; [unrolled: 1-line block ×8, first 2 shown]
	v_exp_f32_e32 v30, v30
	v_exp_f32_e32 v31, v31
	;; [unrolled: 1-line block ×8, first 2 shown]
	v_ldexp_f32 v30, v30, v39
	v_ldexp_f32 v31, v31, v41
	v_cmp_ngt_f32_e32 vcc, s44, v17
	v_ldexp_f32 v32, v32, v43
	v_cmp_ngt_f32_e64 s[0:1], s44, v18
	v_ldexp_f32 v33, v33, v45
	v_cmp_ngt_f32_e64 s[2:3], s44, v19
	;; [unrolled: 2-line block ×6, first 2 shown]
	v_cmp_ngt_f32_e64 s[12:13], s44, v16
	v_cndmask_b32_e32 v31, 0, v31, vcc
	v_cmp_nlt_f32_e32 vcc, s45, v17
	v_cndmask_b32_e64 v30, 0, v30, s[12:13]
	v_cndmask_b32_e64 v17, 0, v32, s[0:1]
	v_cmp_nlt_f32_e64 s[0:1], s45, v18
	v_cndmask_b32_e64 v18, 0, v33, s[2:3]
	v_cmp_nlt_f32_e64 s[2:3], s45, v19
	;; [unrolled: 2-line block ×6, first 2 shown]
	v_cmp_nlt_f32_e64 s[12:13], s45, v16
	v_cndmask_b32_e32 v23, v28, v31, vcc
	v_cndmask_b32_e64 v17, v28, v17, s[0:1]
	v_cndmask_b32_e64 v16, v28, v30, s[12:13]
	v_cndmask_b32_e64 v18, v28, v18, s[2:3]
	v_cndmask_b32_e64 v19, v28, v19, s[4:5]
	v_cndmask_b32_e64 v20, v28, v20, s[6:7]
	v_cndmask_b32_e64 v21, v28, v21, s[8:9]
	v_cndmask_b32_e64 v22, v28, v22, s[10:11]
	v_add_f32_e32 v16, 1.0, v16
	v_add_f32_e32 v23, 1.0, v23
	;; [unrolled: 1-line block ×8, first 2 shown]
	v_rcp_f32_e32 v16, v16
	v_rcp_f32_e32 v17, v23
	;; [unrolled: 1-line block ×8, first 2 shown]
	v_med3_f32 v13, v13, s46, v29
	v_med3_f32 v12, v12, s46, v29
	;; [unrolled: 1-line block ×8, first 2 shown]
	v_pk_add_f32 v[12:13], v[12:13], 1.0 op_sel_hi:[1,0]
	v_pk_add_f32 v[14:15], v[14:15], 1.0 op_sel_hi:[1,0]
	;; [unrolled: 1-line block ×4, first 2 shown]
	v_pk_mul_f32 v[0:1], v[0:1], v[16:17]
	v_pk_mul_f32 v[2:3], v[2:3], v[18:19]
	;; [unrolled: 1-line block ×8, first 2 shown]
	v_cvt_f16_f32_e32 v8, v1
	v_cvt_f16_f32_e32 v1, v3
	;; [unrolled: 1-line block ×8, first 2 shown]
	v_pack_b32_f16 v3, v6, v3
	v_pack_b32_f16 v1, v2, v1
	;; [unrolled: 1-line block ×4, first 2 shown]
	buffer_store_dwordx4 v[0:3], v26, s[16:19], 0 offen
	v_add_u32_e32 v26, s33, v26
	s_andn2_b64 exec, exec, s[40:41]
	s_cbranch_execnz .LBB304_8
.LBB304_9:
	s_endpgm
	.section	.rodata,"a",@progbits
	.p2align	6, 0x0
	.amdhsa_kernel _ZN5aiter30swiglu_act_and_mul_bias_kernelIfDF16_ifLi8EEEvPT0_PKT_PKT1_PKT2_il
		.amdhsa_group_segment_fixed_size 0
		.amdhsa_private_segment_fixed_size 0
		.amdhsa_kernarg_size 304
		.amdhsa_user_sgpr_count 2
		.amdhsa_user_sgpr_dispatch_ptr 0
		.amdhsa_user_sgpr_queue_ptr 0
		.amdhsa_user_sgpr_kernarg_segment_ptr 1
		.amdhsa_user_sgpr_dispatch_id 0
		.amdhsa_user_sgpr_kernarg_preload_length 0
		.amdhsa_user_sgpr_kernarg_preload_offset 0
		.amdhsa_user_sgpr_private_segment_size 0
		.amdhsa_uses_dynamic_stack 0
		.amdhsa_enable_private_segment 0
		.amdhsa_system_sgpr_workgroup_id_x 1
		.amdhsa_system_sgpr_workgroup_id_y 0
		.amdhsa_system_sgpr_workgroup_id_z 0
		.amdhsa_system_sgpr_workgroup_info 0
		.amdhsa_system_vgpr_workitem_id 0
		.amdhsa_next_free_vgpr 54
		.amdhsa_next_free_sgpr 47
		.amdhsa_accum_offset 56
		.amdhsa_reserve_vcc 1
		.amdhsa_float_round_mode_32 0
		.amdhsa_float_round_mode_16_64 0
		.amdhsa_float_denorm_mode_32 3
		.amdhsa_float_denorm_mode_16_64 3
		.amdhsa_dx10_clamp 1
		.amdhsa_ieee_mode 1
		.amdhsa_fp16_overflow 0
		.amdhsa_tg_split 0
		.amdhsa_exception_fp_ieee_invalid_op 0
		.amdhsa_exception_fp_denorm_src 0
		.amdhsa_exception_fp_ieee_div_zero 0
		.amdhsa_exception_fp_ieee_overflow 0
		.amdhsa_exception_fp_ieee_underflow 0
		.amdhsa_exception_fp_ieee_inexact 0
		.amdhsa_exception_int_div_zero 0
	.end_amdhsa_kernel
	.section	.text._ZN5aiter30swiglu_act_and_mul_bias_kernelIfDF16_ifLi8EEEvPT0_PKT_PKT1_PKT2_il,"axG",@progbits,_ZN5aiter30swiglu_act_and_mul_bias_kernelIfDF16_ifLi8EEEvPT0_PKT_PKT1_PKT2_il,comdat
.Lfunc_end304:
	.size	_ZN5aiter30swiglu_act_and_mul_bias_kernelIfDF16_ifLi8EEEvPT0_PKT_PKT1_PKT2_il, .Lfunc_end304-_ZN5aiter30swiglu_act_and_mul_bias_kernelIfDF16_ifLi8EEEvPT0_PKT_PKT1_PKT2_il
                                        ; -- End function
	.section	.AMDGPU.csdata,"",@progbits
; Kernel info:
; codeLenInByte = 1832
; NumSgprs: 53
; NumVgprs: 54
; NumAgprs: 0
; TotalNumVgprs: 54
; ScratchSize: 0
; MemoryBound: 0
; FloatMode: 240
; IeeeMode: 1
; LDSByteSize: 0 bytes/workgroup (compile time only)
; SGPRBlocks: 6
; VGPRBlocks: 6
; NumSGPRsForWavesPerEU: 53
; NumVGPRsForWavesPerEU: 54
; AccumOffset: 56
; Occupancy: 8
; WaveLimiterHint : 0
; COMPUTE_PGM_RSRC2:SCRATCH_EN: 0
; COMPUTE_PGM_RSRC2:USER_SGPR: 2
; COMPUTE_PGM_RSRC2:TRAP_HANDLER: 0
; COMPUTE_PGM_RSRC2:TGID_X_EN: 1
; COMPUTE_PGM_RSRC2:TGID_Y_EN: 0
; COMPUTE_PGM_RSRC2:TGID_Z_EN: 0
; COMPUTE_PGM_RSRC2:TIDIG_COMP_CNT: 0
; COMPUTE_PGM_RSRC3_GFX90A:ACCUM_OFFSET: 13
; COMPUTE_PGM_RSRC3_GFX90A:TG_SPLIT: 0
	.section	.text._ZN5aiter30swiglu_act_and_mul_bias_kernelIfDF16_ifLi4EEEvPT0_PKT_PKT1_PKT2_il,"axG",@progbits,_ZN5aiter30swiglu_act_and_mul_bias_kernelIfDF16_ifLi4EEEvPT0_PKT_PKT1_PKT2_il,comdat
	.protected	_ZN5aiter30swiglu_act_and_mul_bias_kernelIfDF16_ifLi4EEEvPT0_PKT_PKT1_PKT2_il ; -- Begin function _ZN5aiter30swiglu_act_and_mul_bias_kernelIfDF16_ifLi4EEEvPT0_PKT_PKT1_PKT2_il
	.globl	_ZN5aiter30swiglu_act_and_mul_bias_kernelIfDF16_ifLi4EEEvPT0_PKT_PKT1_PKT2_il
	.p2align	8
	.type	_ZN5aiter30swiglu_act_and_mul_bias_kernelIfDF16_ifLi4EEEvPT0_PKT_PKT1_PKT2_il,@function
_ZN5aiter30swiglu_act_and_mul_bias_kernelIfDF16_ifLi4EEEvPT0_PKT_PKT1_PKT2_il: ; @_ZN5aiter30swiglu_act_and_mul_bias_kernelIfDF16_ifLi4EEEvPT0_PKT_PKT1_PKT2_il
; %bb.0:
	s_load_dwordx2 s[4:5], s[0:1], 0x10
	s_load_dword s28, s[0:1], 0x20
	s_load_dwordx2 s[12:13], s[0:1], 0x28
	s_mov_b32 s3, 0
	s_lshl_b64 s[6:7], s[2:3], 2
	s_waitcnt lgkmcnt(0)
	s_add_u32 s6, s4, s6
	s_addc_u32 s7, s5, s7
	s_load_dword s4, s[6:7], 0x0
	s_load_dwordx2 s[8:9], s[0:1], 0x0
	s_ashr_i32 s29, s28, 31
	s_mul_hi_u32 s3, s28, s2
	s_mul_i32 s10, s29, s2
	s_add_i32 s11, s3, s10
	s_mul_i32 s10, s28, s2
	s_waitcnt lgkmcnt(0)
	s_ashr_i32 s5, s4, 31
	s_lshl_b64 s[10:11], s[10:11], 1
	s_add_u32 s8, s8, s10
	s_addc_u32 s3, s9, s11
	s_add_i32 s9, s28, 1
	s_lshr_b32 s10, s9, 31
	v_mov_b64_e32 v[2:3], s[12:13]
	v_cmp_gt_i64_e64 s[14:15], s[4:5], -1
	s_add_i32 s9, s9, s10
	v_cmp_lt_i64_e32 vcc, s[4:5], v[2:3]
	s_lshl_b32 s9, s9, 1
	s_and_b64 s[12:13], s[14:15], vcc
	s_mov_b64 s[6:7], -1
	s_and_b32 s10, s9, -4
	s_and_b32 s9, s3, 0xffff
	s_and_b64 vcc, exec, s[12:13]
	v_lshlrev_b32_e32 v12, 2, v0
	s_cbranch_vccnz .LBB305_5
; %bb.1:
	v_cmp_gt_i32_e32 vcc, s28, v12
	s_and_saveexec_b64 s[6:7], vcc
	s_cbranch_execz .LBB305_4
; %bb.2:
	s_load_dword s3, s[0:1], 0x3c
	v_mov_b32_e32 v13, 0
	s_mov_b32 s13, 0
	v_lshlrev_b32_e32 v1, 3, v0
	s_mov_b64 s[14:15], 0
	s_waitcnt lgkmcnt(0)
	s_and_b32 s3, s3, 0xffff
	s_lshl_b32 s12, s3, 2
	s_lshl_b32 s3, s3, 3
	s_mov_b32 s11, 0x20000
	v_mov_b32_e32 v2, v13
	v_mov_b32_e32 v3, v13
	v_mov_b64_e32 v[4:5], v[12:13]
.LBB305_3:                              ; =>This Inner Loop Header: Depth=1
	v_lshl_add_u64 v[4:5], s[12:13], 0, v[4:5]
	v_cmp_le_i64_e32 vcc, s[28:29], v[4:5]
	buffer_store_dwordx2 v[2:3], v1, s[8:11], 0 offen
	s_or_b64 s[14:15], vcc, s[14:15]
	v_add_u32_e32 v1, s3, v1
	s_andn2_b64 exec, exec, s[14:15]
	s_cbranch_execnz .LBB305_3
.LBB305_4:
	s_or_b64 exec, exec, s[6:7]
	s_mov_b64 s[6:7], 0
.LBB305_5:
	s_andn2_b64 vcc, exec, s[6:7]
	s_cbranch_vccnz .LBB305_9
; %bb.6:
	v_cmp_gt_i32_e32 vcc, s28, v12
	s_and_saveexec_b64 s[6:7], vcc
	s_cbranch_execz .LBB305_9
; %bb.7:
	s_load_dwordx2 s[6:7], s[0:1], 0x8
	s_load_dwordx2 s[12:13], s[0:1], 0x18
	s_mul_hi_i32 s5, s28, s4
	s_mul_i32 s4, s28, s4
	s_lshl_b32 s14, s28, 2
	s_lshl_b64 s[4:5], s[4:5], 3
	s_waitcnt lgkmcnt(0)
	s_add_u32 s12, s12, s4
	s_load_dword s18, s[0:1], 0x3c
	s_addc_u32 s3, s13, s5
	s_lshl_b64 s[0:1], s[28:29], 2
	s_add_u32 s16, s12, s0
	s_addc_u32 s4, s3, s1
	s_and_b32 s13, s3, 0xffff
	s_and_b32 s17, s4, 0xffff
	s_mul_i32 s3, s2, s29
	s_mul_hi_u32 s4, s2, s28
	s_add_i32 s3, s4, s3
	s_mul_i32 s2, s2, s28
	s_lshl_b64 s[2:3], s[2:3], 3
	s_add_u32 s20, s6, s2
	s_addc_u32 s2, s7, s3
	s_add_u32 s24, s20, s0
	s_addc_u32 s0, s2, s1
	s_mov_b32 s11, 0x20000
	s_and_b32 s25, s0, 0xffff
	s_waitcnt lgkmcnt(0)
	s_and_b32 s0, s18, 0xffff
	s_mov_b32 s15, s11
	s_and_b32 s21, s2, 0xffff
	s_mov_b32 s31, 0
	v_mov_b32_e32 v13, 0
	s_lshl_b32 s30, s0, 2
	v_lshlrev_b32_e32 v14, 3, v0
	s_lshl_b32 s33, s0, 3
	v_lshlrev_b32_e32 v15, 4, v0
	s_lshl_b32 s36, s0, 4
	s_mov_b64 s[34:35], 0
	s_mov_b32 s22, s14
	s_mov_b32 s23, s11
	;; [unrolled: 1-line block ×5, first 2 shown]
	v_mov_b32_e32 v16, 0x7f800000
	s_mov_b32 s40, 0xc0e00000
	v_mov_b32_e32 v17, 0x40e00000
	s_mov_b32 s26, s14
	s_mov_b32 s27, s11
.LBB305_8:                              ; =>This Inner Loop Header: Depth=1
	buffer_load_dwordx4 v[4:7], v15, s[20:23], 0 offen
	buffer_load_dwordx4 v[0:3], v15, s[24:27], 0 offen
	;; [unrolled: 1-line block ×3, first 2 shown]
	s_mov_b32 s18, s14
	s_mov_b32 s19, s15
	buffer_load_dwordx4 v[18:21], v15, s[16:19], 0 offen
	v_lshl_add_u64 v[12:13], s[30:31], 0, v[12:13]
	v_cmp_le_i64_e32 vcc, s[28:29], v[12:13]
	v_add_u32_e32 v15, s36, v15
	s_or_b64 s[34:35], vcc, s[34:35]
	s_waitcnt vmcnt(1)
	v_pk_add_f32 v[6:7], v[6:7], v[10:11]
	v_pk_add_f32 v[4:5], v[4:5], v[8:9]
	v_min_f32_e32 v7, 0x40e00000, v7
	v_min_f32_e32 v5, 0x40e00000, v5
	;; [unrolled: 1-line block ×4, first 2 shown]
	v_mul_f32_e32 v8, 0xbfd9db23, v4
	v_mul_f32_e32 v9, 0xbfd9db23, v5
	;; [unrolled: 1-line block ×4, first 2 shown]
	s_waitcnt vmcnt(0)
	v_pk_add_f32 v[2:3], v[2:3], v[20:21]
	v_pk_add_f32 v[0:1], v[0:1], v[18:19]
	v_mul_f32_e32 v18, 0x3fb8aa3b, v8
	v_mul_f32_e32 v19, 0x3fb8aa3b, v9
	;; [unrolled: 1-line block ×4, first 2 shown]
	v_fma_f32 v22, v8, s37, -v18
	v_rndne_f32_e32 v23, v18
	v_fma_f32 v24, v9, s37, -v19
	v_rndne_f32_e32 v25, v19
	;; [unrolled: 2-line block ×4, first 2 shown]
	v_fmac_f32_e32 v22, 0x32a5705f, v8
	v_sub_f32_e32 v18, v18, v23
	v_fmac_f32_e32 v24, 0x32a5705f, v9
	v_sub_f32_e32 v19, v19, v25
	;; [unrolled: 2-line block ×4, first 2 shown]
	v_add_f32_e32 v18, v18, v22
	v_add_f32_e32 v19, v19, v24
	;; [unrolled: 1-line block ×4, first 2 shown]
	v_cvt_i32_f32_e32 v23, v23
	v_cvt_i32_f32_e32 v25, v25
	;; [unrolled: 1-line block ×4, first 2 shown]
	v_exp_f32_e32 v18, v18
	v_exp_f32_e32 v19, v19
	;; [unrolled: 1-line block ×4, first 2 shown]
	v_ldexp_f32 v18, v18, v23
	v_ldexp_f32 v19, v19, v25
	v_cmp_ngt_f32_e64 s[0:1], s38, v9
	v_ldexp_f32 v20, v20, v27
	v_cmp_ngt_f32_e64 s[2:3], s38, v10
	;; [unrolled: 2-line block ×3, first 2 shown]
	v_cmp_ngt_f32_e64 s[6:7], s38, v8
	v_cndmask_b32_e64 v19, 0, v19, s[0:1]
	v_cmp_nlt_f32_e64 s[0:1], s39, v9
	v_cndmask_b32_e64 v18, 0, v18, s[6:7]
	v_cndmask_b32_e64 v9, 0, v20, s[2:3]
	v_cmp_nlt_f32_e64 s[2:3], s39, v10
	v_cndmask_b32_e64 v10, 0, v21, s[4:5]
	v_cmp_nlt_f32_e64 s[4:5], s39, v11
	v_cmp_nlt_f32_e64 s[6:7], s39, v8
	v_cndmask_b32_e64 v11, v16, v19, s[0:1]
	v_cndmask_b32_e64 v9, v16, v9, s[2:3]
	;; [unrolled: 1-line block ×4, first 2 shown]
	v_add_f32_e32 v8, 1.0, v8
	v_add_f32_e32 v11, 1.0, v11
	;; [unrolled: 1-line block ×4, first 2 shown]
	v_rcp_f32_e32 v8, v8
	v_rcp_f32_e32 v9, v11
	;; [unrolled: 1-line block ×4, first 2 shown]
	v_med3_f32 v1, v1, s40, v17
	v_med3_f32 v0, v0, s40, v17
	;; [unrolled: 1-line block ×4, first 2 shown]
	v_pk_add_f32 v[0:1], v[0:1], 1.0 op_sel_hi:[1,0]
	v_pk_add_f32 v[2:3], v[2:3], 1.0 op_sel_hi:[1,0]
	v_pk_mul_f32 v[4:5], v[4:5], v[8:9]
	v_pk_mul_f32 v[6:7], v[6:7], v[10:11]
	;; [unrolled: 1-line block ×4, first 2 shown]
	v_cvt_f16_f32_e32 v4, v1
	v_cvt_f16_f32_e32 v1, v3
	;; [unrolled: 1-line block ×4, first 2 shown]
	v_pack_b32_f16 v1, v2, v1
	v_pack_b32_f16 v0, v0, v4
	buffer_store_dwordx2 v[0:1], v14, s[8:11], 0 offen
	v_add_u32_e32 v14, s33, v14
	s_andn2_b64 exec, exec, s[34:35]
	s_cbranch_execnz .LBB305_8
.LBB305_9:
	s_endpgm
	.section	.rodata,"a",@progbits
	.p2align	6, 0x0
	.amdhsa_kernel _ZN5aiter30swiglu_act_and_mul_bias_kernelIfDF16_ifLi4EEEvPT0_PKT_PKT1_PKT2_il
		.amdhsa_group_segment_fixed_size 0
		.amdhsa_private_segment_fixed_size 0
		.amdhsa_kernarg_size 304
		.amdhsa_user_sgpr_count 2
		.amdhsa_user_sgpr_dispatch_ptr 0
		.amdhsa_user_sgpr_queue_ptr 0
		.amdhsa_user_sgpr_kernarg_segment_ptr 1
		.amdhsa_user_sgpr_dispatch_id 0
		.amdhsa_user_sgpr_kernarg_preload_length 0
		.amdhsa_user_sgpr_kernarg_preload_offset 0
		.amdhsa_user_sgpr_private_segment_size 0
		.amdhsa_uses_dynamic_stack 0
		.amdhsa_enable_private_segment 0
		.amdhsa_system_sgpr_workgroup_id_x 1
		.amdhsa_system_sgpr_workgroup_id_y 0
		.amdhsa_system_sgpr_workgroup_id_z 0
		.amdhsa_system_sgpr_workgroup_info 0
		.amdhsa_system_vgpr_workitem_id 0
		.amdhsa_next_free_vgpr 30
		.amdhsa_next_free_sgpr 41
		.amdhsa_accum_offset 32
		.amdhsa_reserve_vcc 1
		.amdhsa_float_round_mode_32 0
		.amdhsa_float_round_mode_16_64 0
		.amdhsa_float_denorm_mode_32 3
		.amdhsa_float_denorm_mode_16_64 3
		.amdhsa_dx10_clamp 1
		.amdhsa_ieee_mode 1
		.amdhsa_fp16_overflow 0
		.amdhsa_tg_split 0
		.amdhsa_exception_fp_ieee_invalid_op 0
		.amdhsa_exception_fp_denorm_src 0
		.amdhsa_exception_fp_ieee_div_zero 0
		.amdhsa_exception_fp_ieee_overflow 0
		.amdhsa_exception_fp_ieee_underflow 0
		.amdhsa_exception_fp_ieee_inexact 0
		.amdhsa_exception_int_div_zero 0
	.end_amdhsa_kernel
	.section	.text._ZN5aiter30swiglu_act_and_mul_bias_kernelIfDF16_ifLi4EEEvPT0_PKT_PKT1_PKT2_il,"axG",@progbits,_ZN5aiter30swiglu_act_and_mul_bias_kernelIfDF16_ifLi4EEEvPT0_PKT_PKT1_PKT2_il,comdat
.Lfunc_end305:
	.size	_ZN5aiter30swiglu_act_and_mul_bias_kernelIfDF16_ifLi4EEEvPT0_PKT_PKT1_PKT2_il, .Lfunc_end305-_ZN5aiter30swiglu_act_and_mul_bias_kernelIfDF16_ifLi4EEEvPT0_PKT_PKT1_PKT2_il
                                        ; -- End function
	.section	.AMDGPU.csdata,"",@progbits
; Kernel info:
; codeLenInByte = 1224
; NumSgprs: 47
; NumVgprs: 30
; NumAgprs: 0
; TotalNumVgprs: 30
; ScratchSize: 0
; MemoryBound: 0
; FloatMode: 240
; IeeeMode: 1
; LDSByteSize: 0 bytes/workgroup (compile time only)
; SGPRBlocks: 5
; VGPRBlocks: 3
; NumSGPRsForWavesPerEU: 47
; NumVGPRsForWavesPerEU: 30
; AccumOffset: 32
; Occupancy: 8
; WaveLimiterHint : 0
; COMPUTE_PGM_RSRC2:SCRATCH_EN: 0
; COMPUTE_PGM_RSRC2:USER_SGPR: 2
; COMPUTE_PGM_RSRC2:TRAP_HANDLER: 0
; COMPUTE_PGM_RSRC2:TGID_X_EN: 1
; COMPUTE_PGM_RSRC2:TGID_Y_EN: 0
; COMPUTE_PGM_RSRC2:TGID_Z_EN: 0
; COMPUTE_PGM_RSRC2:TIDIG_COMP_CNT: 0
; COMPUTE_PGM_RSRC3_GFX90A:ACCUM_OFFSET: 7
; COMPUTE_PGM_RSRC3_GFX90A:TG_SPLIT: 0
	.section	.text._ZN5aiter30swiglu_act_and_mul_bias_kernelIfDF16_ifLi2EEEvPT0_PKT_PKT1_PKT2_il,"axG",@progbits,_ZN5aiter30swiglu_act_and_mul_bias_kernelIfDF16_ifLi2EEEvPT0_PKT_PKT1_PKT2_il,comdat
	.protected	_ZN5aiter30swiglu_act_and_mul_bias_kernelIfDF16_ifLi2EEEvPT0_PKT_PKT1_PKT2_il ; -- Begin function _ZN5aiter30swiglu_act_and_mul_bias_kernelIfDF16_ifLi2EEEvPT0_PKT_PKT1_PKT2_il
	.globl	_ZN5aiter30swiglu_act_and_mul_bias_kernelIfDF16_ifLi2EEEvPT0_PKT_PKT1_PKT2_il
	.p2align	8
	.type	_ZN5aiter30swiglu_act_and_mul_bias_kernelIfDF16_ifLi2EEEvPT0_PKT_PKT1_PKT2_il,@function
_ZN5aiter30swiglu_act_and_mul_bias_kernelIfDF16_ifLi2EEEvPT0_PKT_PKT1_PKT2_il: ; @_ZN5aiter30swiglu_act_and_mul_bias_kernelIfDF16_ifLi2EEEvPT0_PKT_PKT1_PKT2_il
; %bb.0:
	s_load_dwordx2 s[4:5], s[0:1], 0x10
	s_load_dword s24, s[0:1], 0x20
	s_load_dwordx2 s[12:13], s[0:1], 0x28
	s_mov_b32 s3, 0
	s_lshl_b64 s[6:7], s[2:3], 2
	s_waitcnt lgkmcnt(0)
	s_add_u32 s4, s4, s6
	s_addc_u32 s5, s5, s7
	s_load_dword s8, s[4:5], 0x0
	s_load_dwordx2 s[6:7], s[0:1], 0x0
	s_ashr_i32 s25, s24, 31
	s_mul_hi_u32 s3, s24, s2
	s_mul_i32 s4, s25, s2
	s_add_i32 s5, s3, s4
	s_mul_i32 s4, s24, s2
	s_waitcnt lgkmcnt(0)
	s_ashr_i32 s9, s8, 31
	s_lshl_b64 s[4:5], s[4:5], 1
	s_add_u32 s4, s6, s4
	s_addc_u32 s3, s7, s5
	s_add_i32 s5, s24, 1
	s_lshr_b32 s6, s5, 31
	v_mov_b64_e32 v[2:3], s[12:13]
	v_cmp_gt_i64_e64 s[14:15], s[8:9], -1
	s_add_i32 s5, s5, s6
	v_cmp_lt_i64_e32 vcc, s[8:9], v[2:3]
	s_lshl_b32 s5, s5, 1
	s_and_b64 s[12:13], s[14:15], vcc
	s_mov_b64 s[10:11], -1
	s_and_b32 s6, s5, -4
	s_and_b32 s5, s3, 0xffff
	s_and_b64 vcc, exec, s[12:13]
	v_lshlrev_b32_e32 v2, 1, v0
	s_cbranch_vccnz .LBB306_5
; %bb.1:
	v_cmp_gt_i32_e32 vcc, s24, v2
	s_and_saveexec_b64 s[10:11], vcc
	s_cbranch_execz .LBB306_4
; %bb.2:
	s_load_dword s3, s[0:1], 0x3c
	v_mov_b32_e32 v3, 0
	s_mov_b32 s13, 0
	v_lshlrev_b32_e32 v1, 2, v0
	s_mov_b64 s[14:15], 0
	s_waitcnt lgkmcnt(0)
	s_and_b32 s3, s3, 0xffff
	s_lshl_b32 s12, s3, 1
	s_lshl_b32 s3, s3, 2
	s_mov_b32 s7, 0x20000
	v_mov_b64_e32 v[4:5], v[2:3]
.LBB306_3:                              ; =>This Inner Loop Header: Depth=1
	v_lshl_add_u64 v[4:5], s[12:13], 0, v[4:5]
	v_cmp_le_i64_e32 vcc, s[24:25], v[4:5]
	buffer_store_dword v3, v1, s[4:7], 0 offen
	s_or_b64 s[14:15], vcc, s[14:15]
	v_add_u32_e32 v1, s3, v1
	s_andn2_b64 exec, exec, s[14:15]
	s_cbranch_execnz .LBB306_3
.LBB306_4:
	s_or_b64 exec, exec, s[10:11]
	s_mov_b64 s[10:11], 0
.LBB306_5:
	s_andn2_b64 vcc, exec, s[10:11]
	s_cbranch_vccnz .LBB306_9
; %bb.6:
	v_cmp_gt_i32_e32 vcc, s24, v2
	s_and_saveexec_b64 s[10:11], vcc
	s_cbranch_execz .LBB306_9
; %bb.7:
	s_load_dwordx2 s[14:15], s[0:1], 0x8
	s_load_dwordx2 s[12:13], s[0:1], 0x18
	s_mul_hi_i32 s9, s24, s8
	s_mul_i32 s8, s24, s8
	s_lshl_b32 s10, s24, 2
	s_lshl_b64 s[8:9], s[8:9], 3
	s_waitcnt lgkmcnt(0)
	s_add_u32 s8, s12, s8
	s_load_dword s18, s[0:1], 0x3c
	s_addc_u32 s3, s13, s9
	s_lshl_b64 s[0:1], s[24:25], 2
	s_add_u32 s12, s8, s0
	s_addc_u32 s13, s3, s1
	s_and_b32 s9, s3, 0xffff
	s_mul_i32 s3, s2, s25
	s_mul_hi_u32 s16, s2, s24
	s_add_i32 s3, s16, s3
	s_mul_i32 s2, s2, s24
	s_and_b32 s13, s13, 0xffff
	s_lshl_b64 s[2:3], s[2:3], 3
	s_add_u32 s16, s14, s2
	s_addc_u32 s2, s15, s3
	s_add_u32 s20, s16, s0
	s_addc_u32 s0, s2, s1
	s_mov_b32 s7, 0x20000
	s_and_b32 s21, s0, 0xffff
	s_waitcnt lgkmcnt(0)
	s_and_b32 s0, s18, 0xffff
	s_mov_b32 s11, s7
	s_and_b32 s17, s2, 0xffff
	s_mov_b32 s3, 0
	v_mov_b32_e32 v3, 0
	s_lshl_b32 s2, s0, 1
	v_lshlrev_b32_e32 v1, 2, v0
	s_lshl_b32 s28, s0, 2
	v_lshlrev_b32_e32 v0, 3, v0
	s_lshl_b32 s29, s0, 3
	s_mov_b64 s[26:27], 0
	s_mov_b32 s18, s10
	s_mov_b32 s19, s7
	;; [unrolled: 1-line block ×5, first 2 shown]
	v_mov_b32_e32 v4, 0x7f800000
	s_mov_b32 s34, 0xc0e00000
	v_mov_b32_e32 v5, 0x40e00000
	s_mov_b32 s22, s10
	s_mov_b32 s23, s7
.LBB306_8:                              ; =>This Inner Loop Header: Depth=1
	buffer_load_dwordx2 v[6:7], v0, s[16:19], 0 offen
	buffer_load_dwordx2 v[8:9], v0, s[20:23], 0 offen
	;; [unrolled: 1-line block ×3, first 2 shown]
	s_mov_b32 s14, s10
	s_mov_b32 s15, s11
	buffer_load_dwordx2 v[12:13], v0, s[12:15], 0 offen
	v_lshl_add_u64 v[2:3], s[2:3], 0, v[2:3]
	v_add_u32_e32 v0, s29, v0
	s_waitcnt vmcnt(1)
	v_pk_add_f32 v[6:7], v[6:7], v[10:11]
	s_nop 0
	v_min_f32_e32 v7, 0x40e00000, v7
	v_min_f32_e32 v6, 0x40e00000, v6
	v_mul_f32_e32 v10, 0xbfd9db23, v6
	v_mul_f32_e32 v11, 0xbfd9db23, v7
	s_waitcnt vmcnt(0)
	v_pk_add_f32 v[8:9], v[8:9], v[12:13]
	v_mul_f32_e32 v12, 0x3fb8aa3b, v10
	v_mul_f32_e32 v13, 0x3fb8aa3b, v11
	v_fma_f32 v14, v10, s30, -v12
	v_rndne_f32_e32 v15, v12
	v_fma_f32 v16, v11, s30, -v13
	v_rndne_f32_e32 v17, v13
	v_fmac_f32_e32 v14, 0x32a5705f, v10
	v_sub_f32_e32 v12, v12, v15
	v_fmac_f32_e32 v16, 0x32a5705f, v11
	v_sub_f32_e32 v13, v13, v17
	v_add_f32_e32 v12, v12, v14
	v_add_f32_e32 v13, v13, v16
	v_cvt_i32_f32_e32 v15, v15
	v_cvt_i32_f32_e32 v17, v17
	v_exp_f32_e32 v12, v12
	v_exp_f32_e32 v13, v13
	v_cmp_ngt_f32_e32 vcc, s31, v11
	v_cmp_ngt_f32_e64 s[0:1], s31, v10
	v_ldexp_f32 v12, v12, v15
	v_ldexp_f32 v13, v13, v17
	v_cndmask_b32_e64 v12, 0, v12, s[0:1]
	v_cndmask_b32_e32 v13, 0, v13, vcc
	v_cmp_nlt_f32_e32 vcc, s33, v11
	v_cmp_nlt_f32_e64 s[0:1], s33, v10
	v_med3_f32 v9, v9, s34, v5
	v_cndmask_b32_e32 v11, v4, v13, vcc
	v_cndmask_b32_e64 v10, v4, v12, s[0:1]
	v_add_f32_e32 v10, 1.0, v10
	v_add_f32_e32 v11, 1.0, v11
	v_rcp_f32_e32 v10, v10
	v_rcp_f32_e32 v11, v11
	v_med3_f32 v8, v8, s34, v5
	v_pk_add_f32 v[8:9], v[8:9], 1.0 op_sel_hi:[1,0]
	v_cmp_le_i64_e32 vcc, s[24:25], v[2:3]
	v_pk_mul_f32 v[6:7], v[6:7], v[10:11]
	s_or_b64 s[26:27], vcc, s[26:27]
	v_pk_mul_f32 v[6:7], v[8:9], v[6:7]
	s_nop 0
	v_cvt_f16_f32_e32 v7, v7
	v_cvt_f16_f32_e32 v6, v6
	v_pack_b32_f16 v6, v6, v7
	buffer_store_dword v6, v1, s[4:7], 0 offen
	v_add_u32_e32 v1, s28, v1
	s_andn2_b64 exec, exec, s[26:27]
	s_cbranch_execnz .LBB306_8
.LBB306_9:
	s_endpgm
	.section	.rodata,"a",@progbits
	.p2align	6, 0x0
	.amdhsa_kernel _ZN5aiter30swiglu_act_and_mul_bias_kernelIfDF16_ifLi2EEEvPT0_PKT_PKT1_PKT2_il
		.amdhsa_group_segment_fixed_size 0
		.amdhsa_private_segment_fixed_size 0
		.amdhsa_kernarg_size 304
		.amdhsa_user_sgpr_count 2
		.amdhsa_user_sgpr_dispatch_ptr 0
		.amdhsa_user_sgpr_queue_ptr 0
		.amdhsa_user_sgpr_kernarg_segment_ptr 1
		.amdhsa_user_sgpr_dispatch_id 0
		.amdhsa_user_sgpr_kernarg_preload_length 0
		.amdhsa_user_sgpr_kernarg_preload_offset 0
		.amdhsa_user_sgpr_private_segment_size 0
		.amdhsa_uses_dynamic_stack 0
		.amdhsa_enable_private_segment 0
		.amdhsa_system_sgpr_workgroup_id_x 1
		.amdhsa_system_sgpr_workgroup_id_y 0
		.amdhsa_system_sgpr_workgroup_id_z 0
		.amdhsa_system_sgpr_workgroup_info 0
		.amdhsa_system_vgpr_workitem_id 0
		.amdhsa_next_free_vgpr 18
		.amdhsa_next_free_sgpr 35
		.amdhsa_accum_offset 20
		.amdhsa_reserve_vcc 1
		.amdhsa_float_round_mode_32 0
		.amdhsa_float_round_mode_16_64 0
		.amdhsa_float_denorm_mode_32 3
		.amdhsa_float_denorm_mode_16_64 3
		.amdhsa_dx10_clamp 1
		.amdhsa_ieee_mode 1
		.amdhsa_fp16_overflow 0
		.amdhsa_tg_split 0
		.amdhsa_exception_fp_ieee_invalid_op 0
		.amdhsa_exception_fp_denorm_src 0
		.amdhsa_exception_fp_ieee_div_zero 0
		.amdhsa_exception_fp_ieee_overflow 0
		.amdhsa_exception_fp_ieee_underflow 0
		.amdhsa_exception_fp_ieee_inexact 0
		.amdhsa_exception_int_div_zero 0
	.end_amdhsa_kernel
	.section	.text._ZN5aiter30swiglu_act_and_mul_bias_kernelIfDF16_ifLi2EEEvPT0_PKT_PKT1_PKT2_il,"axG",@progbits,_ZN5aiter30swiglu_act_and_mul_bias_kernelIfDF16_ifLi2EEEvPT0_PKT_PKT1_PKT2_il,comdat
.Lfunc_end306:
	.size	_ZN5aiter30swiglu_act_and_mul_bias_kernelIfDF16_ifLi2EEEvPT0_PKT_PKT1_PKT2_il, .Lfunc_end306-_ZN5aiter30swiglu_act_and_mul_bias_kernelIfDF16_ifLi2EEEvPT0_PKT_PKT1_PKT2_il
                                        ; -- End function
	.section	.AMDGPU.csdata,"",@progbits
; Kernel info:
; codeLenInByte = 920
; NumSgprs: 41
; NumVgprs: 18
; NumAgprs: 0
; TotalNumVgprs: 18
; ScratchSize: 0
; MemoryBound: 0
; FloatMode: 240
; IeeeMode: 1
; LDSByteSize: 0 bytes/workgroup (compile time only)
; SGPRBlocks: 5
; VGPRBlocks: 2
; NumSGPRsForWavesPerEU: 41
; NumVGPRsForWavesPerEU: 18
; AccumOffset: 20
; Occupancy: 8
; WaveLimiterHint : 0
; COMPUTE_PGM_RSRC2:SCRATCH_EN: 0
; COMPUTE_PGM_RSRC2:USER_SGPR: 2
; COMPUTE_PGM_RSRC2:TRAP_HANDLER: 0
; COMPUTE_PGM_RSRC2:TGID_X_EN: 1
; COMPUTE_PGM_RSRC2:TGID_Y_EN: 0
; COMPUTE_PGM_RSRC2:TGID_Z_EN: 0
; COMPUTE_PGM_RSRC2:TIDIG_COMP_CNT: 0
; COMPUTE_PGM_RSRC3_GFX90A:ACCUM_OFFSET: 4
; COMPUTE_PGM_RSRC3_GFX90A:TG_SPLIT: 0
	.section	.text._ZN5aiter30swiglu_act_and_mul_bias_kernelIfDF16_ifLi1EEEvPT0_PKT_PKT1_PKT2_il,"axG",@progbits,_ZN5aiter30swiglu_act_and_mul_bias_kernelIfDF16_ifLi1EEEvPT0_PKT_PKT1_PKT2_il,comdat
	.protected	_ZN5aiter30swiglu_act_and_mul_bias_kernelIfDF16_ifLi1EEEvPT0_PKT_PKT1_PKT2_il ; -- Begin function _ZN5aiter30swiglu_act_and_mul_bias_kernelIfDF16_ifLi1EEEvPT0_PKT_PKT1_PKT2_il
	.globl	_ZN5aiter30swiglu_act_and_mul_bias_kernelIfDF16_ifLi1EEEvPT0_PKT_PKT1_PKT2_il
	.p2align	8
	.type	_ZN5aiter30swiglu_act_and_mul_bias_kernelIfDF16_ifLi1EEEvPT0_PKT_PKT1_PKT2_il,@function
_ZN5aiter30swiglu_act_and_mul_bias_kernelIfDF16_ifLi1EEEvPT0_PKT_PKT1_PKT2_il: ; @_ZN5aiter30swiglu_act_and_mul_bias_kernelIfDF16_ifLi1EEEvPT0_PKT_PKT1_PKT2_il
; %bb.0:
	s_load_dwordx2 s[4:5], s[0:1], 0x10
	s_load_dword s20, s[0:1], 0x20
	s_load_dwordx2 s[14:15], s[0:1], 0x28
	s_mov_b32 s3, 0
	s_lshl_b64 s[6:7], s[2:3], 2
	s_waitcnt lgkmcnt(0)
	s_add_u32 s4, s4, s6
	s_addc_u32 s5, s5, s7
	s_load_dword s12, s[4:5], 0x0
	s_load_dwordx2 s[8:9], s[0:1], 0x0
	s_ashr_i32 s21, s20, 31
	s_mul_hi_u32 s3, s20, s2
	s_mul_i32 s10, s21, s2
	s_add_i32 s11, s3, s10
	s_mul_i32 s10, s20, s2
	s_waitcnt lgkmcnt(0)
	s_ashr_i32 s13, s12, 31
	s_lshl_b64 s[10:11], s[10:11], 1
	s_add_u32 s8, s8, s10
	s_addc_u32 s3, s9, s11
	s_add_i32 s9, s20, 1
	s_lshr_b32 s10, s9, 31
	v_mov_b64_e32 v[2:3], s[14:15]
	v_cmp_gt_i64_e64 s[4:5], s[12:13], -1
	s_add_i32 s9, s9, s10
	v_cmp_lt_i64_e32 vcc, s[12:13], v[2:3]
	s_lshl_b32 s9, s9, 1
	s_and_b64 s[4:5], s[4:5], vcc
	s_mov_b64 s[6:7], -1
	s_and_b32 s10, s9, -4
	s_and_b32 s9, s3, 0xffff
	s_and_b64 vcc, exec, s[4:5]
	v_cmp_gt_i32_e64 s[4:5], s20, v0
	s_cbranch_vccnz .LBB307_5
; %bb.1:
	s_and_saveexec_b64 s[6:7], s[4:5]
	s_cbranch_execz .LBB307_4
; %bb.2:
	s_load_dword s3, s[0:1], 0x3c
	v_mov_b32_e32 v1, 0
	s_mov_b32 s5, 0
	v_lshlrev_b32_e32 v4, 1, v0
	s_mov_b64 s[14:15], 0
	s_waitcnt lgkmcnt(0)
	s_and_b32 s4, s3, 0xffff
	s_lshl_b32 s3, s4, 1
	s_mov_b32 s11, 0x20000
	v_mov_b64_e32 v[2:3], v[0:1]
.LBB307_3:                              ; =>This Inner Loop Header: Depth=1
	v_lshl_add_u64 v[2:3], v[2:3], 0, s[4:5]
	v_cmp_le_i64_e32 vcc, s[20:21], v[2:3]
	buffer_store_short v1, v4, s[8:11], 0 offen
	s_or_b64 s[14:15], vcc, s[14:15]
	v_add_u32_e32 v4, s3, v4
	s_andn2_b64 exec, exec, s[14:15]
	s_cbranch_execnz .LBB307_3
.LBB307_4:
	s_or_b64 exec, exec, s[6:7]
	s_mov_b64 s[6:7], 0
.LBB307_5:
	s_andn2_b64 vcc, exec, s[6:7]
	s_cbranch_vccnz .LBB307_9
; %bb.6:
	v_cmp_gt_i32_e32 vcc, s20, v0
	s_and_saveexec_b64 s[4:5], vcc
	s_cbranch_execz .LBB307_9
; %bb.7:
	s_load_dwordx2 s[14:15], s[0:1], 0x8
	s_load_dwordx2 s[4:5], s[0:1], 0x18
	s_mul_hi_i32 s13, s20, s12
	s_mul_i32 s12, s20, s12
	s_lshl_b32 s6, s20, 2
	s_lshl_b64 s[12:13], s[12:13], 3
	s_waitcnt lgkmcnt(0)
	s_add_u32 s4, s4, s12
	s_load_dword s18, s[0:1], 0x3c
	s_addc_u32 s1, s5, s13
	s_lshl_b64 s[16:17], s[20:21], 2
	s_add_u32 s0, s4, s16
	s_addc_u32 s3, s1, s17
	s_and_b32 s5, s1, 0xffff
	s_and_b32 s1, s3, 0xffff
	s_mul_i32 s3, s2, s21
	s_mul_hi_u32 s12, s2, s20
	s_add_i32 s3, s12, s3
	s_mul_i32 s2, s2, s20
	s_lshl_b64 s[2:3], s[2:3], 3
	s_add_u32 s12, s14, s2
	s_addc_u32 s2, s15, s3
	s_add_u32 s16, s12, s16
	s_mov_b32 s11, 0x20000
	s_addc_u32 s3, s2, s17
	s_waitcnt lgkmcnt(0)
	s_and_b32 s22, s18, 0xffff
	s_mov_b32 s7, s11
	s_and_b32 s13, s2, 0xffff
	s_and_b32 s17, s3, 0xffff
	s_mov_b32 s23, 0
	v_mov_b32_e32 v1, 0
	v_lshlrev_b32_e32 v2, 1, v0
	s_lshl_b32 s26, s22, 1
	v_lshlrev_b32_e32 v3, 2, v0
	s_lshl_b32 s27, s22, 2
	s_mov_b64 s[24:25], 0
	s_mov_b32 s14, s6
	s_mov_b32 s15, s11
	;; [unrolled: 1-line block ×5, first 2 shown]
	v_mov_b32_e32 v4, 0x7f800000
	s_mov_b32 s18, s6
	s_mov_b32 s19, s11
.LBB307_8:                              ; =>This Inner Loop Header: Depth=1
	buffer_load_dword v5, v3, s[12:15], 0 offen
	buffer_load_dword v6, v3, s[16:19], 0 offen
	s_mov_b32 s2, s6
	s_mov_b32 s3, s7
	buffer_load_dword v7, v3, s[4:7], 0 offen
	buffer_load_dword v8, v3, s[0:3], 0 offen
	v_lshl_add_u64 v[0:1], v[0:1], 0, s[22:23]
	v_cmp_le_i64_e32 vcc, s[20:21], v[0:1]
	s_or_b64 s[24:25], vcc, s[24:25]
	v_add_u32_e32 v3, s27, v3
	s_waitcnt vmcnt(1)
	v_add_f32_e32 v5, v5, v7
	v_min_f32_e32 v5, 0x40e00000, v5
	v_mul_f32_e32 v7, 0xbfd9db23, v5
	s_waitcnt vmcnt(0)
	v_add_f32_e32 v6, v6, v8
	v_mul_f32_e32 v8, 0x3fb8aa3b, v7
	v_fma_f32 v9, v7, s28, -v8
	v_rndne_f32_e32 v10, v8
	v_fmac_f32_e32 v9, 0x32a5705f, v7
	v_sub_f32_e32 v8, v8, v10
	v_add_f32_e32 v8, v8, v9
	v_cvt_i32_f32_e32 v10, v10
	v_exp_f32_e32 v8, v8
	v_cmp_ngt_f32_e32 vcc, s29, v7
	v_max_f32_e32 v6, 0xc0e00000, v6
	v_min_f32_e32 v6, 0x40e00000, v6
	v_ldexp_f32 v8, v8, v10
	v_cndmask_b32_e32 v8, 0, v8, vcc
	v_cmp_nlt_f32_e32 vcc, s30, v7
	v_add_f32_e32 v6, 1.0, v6
	s_nop 0
	v_cndmask_b32_e32 v7, v4, v8, vcc
	v_add_f32_e32 v7, 1.0, v7
	v_rcp_f32_e32 v7, v7
	s_nop 0
	v_mul_f32_e32 v5, v5, v7
	v_fma_mixlo_f16 v5, v6, v5, 0
	buffer_store_short v5, v2, s[8:11], 0 offen
	v_add_u32_e32 v2, s26, v2
	s_andn2_b64 exec, exec, s[24:25]
	s_cbranch_execnz .LBB307_8
.LBB307_9:
	s_endpgm
	.section	.rodata,"a",@progbits
	.p2align	6, 0x0
	.amdhsa_kernel _ZN5aiter30swiglu_act_and_mul_bias_kernelIfDF16_ifLi1EEEvPT0_PKT_PKT1_PKT2_il
		.amdhsa_group_segment_fixed_size 0
		.amdhsa_private_segment_fixed_size 0
		.amdhsa_kernarg_size 304
		.amdhsa_user_sgpr_count 2
		.amdhsa_user_sgpr_dispatch_ptr 0
		.amdhsa_user_sgpr_queue_ptr 0
		.amdhsa_user_sgpr_kernarg_segment_ptr 1
		.amdhsa_user_sgpr_dispatch_id 0
		.amdhsa_user_sgpr_kernarg_preload_length 0
		.amdhsa_user_sgpr_kernarg_preload_offset 0
		.amdhsa_user_sgpr_private_segment_size 0
		.amdhsa_uses_dynamic_stack 0
		.amdhsa_enable_private_segment 0
		.amdhsa_system_sgpr_workgroup_id_x 1
		.amdhsa_system_sgpr_workgroup_id_y 0
		.amdhsa_system_sgpr_workgroup_id_z 0
		.amdhsa_system_sgpr_workgroup_info 0
		.amdhsa_system_vgpr_workitem_id 0
		.amdhsa_next_free_vgpr 11
		.amdhsa_next_free_sgpr 31
		.amdhsa_accum_offset 12
		.amdhsa_reserve_vcc 1
		.amdhsa_float_round_mode_32 0
		.amdhsa_float_round_mode_16_64 0
		.amdhsa_float_denorm_mode_32 3
		.amdhsa_float_denorm_mode_16_64 3
		.amdhsa_dx10_clamp 1
		.amdhsa_ieee_mode 1
		.amdhsa_fp16_overflow 0
		.amdhsa_tg_split 0
		.amdhsa_exception_fp_ieee_invalid_op 0
		.amdhsa_exception_fp_denorm_src 0
		.amdhsa_exception_fp_ieee_div_zero 0
		.amdhsa_exception_fp_ieee_overflow 0
		.amdhsa_exception_fp_ieee_underflow 0
		.amdhsa_exception_fp_ieee_inexact 0
		.amdhsa_exception_int_div_zero 0
	.end_amdhsa_kernel
	.section	.text._ZN5aiter30swiglu_act_and_mul_bias_kernelIfDF16_ifLi1EEEvPT0_PKT_PKT1_PKT2_il,"axG",@progbits,_ZN5aiter30swiglu_act_and_mul_bias_kernelIfDF16_ifLi1EEEvPT0_PKT_PKT1_PKT2_il,comdat
.Lfunc_end307:
	.size	_ZN5aiter30swiglu_act_and_mul_bias_kernelIfDF16_ifLi1EEEvPT0_PKT_PKT1_PKT2_il, .Lfunc_end307-_ZN5aiter30swiglu_act_and_mul_bias_kernelIfDF16_ifLi1EEEvPT0_PKT_PKT1_PKT2_il
                                        ; -- End function
	.section	.AMDGPU.csdata,"",@progbits
; Kernel info:
; codeLenInByte = 756
; NumSgprs: 37
; NumVgprs: 11
; NumAgprs: 0
; TotalNumVgprs: 11
; ScratchSize: 0
; MemoryBound: 0
; FloatMode: 240
; IeeeMode: 1
; LDSByteSize: 0 bytes/workgroup (compile time only)
; SGPRBlocks: 4
; VGPRBlocks: 1
; NumSGPRsForWavesPerEU: 37
; NumVGPRsForWavesPerEU: 11
; AccumOffset: 12
; Occupancy: 8
; WaveLimiterHint : 0
; COMPUTE_PGM_RSRC2:SCRATCH_EN: 0
; COMPUTE_PGM_RSRC2:USER_SGPR: 2
; COMPUTE_PGM_RSRC2:TRAP_HANDLER: 0
; COMPUTE_PGM_RSRC2:TGID_X_EN: 1
; COMPUTE_PGM_RSRC2:TGID_Y_EN: 0
; COMPUTE_PGM_RSRC2:TGID_Z_EN: 0
; COMPUTE_PGM_RSRC2:TIDIG_COMP_CNT: 0
; COMPUTE_PGM_RSRC3_GFX90A:ACCUM_OFFSET: 2
; COMPUTE_PGM_RSRC3_GFX90A:TG_SPLIT: 0
	.section	.text._ZN5aiter30swiglu_act_and_mul_bias_kernelIffifLi16EEEvPT0_PKT_PKT1_PKT2_il,"axG",@progbits,_ZN5aiter30swiglu_act_and_mul_bias_kernelIffifLi16EEEvPT0_PKT_PKT1_PKT2_il,comdat
	.protected	_ZN5aiter30swiglu_act_and_mul_bias_kernelIffifLi16EEEvPT0_PKT_PKT1_PKT2_il ; -- Begin function _ZN5aiter30swiglu_act_and_mul_bias_kernelIffifLi16EEEvPT0_PKT_PKT1_PKT2_il
	.globl	_ZN5aiter30swiglu_act_and_mul_bias_kernelIffifLi16EEEvPT0_PKT_PKT1_PKT2_il
	.p2align	8
	.type	_ZN5aiter30swiglu_act_and_mul_bias_kernelIffifLi16EEEvPT0_PKT_PKT1_PKT2_il,@function
_ZN5aiter30swiglu_act_and_mul_bias_kernelIffifLi16EEEvPT0_PKT_PKT1_PKT2_il: ; @_ZN5aiter30swiglu_act_and_mul_bias_kernelIffifLi16EEEvPT0_PKT_PKT1_PKT2_il
; %bb.0:
	s_load_dword s24, s[0:1], 0x20
	s_load_dwordx2 s[4:5], s[0:1], 0x10
	s_load_dwordx2 s[12:13], s[0:1], 0x28
	s_mov_b32 s3, 0
	s_lshl_b64 s[6:7], s[2:3], 2
	s_waitcnt lgkmcnt(0)
	s_ashr_i32 s25, s24, 31
	s_add_u32 s4, s4, s6
	s_addc_u32 s5, s5, s7
	s_load_dword s8, s[4:5], 0x0
	s_load_dwordx2 s[14:15], s[0:1], 0x0
	s_mul_hi_u32 s3, s24, s2
	s_mul_i32 s4, s25, s2
	s_add_i32 s5, s3, s4
	s_mul_i32 s4, s24, s2
	s_waitcnt lgkmcnt(0)
	s_ashr_i32 s9, s8, 31
	s_lshl_b32 s6, s24, 2
	s_lshl_b64 s[4:5], s[4:5], 2
	v_mov_b64_e32 v[2:3], s[12:13]
	v_cmp_gt_i64_e64 s[16:17], s[8:9], -1
	s_add_u32 s4, s14, s4
	v_cmp_lt_i64_e32 vcc, s[8:9], v[2:3]
	s_addc_u32 s3, s15, s5
	s_and_b64 s[12:13], s[16:17], vcc
	s_mov_b64 s[10:11], -1
	s_and_b32 s5, s3, 0xffff
	s_and_b64 vcc, exec, s[12:13]
	v_lshlrev_b32_e32 v44, 4, v0
	s_cbranch_vccnz .LBB308_5
; %bb.1:
	v_cmp_gt_i32_e32 vcc, s24, v44
	s_and_saveexec_b64 s[10:11], vcc
	s_cbranch_execz .LBB308_4
; %bb.2:
	s_load_dword s3, s[0:1], 0x3c
	s_mov_b32 s13, 0
	s_mov_b32 s16, s13
	;; [unrolled: 1-line block ×3, first 2 shown]
	v_mov_b32_e32 v45, 0
	s_waitcnt lgkmcnt(0)
	s_and_b32 s3, s3, 0xffff
	s_mov_b32 s18, s13
	s_mov_b32 s19, s13
	v_mov_b64_e32 v[2:3], s[16:17]
	v_lshlrev_b32_e32 v1, 6, v0
	s_lshl_b32 s12, s3, 4
	s_lshl_b32 s3, s3, 6
	s_mov_b64 s[14:15], 0
	s_mov_b32 s7, 0x20000
	v_mov_b64_e32 v[4:5], s[18:19]
	v_mov_b64_e32 v[6:7], v[44:45]
.LBB308_3:                              ; =>This Inner Loop Header: Depth=1
	v_lshl_add_u64 v[6:7], s[12:13], 0, v[6:7]
	v_cmp_le_i64_e32 vcc, s[24:25], v[6:7]
	buffer_store_dwordx4 v[2:5], v1, s[4:7], 0 offen
	buffer_store_dwordx4 v[2:5], v1, s[4:7], 16 offen
	;; [unrolled: 1-line block ×4, first 2 shown]
	s_or_b64 s[14:15], vcc, s[14:15]
	v_add_u32_e32 v1, s3, v1
	s_andn2_b64 exec, exec, s[14:15]
	s_cbranch_execnz .LBB308_3
.LBB308_4:
	s_or_b64 exec, exec, s[10:11]
	s_mov_b64 s[10:11], 0
.LBB308_5:
	s_andn2_b64 vcc, exec, s[10:11]
	s_cbranch_vccnz .LBB308_9
; %bb.6:
	v_cmp_gt_i32_e32 vcc, s24, v44
	s_and_saveexec_b64 s[10:11], vcc
	s_cbranch_execz .LBB308_9
; %bb.7:
	s_load_dwordx2 s[10:11], s[0:1], 0x8
	s_load_dwordx2 s[12:13], s[0:1], 0x18
	s_mul_hi_i32 s9, s24, s8
	s_mul_i32 s8, s24, s8
	s_lshl_b64 s[8:9], s[8:9], 3
	s_load_dword s14, s[0:1], 0x3c
	s_waitcnt lgkmcnt(0)
	s_add_u32 s8, s12, s8
	s_addc_u32 s3, s13, s9
	s_lshl_b64 s[0:1], s[24:25], 2
	s_add_u32 s12, s8, s0
	s_addc_u32 s13, s3, s1
	s_and_b32 s9, s3, 0xffff
	s_mul_i32 s3, s2, s25
	s_mul_hi_u32 s15, s2, s24
	s_add_i32 s3, s15, s3
	s_mul_i32 s2, s2, s24
	s_and_b32 s13, s13, 0xffff
	s_lshl_b64 s[2:3], s[2:3], 3
	s_add_u32 s16, s10, s2
	s_addc_u32 s2, s11, s3
	s_add_u32 s20, s16, s0
	s_addc_u32 s0, s2, s1
	s_mov_b32 s7, 0x20000
	s_and_b32 s21, s0, 0xffff
	s_and_b32 s0, s14, 0xffff
	;; [unrolled: 1-line block ×3, first 2 shown]
	s_mov_b32 s3, 0
	v_mov_b32_e32 v45, 0
	s_lshl_b32 s2, s0, 4
	v_lshlrev_b32_e32 v48, 6, v0
	s_lshl_b32 s28, s0, 6
	s_mov_b64 s[26:27], 0
	s_mov_b32 s15, s7
	s_mov_b32 s14, s6
	;; [unrolled: 1-line block ×7, first 2 shown]
	v_mov_b32_e32 v49, 0x7f800000
	s_mov_b32 s33, 0xc0e00000
	v_mov_b32_e32 v50, 0x40e00000
	s_mov_b32 s22, s6
	s_mov_b32 s23, s7
	;; [unrolled: 1-line block ×4, first 2 shown]
.LBB308_8:                              ; =>This Inner Loop Header: Depth=1
	buffer_load_dwordx4 v[38:41], v48, s[8:11], 0 offen
	buffer_load_dwordx4 v[52:55], v48, s[16:19], 0 offen
	;; [unrolled: 1-line block ×12, first 2 shown]
	v_lshl_add_u64 v[44:45], s[2:3], 0, v[44:45]
	s_waitcnt vmcnt(10)
	v_pk_add_f32 v[38:39], v[52:53], v[38:39]
	v_pk_add_f32 v[32:33], v[54:55], v[40:41]
	s_waitcnt vmcnt(8)
	v_pk_add_f32 v[12:13], v[12:13], v[56:57]
	v_min_f32_e32 v32, 0x40e00000, v32
	s_waitcnt vmcnt(6)
	v_pk_add_f32 v[28:29], v[28:29], v[34:35]
	v_min_f32_e32 v34, 0x40e00000, v38
	v_mul_f32_e32 v38, 0xbfd9db23, v34
	v_mul_f32_e32 v42, 0x3fb8aa3b, v38
	;; [unrolled: 1-line block ×3, first 2 shown]
	v_fma_f32 v51, v38, s29, -v42
	v_rndne_f32_e32 v52, v42
	v_mul_f32_e32 v46, 0x3fb8aa3b, v40
	v_fmac_f32_e32 v51, 0x32a5705f, v38
	v_sub_f32_e32 v42, v42, v52
	v_min_f32_e32 v35, 0x40e00000, v39
	v_fma_f32 v55, v40, s29, -v46
	v_add_f32_e32 v42, v42, v51
	v_rndne_f32_e32 v51, v46
	v_mul_f32_e32 v39, 0xbfd9db23, v35
	v_fmac_f32_e32 v55, 0x32a5705f, v40
	v_sub_f32_e32 v46, v46, v51
	v_min_f32_e32 v33, 0x40e00000, v33
	v_mul_f32_e32 v43, 0x3fb8aa3b, v39
	v_add_f32_e32 v55, v46, v55
	v_cvt_i32_f32_e32 v46, v52
	v_exp_f32_e32 v42, v42
	v_mul_f32_e32 v41, 0xbfd9db23, v33
	v_fma_f32 v53, v39, s29, -v43
	v_rndne_f32_e32 v54, v43
	v_mul_f32_e32 v47, 0x3fb8aa3b, v41
	v_fmac_f32_e32 v53, 0x32a5705f, v39
	v_sub_f32_e32 v43, v43, v54
	v_add_f32_e32 v43, v43, v53
	v_fma_f32 v53, v41, s29, -v47
	v_rndne_f32_e32 v56, v47
	v_fmac_f32_e32 v53, 0x32a5705f, v41
	v_sub_f32_e32 v47, v47, v56
	v_ldexp_f32 v42, v42, v46
	v_min_f32_e32 v46, 0x40e00000, v28
	v_cvt_i32_f32_e32 v28, v54
	v_exp_f32_e32 v43, v43
	v_add_f32_e32 v47, v47, v53
	v_cvt_i32_f32_e32 v51, v51
	v_exp_f32_e32 v53, v55
	v_cvt_i32_f32_e32 v52, v56
	v_exp_f32_e32 v47, v47
	v_cmp_ngt_f32_e32 vcc, s30, v38
	v_ldexp_f32 v28, v43, v28
	v_cmp_ngt_f32_e64 s[0:1], s30, v39
	v_cndmask_b32_e32 v42, 0, v42, vcc
	v_cmp_nlt_f32_e32 vcc, s31, v38
	v_ldexp_f32 v43, v53, v51
	v_cndmask_b32_e64 v28, 0, v28, s[0:1]
	v_cmp_ngt_f32_e64 s[0:1], s30, v40
	v_cndmask_b32_e32 v42, v49, v42, vcc
	v_cmp_nlt_f32_e32 vcc, s31, v39
	v_ldexp_f32 v47, v47, v52
	v_cndmask_b32_e64 v38, 0, v43, s[0:1]
	v_cmp_ngt_f32_e64 s[0:1], s30, v41
	v_cndmask_b32_e32 v28, v49, v28, vcc
	v_cmp_nlt_f32_e32 vcc, s31, v40
	v_cndmask_b32_e64 v43, 0, v47, s[0:1]
	v_add_f32_e32 v40, 1.0, v42
	v_cndmask_b32_e32 v38, v49, v38, vcc
	v_cmp_nlt_f32_e32 vcc, s31, v41
	v_add_f32_e32 v28, 1.0, v28
	v_add_f32_e32 v41, 1.0, v38
	v_cndmask_b32_e32 v39, v49, v43, vcc
	v_add_f32_e32 v42, 1.0, v39
	v_mul_f32_e32 v54, 0xbfd9db23, v46
	v_rcp_f32_e32 v38, v40
	v_rcp_f32_e32 v39, v28
	;; [unrolled: 1-line block ×4, first 2 shown]
	v_mul_f32_e32 v51, 0x3fb8aa3b, v54
	v_fma_f32 v52, v54, s29, -v51
	v_rndne_f32_e32 v55, v51
	v_fmac_f32_e32 v52, 0x32a5705f, v54
	v_sub_f32_e32 v28, v51, v55
	v_add_f32_e32 v28, v28, v52
	v_pk_mul_f32 v[38:39], v[34:35], v[38:39]
	v_pk_mul_f32 v[52:53], v[32:33], v[40:41]
	buffer_load_dwordx4 v[40:43], v48, s[8:11], 32 offen
	buffer_load_dwordx4 v[32:35], v48, s[8:11], 48 offen
	v_min_f32_e32 v47, 0x40e00000, v29
	v_med3_f32 v13, v13, s33, v50
	v_med3_f32 v12, v12, s33, v50
	v_mul_f32_e32 v29, 0xbfd9db23, v47
	v_pk_add_f32 v[12:13], v[12:13], 1.0 op_sel_hi:[1,0]
	v_exp_f32_e32 v28, v28
	v_cvt_i32_f32_e32 v51, v55
	v_pk_add_f32 v[30:31], v[30:31], v[36:37]
	v_mul_f32_e32 v36, 0x3fb8aa3b, v29
	v_pk_mul_f32 v[12:13], v[12:13], v[38:39]
	v_fma_f32 v37, v29, s29, -v36
	v_rndne_f32_e32 v38, v36
	v_fmac_f32_e32 v37, 0x32a5705f, v29
	v_sub_f32_e32 v36, v36, v38
	v_add_f32_e32 v36, v36, v37
	v_ldexp_f32 v28, v28, v51
	v_cmp_ngt_f32_e32 vcc, s30, v54
	v_exp_f32_e32 v36, v36
	v_cvt_i32_f32_e32 v37, v38
	v_pk_add_f32 v[14:15], v[14:15], v[58:59]
	v_cndmask_b32_e32 v28, 0, v28, vcc
	v_cmp_nlt_f32_e32 vcc, s31, v54
	v_med3_f32 v15, v15, s33, v50
	v_med3_f32 v14, v14, s33, v50
	v_cndmask_b32_e32 v28, v49, v28, vcc
	v_pk_add_f32 v[14:15], v[14:15], 1.0 op_sel_hi:[1,0]
	v_add_f32_e32 v28, 1.0, v28
	v_min_f32_e32 v54, 0x40e00000, v30
	v_pk_mul_f32 v[14:15], v[14:15], v[52:53]
	v_rcp_f32_e32 v52, v28
	v_ldexp_f32 v28, v36, v37
	v_cmp_ngt_f32_e32 vcc, s30, v29
	v_mul_f32_e32 v51, 0xbfd9db23, v54
	v_min_f32_e32 v55, 0x40e00000, v31
	v_cndmask_b32_e32 v28, 0, v28, vcc
	v_cmp_nlt_f32_e32 vcc, s31, v29
	v_mul_f32_e32 v29, 0x3fb8aa3b, v51
	v_fma_f32 v30, v51, s29, -v29
	v_rndne_f32_e32 v36, v29
	v_fmac_f32_e32 v30, 0x32a5705f, v51
	v_sub_f32_e32 v29, v29, v36
	v_add_f32_e32 v29, v29, v30
	v_exp_f32_e32 v29, v29
	v_cvt_i32_f32_e32 v30, v36
	v_cndmask_b32_e32 v28, v49, v28, vcc
	v_add_f32_e32 v28, 1.0, v28
	v_mul_f32_e32 v57, 0xbfd9db23, v55
	v_rcp_f32_e32 v53, v28
	v_mul_f32_e32 v28, 0x3fb8aa3b, v57
	v_ldexp_f32 v56, v29, v30
	v_fma_f32 v29, v57, s29, -v28
	v_rndne_f32_e32 v58, v28
	v_fmac_f32_e32 v29, 0x32a5705f, v57
	v_sub_f32_e32 v28, v28, v58
	v_add_f32_e32 v59, v28, v29
	buffer_load_dwordx4 v[36:39], v48, s[12:15], 32 offen
	buffer_load_dwordx4 v[28:31], v48, s[12:15], 48 offen
	v_cmp_ngt_f32_e32 vcc, s30, v51
	v_exp_f32_e32 v59, v59
	v_cvt_i32_f32_e32 v58, v58
	v_cndmask_b32_e32 v56, 0, v56, vcc
	v_cmp_nlt_f32_e32 vcc, s31, v51
	s_waitcnt vmcnt(4)
	v_pk_add_f32 v[22:23], v[22:23], v[26:27]
	v_pk_add_f32 v[20:21], v[20:21], v[24:25]
	v_cndmask_b32_e32 v51, v49, v56, vcc
	v_add_f32_e32 v51, 1.0, v51
	v_rcp_f32_e32 v56, v51
	v_ldexp_f32 v51, v59, v58
	v_cmp_ngt_f32_e32 vcc, s30, v57
	v_med3_f32 v23, v23, s33, v50
	v_med3_f32 v22, v22, s33, v50
	v_cndmask_b32_e32 v51, 0, v51, vcc
	v_cmp_nlt_f32_e32 vcc, s31, v57
	v_pk_add_f32 v[22:23], v[22:23], 1.0 op_sel_hi:[1,0]
	v_med3_f32 v21, v21, s33, v50
	v_cndmask_b32_e32 v51, v49, v51, vcc
	v_add_f32_e32 v51, 1.0, v51
	v_rcp_f32_e32 v57, v51
	v_med3_f32 v20, v20, s33, v50
	s_waitcnt vmcnt(3)
	v_pk_add_f32 v[16:17], v[16:17], v[40:41]
	v_pk_add_f32 v[20:21], v[20:21], 1.0 op_sel_hi:[1,0]
	v_pk_mul_f32 v[26:27], v[54:55], v[56:57]
	v_min_f32_e32 v16, 0x40e00000, v16
	v_pk_mul_f32 v[22:23], v[22:23], v[26:27]
	v_mul_f32_e32 v26, 0xbfd9db23, v16
	v_mul_f32_e32 v27, 0x3fb8aa3b, v26
	v_fma_f32 v40, v26, s29, -v27
	v_rndne_f32_e32 v41, v27
	v_fmac_f32_e32 v40, 0x32a5705f, v26
	v_sub_f32_e32 v27, v27, v41
	v_add_f32_e32 v27, v27, v40
	v_exp_f32_e32 v27, v27
	v_cvt_i32_f32_e32 v40, v41
	v_pk_mul_f32 v[24:25], v[46:47], v[52:53]
	v_min_f32_e32 v17, 0x40e00000, v17
	v_pk_mul_f32 v[20:21], v[20:21], v[24:25]
	v_mul_f32_e32 v25, 0xbfd9db23, v17
	v_ldexp_f32 v24, v27, v40
	v_mul_f32_e32 v27, 0x3fb8aa3b, v25
	v_fma_f32 v40, v25, s29, -v27
	v_rndne_f32_e32 v41, v27
	v_fmac_f32_e32 v40, 0x32a5705f, v25
	v_sub_f32_e32 v27, v27, v41
	v_add_f32_e32 v27, v27, v40
	v_exp_f32_e32 v27, v27
	v_cvt_i32_f32_e32 v40, v41
	v_cmp_ngt_f32_e32 vcc, s30, v26
	v_pk_add_f32 v[18:19], v[18:19], v[42:43]
	s_waitcnt vmcnt(2)
	v_pk_add_f32 v[4:5], v[4:5], v[32:33]
	v_cndmask_b32_e32 v24, 0, v24, vcc
	v_cmp_nlt_f32_e32 vcc, s31, v26
	v_ldexp_f32 v26, v27, v40
	v_min_f32_e32 v18, 0x40e00000, v18
	v_cndmask_b32_e32 v24, v49, v24, vcc
	v_cmp_ngt_f32_e32 vcc, s30, v25
	v_min_f32_e32 v19, 0x40e00000, v19
	v_add_f32_e32 v24, 1.0, v24
	v_cndmask_b32_e32 v26, 0, v26, vcc
	v_cmp_nlt_f32_e32 vcc, s31, v25
	v_rcp_f32_e32 v24, v24
	v_min_f32_e32 v4, 0x40e00000, v4
	v_cndmask_b32_e32 v25, v49, v26, vcc
	v_mul_f32_e32 v26, 0xbfd9db23, v18
	v_mul_f32_e32 v27, 0x3fb8aa3b, v26
	v_fma_f32 v40, v26, s29, -v27
	v_rndne_f32_e32 v41, v27
	v_fmac_f32_e32 v40, 0x32a5705f, v26
	v_sub_f32_e32 v27, v27, v41
	v_add_f32_e32 v27, v27, v40
	v_exp_f32_e32 v27, v27
	v_cvt_i32_f32_e32 v40, v41
	v_cmp_ngt_f32_e32 vcc, s30, v26
	v_add_f32_e32 v25, 1.0, v25
	v_rcp_f32_e32 v25, v25
	v_ldexp_f32 v27, v27, v40
	v_mul_f32_e32 v40, 0xbfd9db23, v19
	v_mul_f32_e32 v41, 0x3fb8aa3b, v40
	v_fma_f32 v42, v40, s29, -v41
	v_rndne_f32_e32 v43, v41
	v_fmac_f32_e32 v42, 0x32a5705f, v40
	v_sub_f32_e32 v41, v41, v43
	v_add_f32_e32 v41, v41, v42
	v_exp_f32_e32 v41, v41
	v_cvt_i32_f32_e32 v42, v43
	v_cndmask_b32_e32 v27, 0, v27, vcc
	v_cmp_nlt_f32_e32 vcc, s31, v26
	s_waitcnt vmcnt(1)
	v_pk_add_f32 v[10:11], v[10:11], v[38:39]
	v_pk_mul_f32 v[16:17], v[16:17], v[24:25]
	v_cndmask_b32_e32 v26, v49, v27, vcc
	v_ldexp_f32 v27, v41, v42
	v_cmp_ngt_f32_e32 vcc, s30, v40
	v_add_f32_e32 v26, 1.0, v26
	v_rcp_f32_e32 v26, v26
	v_cndmask_b32_e32 v27, 0, v27, vcc
	v_cmp_nlt_f32_e32 vcc, s31, v40
	v_med3_f32 v11, v11, s33, v50
	v_med3_f32 v10, v10, s33, v50
	v_cndmask_b32_e32 v27, v49, v27, vcc
	v_add_f32_e32 v27, 1.0, v27
	v_rcp_f32_e32 v27, v27
	v_pk_add_f32 v[10:11], v[10:11], 1.0 op_sel_hi:[1,0]
	v_pk_add_f32 v[8:9], v[8:9], v[36:37]
	v_min_f32_e32 v5, 0x40e00000, v5
	v_pk_mul_f32 v[18:19], v[18:19], v[26:27]
	v_med3_f32 v9, v9, s33, v50
	v_pk_mul_f32 v[10:11], v[10:11], v[18:19]
	v_mul_f32_e32 v18, 0xbfd9db23, v4
	v_mul_f32_e32 v19, 0x3fb8aa3b, v18
	v_fma_f32 v24, v18, s29, -v19
	v_rndne_f32_e32 v25, v19
	v_fmac_f32_e32 v24, 0x32a5705f, v18
	v_sub_f32_e32 v19, v19, v25
	v_add_f32_e32 v19, v19, v24
	v_exp_f32_e32 v19, v19
	v_cvt_i32_f32_e32 v24, v25
	v_med3_f32 v8, v8, s33, v50
	v_pk_add_f32 v[8:9], v[8:9], 1.0 op_sel_hi:[1,0]
	v_cmp_ngt_f32_e32 vcc, s30, v18
	v_pk_mul_f32 v[8:9], v[8:9], v[16:17]
	v_mul_f32_e32 v17, 0xbfd9db23, v5
	v_ldexp_f32 v16, v19, v24
	v_mul_f32_e32 v19, 0x3fb8aa3b, v17
	v_fma_f32 v24, v17, s29, -v19
	v_rndne_f32_e32 v25, v19
	v_fmac_f32_e32 v24, 0x32a5705f, v17
	v_sub_f32_e32 v19, v19, v25
	v_add_f32_e32 v19, v19, v24
	v_exp_f32_e32 v19, v19
	v_cvt_i32_f32_e32 v24, v25
	v_cndmask_b32_e32 v16, 0, v16, vcc
	v_cmp_nlt_f32_e32 vcc, s31, v18
	v_pk_add_f32 v[6:7], v[6:7], v[34:35]
	v_ldexp_f32 v18, v19, v24
	v_cndmask_b32_e32 v16, v49, v16, vcc
	v_cmp_ngt_f32_e32 vcc, s30, v17
	v_min_f32_e32 v6, 0x40e00000, v6
	v_min_f32_e32 v7, 0x40e00000, v7
	v_cndmask_b32_e32 v18, 0, v18, vcc
	v_cmp_nlt_f32_e32 vcc, s31, v17
	v_add_f32_e32 v16, 1.0, v16
	v_rcp_f32_e32 v16, v16
	v_cndmask_b32_e32 v17, v49, v18, vcc
	v_mul_f32_e32 v18, 0xbfd9db23, v6
	v_mul_f32_e32 v19, 0x3fb8aa3b, v18
	v_fma_f32 v24, v18, s29, -v19
	v_rndne_f32_e32 v25, v19
	v_fmac_f32_e32 v24, 0x32a5705f, v18
	v_sub_f32_e32 v19, v19, v25
	v_add_f32_e32 v19, v19, v24
	v_exp_f32_e32 v19, v19
	v_cvt_i32_f32_e32 v24, v25
	v_cmp_ngt_f32_e32 vcc, s30, v18
	v_add_f32_e32 v17, 1.0, v17
	v_rcp_f32_e32 v17, v17
	v_ldexp_f32 v19, v19, v24
	v_mul_f32_e32 v24, 0xbfd9db23, v7
	v_mul_f32_e32 v25, 0x3fb8aa3b, v24
	v_fma_f32 v26, v24, s29, -v25
	v_rndne_f32_e32 v27, v25
	v_fmac_f32_e32 v26, 0x32a5705f, v24
	v_sub_f32_e32 v25, v25, v27
	v_add_f32_e32 v25, v25, v26
	v_exp_f32_e32 v25, v25
	v_cvt_i32_f32_e32 v26, v27
	v_cndmask_b32_e32 v19, 0, v19, vcc
	v_cmp_nlt_f32_e32 vcc, s31, v18
	s_waitcnt vmcnt(0)
	v_pk_add_f32 v[2:3], v[2:3], v[30:31]
	v_pk_add_f32 v[0:1], v[0:1], v[28:29]
	v_cndmask_b32_e32 v18, v49, v19, vcc
	v_ldexp_f32 v19, v25, v26
	v_cmp_ngt_f32_e32 vcc, s30, v24
	v_add_f32_e32 v18, 1.0, v18
	v_rcp_f32_e32 v18, v18
	v_cndmask_b32_e32 v19, 0, v19, vcc
	v_cmp_nlt_f32_e32 vcc, s31, v24
	v_med3_f32 v3, v3, s33, v50
	v_med3_f32 v2, v2, s33, v50
	v_cndmask_b32_e32 v19, v49, v19, vcc
	v_add_f32_e32 v19, 1.0, v19
	v_rcp_f32_e32 v19, v19
	v_med3_f32 v1, v1, s33, v50
	v_med3_f32 v0, v0, s33, v50
	v_pk_add_f32 v[2:3], v[2:3], 1.0 op_sel_hi:[1,0]
	v_pk_add_f32 v[0:1], v[0:1], 1.0 op_sel_hi:[1,0]
	v_pk_mul_f32 v[4:5], v[4:5], v[16:17]
	v_pk_mul_f32 v[6:7], v[6:7], v[18:19]
	v_cmp_le_i64_e32 vcc, s[24:25], v[44:45]
	v_pk_mul_f32 v[2:3], v[2:3], v[6:7]
	v_pk_mul_f32 v[0:1], v[0:1], v[4:5]
	buffer_store_dwordx4 v[12:15], v48, s[4:7], 0 offen
	buffer_store_dwordx4 v[20:23], v48, s[4:7], 16 offen
	buffer_store_dwordx4 v[8:11], v48, s[4:7], 32 offen
	buffer_store_dwordx4 v[0:3], v48, s[4:7], 48 offen
	s_or_b64 s[26:27], vcc, s[26:27]
	v_add_u32_e32 v48, s28, v48
	s_andn2_b64 exec, exec, s[26:27]
	s_cbranch_execnz .LBB308_8
.LBB308_9:
	s_endpgm
	.section	.rodata,"a",@progbits
	.p2align	6, 0x0
	.amdhsa_kernel _ZN5aiter30swiglu_act_and_mul_bias_kernelIffifLi16EEEvPT0_PKT_PKT1_PKT2_il
		.amdhsa_group_segment_fixed_size 0
		.amdhsa_private_segment_fixed_size 0
		.amdhsa_kernarg_size 304
		.amdhsa_user_sgpr_count 2
		.amdhsa_user_sgpr_dispatch_ptr 0
		.amdhsa_user_sgpr_queue_ptr 0
		.amdhsa_user_sgpr_kernarg_segment_ptr 1
		.amdhsa_user_sgpr_dispatch_id 0
		.amdhsa_user_sgpr_kernarg_preload_length 0
		.amdhsa_user_sgpr_kernarg_preload_offset 0
		.amdhsa_user_sgpr_private_segment_size 0
		.amdhsa_uses_dynamic_stack 0
		.amdhsa_enable_private_segment 0
		.amdhsa_system_sgpr_workgroup_id_x 1
		.amdhsa_system_sgpr_workgroup_id_y 0
		.amdhsa_system_sgpr_workgroup_id_z 0
		.amdhsa_system_sgpr_workgroup_info 0
		.amdhsa_system_vgpr_workitem_id 0
		.amdhsa_next_free_vgpr 60
		.amdhsa_next_free_sgpr 34
		.amdhsa_accum_offset 60
		.amdhsa_reserve_vcc 1
		.amdhsa_float_round_mode_32 0
		.amdhsa_float_round_mode_16_64 0
		.amdhsa_float_denorm_mode_32 3
		.amdhsa_float_denorm_mode_16_64 3
		.amdhsa_dx10_clamp 1
		.amdhsa_ieee_mode 1
		.amdhsa_fp16_overflow 0
		.amdhsa_tg_split 0
		.amdhsa_exception_fp_ieee_invalid_op 0
		.amdhsa_exception_fp_denorm_src 0
		.amdhsa_exception_fp_ieee_div_zero 0
		.amdhsa_exception_fp_ieee_overflow 0
		.amdhsa_exception_fp_ieee_underflow 0
		.amdhsa_exception_fp_ieee_inexact 0
		.amdhsa_exception_int_div_zero 0
	.end_amdhsa_kernel
	.section	.text._ZN5aiter30swiglu_act_and_mul_bias_kernelIffifLi16EEEvPT0_PKT_PKT1_PKT2_il,"axG",@progbits,_ZN5aiter30swiglu_act_and_mul_bias_kernelIffifLi16EEEvPT0_PKT_PKT1_PKT2_il,comdat
.Lfunc_end308:
	.size	_ZN5aiter30swiglu_act_and_mul_bias_kernelIffifLi16EEEvPT0_PKT_PKT1_PKT2_il, .Lfunc_end308-_ZN5aiter30swiglu_act_and_mul_bias_kernelIffifLi16EEEvPT0_PKT_PKT1_PKT2_il
                                        ; -- End function
	.section	.AMDGPU.csdata,"",@progbits
; Kernel info:
; codeLenInByte = 2744
; NumSgprs: 40
; NumVgprs: 60
; NumAgprs: 0
; TotalNumVgprs: 60
; ScratchSize: 0
; MemoryBound: 0
; FloatMode: 240
; IeeeMode: 1
; LDSByteSize: 0 bytes/workgroup (compile time only)
; SGPRBlocks: 4
; VGPRBlocks: 7
; NumSGPRsForWavesPerEU: 40
; NumVGPRsForWavesPerEU: 60
; AccumOffset: 60
; Occupancy: 8
; WaveLimiterHint : 0
; COMPUTE_PGM_RSRC2:SCRATCH_EN: 0
; COMPUTE_PGM_RSRC2:USER_SGPR: 2
; COMPUTE_PGM_RSRC2:TRAP_HANDLER: 0
; COMPUTE_PGM_RSRC2:TGID_X_EN: 1
; COMPUTE_PGM_RSRC2:TGID_Y_EN: 0
; COMPUTE_PGM_RSRC2:TGID_Z_EN: 0
; COMPUTE_PGM_RSRC2:TIDIG_COMP_CNT: 0
; COMPUTE_PGM_RSRC3_GFX90A:ACCUM_OFFSET: 14
; COMPUTE_PGM_RSRC3_GFX90A:TG_SPLIT: 0
	.section	.text._ZN5aiter30swiglu_act_and_mul_bias_kernelIffifLi8EEEvPT0_PKT_PKT1_PKT2_il,"axG",@progbits,_ZN5aiter30swiglu_act_and_mul_bias_kernelIffifLi8EEEvPT0_PKT_PKT1_PKT2_il,comdat
	.protected	_ZN5aiter30swiglu_act_and_mul_bias_kernelIffifLi8EEEvPT0_PKT_PKT1_PKT2_il ; -- Begin function _ZN5aiter30swiglu_act_and_mul_bias_kernelIffifLi8EEEvPT0_PKT_PKT1_PKT2_il
	.globl	_ZN5aiter30swiglu_act_and_mul_bias_kernelIffifLi8EEEvPT0_PKT_PKT1_PKT2_il
	.p2align	8
	.type	_ZN5aiter30swiglu_act_and_mul_bias_kernelIffifLi8EEEvPT0_PKT_PKT1_PKT2_il,@function
_ZN5aiter30swiglu_act_and_mul_bias_kernelIffifLi8EEEvPT0_PKT_PKT1_PKT2_il: ; @_ZN5aiter30swiglu_act_and_mul_bias_kernelIffifLi8EEEvPT0_PKT_PKT1_PKT2_il
; %bb.0:
	s_load_dword s20, s[0:1], 0x20
	s_load_dwordx2 s[4:5], s[0:1], 0x10
	s_load_dwordx2 s[12:13], s[0:1], 0x28
	s_mov_b32 s3, 0
	s_lshl_b64 s[6:7], s[2:3], 2
	s_waitcnt lgkmcnt(0)
	s_ashr_i32 s21, s20, 31
	s_add_u32 s4, s4, s6
	s_addc_u32 s5, s5, s7
	s_load_dword s8, s[4:5], 0x0
	s_load_dwordx2 s[14:15], s[0:1], 0x0
	s_mul_hi_u32 s3, s20, s2
	s_mul_i32 s4, s21, s2
	s_add_i32 s5, s3, s4
	s_mul_i32 s4, s20, s2
	s_waitcnt lgkmcnt(0)
	s_ashr_i32 s9, s8, 31
	s_lshl_b32 s6, s20, 2
	s_lshl_b64 s[4:5], s[4:5], 2
	v_mov_b64_e32 v[2:3], s[12:13]
	v_cmp_gt_i64_e64 s[16:17], s[8:9], -1
	s_add_u32 s4, s14, s4
	v_cmp_lt_i64_e32 vcc, s[8:9], v[2:3]
	s_addc_u32 s3, s15, s5
	s_and_b64 s[12:13], s[16:17], vcc
	s_mov_b64 s[10:11], -1
	s_and_b32 s5, s3, 0xffff
	s_and_b64 vcc, exec, s[12:13]
	v_lshlrev_b32_e32 v16, 3, v0
	s_cbranch_vccnz .LBB309_5
; %bb.1:
	v_cmp_gt_i32_e32 vcc, s20, v16
	s_and_saveexec_b64 s[10:11], vcc
	s_cbranch_execz .LBB309_4
; %bb.2:
	s_load_dword s3, s[0:1], 0x3c
	s_mov_b32 s13, 0
	s_mov_b32 s16, s13
	;; [unrolled: 1-line block ×3, first 2 shown]
	v_mov_b32_e32 v17, 0
	s_waitcnt lgkmcnt(0)
	s_and_b32 s3, s3, 0xffff
	s_mov_b32 s18, s13
	s_mov_b32 s19, s13
	v_mov_b64_e32 v[2:3], s[16:17]
	v_lshlrev_b32_e32 v1, 5, v0
	s_lshl_b32 s12, s3, 3
	s_lshl_b32 s3, s3, 5
	s_mov_b64 s[14:15], 0
	s_mov_b32 s7, 0x20000
	v_mov_b64_e32 v[4:5], s[18:19]
	v_mov_b64_e32 v[6:7], v[16:17]
.LBB309_3:                              ; =>This Inner Loop Header: Depth=1
	v_lshl_add_u64 v[6:7], s[12:13], 0, v[6:7]
	v_cmp_le_i64_e32 vcc, s[20:21], v[6:7]
	buffer_store_dwordx4 v[2:5], v1, s[4:7], 0 offen
	buffer_store_dwordx4 v[2:5], v1, s[4:7], 16 offen
	s_or_b64 s[14:15], vcc, s[14:15]
	v_add_u32_e32 v1, s3, v1
	s_andn2_b64 exec, exec, s[14:15]
	s_cbranch_execnz .LBB309_3
.LBB309_4:
	s_or_b64 exec, exec, s[10:11]
	s_mov_b64 s[10:11], 0
.LBB309_5:
	s_andn2_b64 vcc, exec, s[10:11]
	s_cbranch_vccnz .LBB309_9
; %bb.6:
	v_cmp_gt_i32_e32 vcc, s20, v16
	s_and_saveexec_b64 s[10:11], vcc
	s_cbranch_execz .LBB309_9
; %bb.7:
	s_load_dwordx2 s[10:11], s[0:1], 0x8
	s_load_dwordx2 s[12:13], s[0:1], 0x18
	s_mul_hi_i32 s9, s20, s8
	s_mul_i32 s8, s20, s8
	s_lshl_b64 s[8:9], s[8:9], 3
	s_load_dword s18, s[0:1], 0x3c
	s_waitcnt lgkmcnt(0)
	s_add_u32 s0, s12, s8
	s_addc_u32 s1, s13, s9
	s_lshl_b64 s[14:15], s[20:21], 2
	s_add_u32 s8, s0, s14
	s_addc_u32 s3, s1, s15
	s_and_b32 s9, s3, 0xffff
	s_mul_i32 s3, s2, s21
	s_mul_hi_u32 s12, s2, s20
	s_add_i32 s3, s12, s3
	s_mul_i32 s2, s2, s20
	s_and_b32 s1, s1, 0xffff
	s_lshl_b64 s[2:3], s[2:3], 3
	s_add_u32 s12, s10, s2
	s_addc_u32 s2, s11, s3
	s_add_u32 s16, s12, s14
	s_mov_b32 s7, 0x20000
	s_addc_u32 s3, s2, s15
	s_and_b32 s13, s2, 0xffff
	s_and_b32 s2, s18, 0xffff
	;; [unrolled: 1-line block ×3, first 2 shown]
	s_mov_b32 s23, 0
	v_mov_b32_e32 v17, 0
	s_lshl_b32 s22, s2, 3
	v_lshlrev_b32_e32 v18, 5, v0
	s_lshl_b32 s26, s2, 5
	s_mov_b64 s[24:25], 0
	s_mov_b32 s11, s7
	s_mov_b32 s10, s6
	;; [unrolled: 1-line block ×7, first 2 shown]
	v_mov_b32_e32 v19, 0x7f800000
	s_mov_b32 s30, 0xc0e00000
	v_mov_b32_e32 v20, 0x40e00000
	s_mov_b32 s18, s6
	s_mov_b32 s19, s7
	;; [unrolled: 1-line block ×4, first 2 shown]
.LBB309_8:                              ; =>This Inner Loop Header: Depth=1
	buffer_load_dwordx4 v[22:25], v18, s[0:3], 0 offen
	buffer_load_dwordx4 v[26:29], v18, s[12:15], 0 offen
	;; [unrolled: 1-line block ×8, first 2 shown]
	v_lshl_add_u64 v[16:17], s[22:23], 0, v[16:17]
	s_waitcnt vmcnt(6)
	v_pk_add_f32 v[22:23], v[26:27], v[22:23]
	v_pk_add_f32 v[24:25], v[28:29], v[24:25]
	s_waitcnt vmcnt(4)
	v_pk_add_f32 v[26:27], v[32:33], v[36:37]
	v_pk_add_f32 v[28:29], v[30:31], v[34:35]
	s_waitcnt vmcnt(2)
	v_pk_add_f32 v[8:9], v[8:9], v[12:13]
	v_min_f32_e32 v12, 0x40e00000, v22
	v_min_f32_e32 v13, 0x40e00000, v23
	v_mul_f32_e32 v21, 0xbfd9db23, v12
	v_min_f32_e32 v22, 0x40e00000, v24
	v_med3_f32 v24, v26, s30, v20
	v_med3_f32 v26, v28, s30, v20
	v_mul_f32_e32 v28, 0xbfd9db23, v13
	v_mul_f32_e32 v31, 0x3fb8aa3b, v21
	v_min_f32_e32 v23, 0x40e00000, v25
	v_med3_f32 v25, v27, s30, v20
	v_med3_f32 v27, v29, s30, v20
	v_mul_f32_e32 v29, 0xbfd9db23, v22
	v_mul_f32_e32 v33, 0x3fb8aa3b, v28
	v_fma_f32 v37, v21, s27, -v31
	v_rndne_f32_e32 v38, v31
	v_mul_f32_e32 v30, 0xbfd9db23, v23
	v_mul_f32_e32 v34, 0x3fb8aa3b, v29
	v_fma_f32 v39, v28, s27, -v33
	v_rndne_f32_e32 v40, v33
	v_fmac_f32_e32 v37, 0x32a5705f, v21
	v_sub_f32_e32 v31, v31, v38
	v_mul_f32_e32 v35, 0x3fb8aa3b, v30
	v_fma_f32 v41, v29, s27, -v34
	v_rndne_f32_e32 v42, v34
	v_fmac_f32_e32 v39, 0x32a5705f, v28
	v_sub_f32_e32 v33, v33, v40
	v_add_f32_e32 v31, v31, v37
	v_fma_f32 v43, v30, s27, -v35
	v_rndne_f32_e32 v44, v35
	v_cvt_i32_f32_e32 v38, v38
	v_fmac_f32_e32 v41, 0x32a5705f, v29
	v_sub_f32_e32 v34, v34, v42
	v_add_f32_e32 v33, v33, v39
	v_exp_f32_e32 v31, v31
	v_cvt_i32_f32_e32 v40, v40
	v_fmac_f32_e32 v43, 0x32a5705f, v30
	v_sub_f32_e32 v35, v35, v44
	v_add_f32_e32 v34, v34, v41
	v_exp_f32_e32 v33, v33
	v_cvt_i32_f32_e32 v42, v42
	v_add_f32_e32 v35, v35, v43
	v_exp_f32_e32 v34, v34
	v_cvt_i32_f32_e32 v44, v44
	v_exp_f32_e32 v35, v35
	v_ldexp_f32 v31, v31, v38
	v_cmp_ngt_f32_e32 vcc, s28, v21
	v_ldexp_f32 v33, v33, v40
	v_ldexp_f32 v34, v34, v42
	v_cndmask_b32_e32 v31, 0, v31, vcc
	v_cmp_ngt_f32_e32 vcc, s28, v28
	v_ldexp_f32 v35, v35, v44
	v_min_f32_e32 v8, 0x40e00000, v8
	v_cndmask_b32_e32 v33, 0, v33, vcc
	v_cmp_ngt_f32_e32 vcc, s28, v29
	v_mul_f32_e32 v32, 0xbfd9db23, v8
	v_mul_f32_e32 v36, 0x3fb8aa3b, v32
	v_cndmask_b32_e32 v34, 0, v34, vcc
	v_cmp_ngt_f32_e32 vcc, s28, v30
	v_fma_f32 v45, v32, s27, -v36
	v_rndne_f32_e32 v46, v36
	v_cndmask_b32_e32 v35, 0, v35, vcc
	v_cmp_nlt_f32_e32 vcc, s29, v21
	v_fmac_f32_e32 v45, 0x32a5705f, v32
	v_sub_f32_e32 v36, v36, v46
	v_cndmask_b32_e32 v21, v19, v31, vcc
	v_cmp_nlt_f32_e32 vcc, s29, v28
	v_add_f32_e32 v21, 1.0, v21
	v_cvt_i32_f32_e32 v46, v46
	v_cndmask_b32_e32 v28, v19, v33, vcc
	v_cmp_nlt_f32_e32 vcc, s29, v29
	v_add_f32_e32 v31, 1.0, v28
	v_rcp_f32_e32 v28, v21
	v_cndmask_b32_e32 v29, v19, v34, vcc
	v_cmp_nlt_f32_e32 vcc, s29, v30
	v_add_f32_e32 v33, 1.0, v29
	v_rcp_f32_e32 v29, v31
	v_cndmask_b32_e32 v30, v19, v35, vcc
	v_add_f32_e32 v34, 1.0, v30
	v_rcp_f32_e32 v30, v33
	v_rcp_f32_e32 v31, v34
	v_add_f32_e32 v21, v36, v45
	v_exp_f32_e32 v21, v21
	v_pk_add_f32 v[24:25], v[24:25], 1.0 op_sel_hi:[1,0]
	v_pk_add_f32 v[26:27], v[26:27], 1.0 op_sel_hi:[1,0]
	v_pk_mul_f32 v[12:13], v[12:13], v[28:29]
	v_pk_mul_f32 v[22:23], v[22:23], v[30:31]
	v_min_f32_e32 v9, 0x40e00000, v9
	v_pk_mul_f32 v[24:25], v[24:25], v[22:23]
	v_pk_mul_f32 v[22:23], v[26:27], v[12:13]
	v_mul_f32_e32 v13, 0xbfd9db23, v9
	v_pk_add_f32 v[10:11], v[10:11], v[14:15]
	v_mul_f32_e32 v14, 0x3fb8aa3b, v13
	v_ldexp_f32 v12, v21, v46
	v_fma_f32 v15, v13, s27, -v14
	v_rndne_f32_e32 v21, v14
	v_fmac_f32_e32 v15, 0x32a5705f, v13
	v_sub_f32_e32 v14, v14, v21
	v_add_f32_e32 v14, v14, v15
	v_exp_f32_e32 v14, v14
	v_cvt_i32_f32_e32 v15, v21
	v_cmp_ngt_f32_e32 vcc, s28, v32
	v_min_f32_e32 v10, 0x40e00000, v10
	v_min_f32_e32 v11, 0x40e00000, v11
	v_cndmask_b32_e32 v12, 0, v12, vcc
	v_cmp_nlt_f32_e32 vcc, s29, v32
	v_ldexp_f32 v14, v14, v15
	s_waitcnt vmcnt(0)
	v_pk_add_f32 v[2:3], v[2:3], v[6:7]
	v_cndmask_b32_e32 v12, v19, v12, vcc
	v_cmp_ngt_f32_e32 vcc, s28, v13
	v_add_f32_e32 v12, 1.0, v12
	v_rcp_f32_e32 v12, v12
	v_cndmask_b32_e32 v14, 0, v14, vcc
	v_cmp_nlt_f32_e32 vcc, s29, v13
	v_pk_add_f32 v[0:1], v[0:1], v[4:5]
	v_med3_f32 v3, v3, s30, v20
	v_cndmask_b32_e32 v13, v19, v14, vcc
	v_mul_f32_e32 v14, 0xbfd9db23, v10
	v_mul_f32_e32 v15, 0x3fb8aa3b, v14
	v_fma_f32 v21, v14, s27, -v15
	v_rndne_f32_e32 v26, v15
	v_fmac_f32_e32 v21, 0x32a5705f, v14
	v_sub_f32_e32 v15, v15, v26
	v_add_f32_e32 v15, v15, v21
	v_exp_f32_e32 v15, v15
	v_cvt_i32_f32_e32 v21, v26
	v_cmp_ngt_f32_e32 vcc, s28, v14
	v_add_f32_e32 v13, 1.0, v13
	v_rcp_f32_e32 v13, v13
	v_ldexp_f32 v15, v15, v21
	v_mul_f32_e32 v21, 0xbfd9db23, v11
	v_mul_f32_e32 v26, 0x3fb8aa3b, v21
	v_fma_f32 v27, v21, s27, -v26
	v_rndne_f32_e32 v28, v26
	v_fmac_f32_e32 v27, 0x32a5705f, v21
	v_sub_f32_e32 v26, v26, v28
	v_add_f32_e32 v26, v26, v27
	v_exp_f32_e32 v26, v26
	v_cvt_i32_f32_e32 v27, v28
	v_cndmask_b32_e32 v15, 0, v15, vcc
	v_cmp_nlt_f32_e32 vcc, s29, v14
	v_med3_f32 v2, v2, s30, v20
	v_med3_f32 v1, v1, s30, v20
	v_cndmask_b32_e32 v14, v19, v15, vcc
	v_ldexp_f32 v15, v26, v27
	v_cmp_ngt_f32_e32 vcc, s28, v21
	v_add_f32_e32 v14, 1.0, v14
	v_rcp_f32_e32 v14, v14
	v_cndmask_b32_e32 v15, 0, v15, vcc
	v_cmp_nlt_f32_e32 vcc, s29, v21
	v_med3_f32 v0, v0, s30, v20
	v_pk_add_f32 v[2:3], v[2:3], 1.0 op_sel_hi:[1,0]
	v_cndmask_b32_e32 v15, v19, v15, vcc
	v_add_f32_e32 v15, 1.0, v15
	v_rcp_f32_e32 v15, v15
	v_pk_add_f32 v[0:1], v[0:1], 1.0 op_sel_hi:[1,0]
	v_pk_mul_f32 v[4:5], v[8:9], v[12:13]
	v_cmp_le_i64_e32 vcc, s[20:21], v[16:17]
	v_pk_mul_f32 v[6:7], v[10:11], v[14:15]
	v_pk_mul_f32 v[0:1], v[0:1], v[4:5]
	;; [unrolled: 1-line block ×3, first 2 shown]
	buffer_store_dwordx4 v[22:25], v18, s[4:7], 0 offen
	buffer_store_dwordx4 v[0:3], v18, s[4:7], 16 offen
	s_or_b64 s[24:25], vcc, s[24:25]
	v_add_u32_e32 v18, s26, v18
	s_andn2_b64 exec, exec, s[24:25]
	s_cbranch_execnz .LBB309_8
.LBB309_9:
	s_endpgm
	.section	.rodata,"a",@progbits
	.p2align	6, 0x0
	.amdhsa_kernel _ZN5aiter30swiglu_act_and_mul_bias_kernelIffifLi8EEEvPT0_PKT_PKT1_PKT2_il
		.amdhsa_group_segment_fixed_size 0
		.amdhsa_private_segment_fixed_size 0
		.amdhsa_kernarg_size 304
		.amdhsa_user_sgpr_count 2
		.amdhsa_user_sgpr_dispatch_ptr 0
		.amdhsa_user_sgpr_queue_ptr 0
		.amdhsa_user_sgpr_kernarg_segment_ptr 1
		.amdhsa_user_sgpr_dispatch_id 0
		.amdhsa_user_sgpr_kernarg_preload_length 0
		.amdhsa_user_sgpr_kernarg_preload_offset 0
		.amdhsa_user_sgpr_private_segment_size 0
		.amdhsa_uses_dynamic_stack 0
		.amdhsa_enable_private_segment 0
		.amdhsa_system_sgpr_workgroup_id_x 1
		.amdhsa_system_sgpr_workgroup_id_y 0
		.amdhsa_system_sgpr_workgroup_id_z 0
		.amdhsa_system_sgpr_workgroup_info 0
		.amdhsa_system_vgpr_workitem_id 0
		.amdhsa_next_free_vgpr 47
		.amdhsa_next_free_sgpr 31
		.amdhsa_accum_offset 48
		.amdhsa_reserve_vcc 1
		.amdhsa_float_round_mode_32 0
		.amdhsa_float_round_mode_16_64 0
		.amdhsa_float_denorm_mode_32 3
		.amdhsa_float_denorm_mode_16_64 3
		.amdhsa_dx10_clamp 1
		.amdhsa_ieee_mode 1
		.amdhsa_fp16_overflow 0
		.amdhsa_tg_split 0
		.amdhsa_exception_fp_ieee_invalid_op 0
		.amdhsa_exception_fp_denorm_src 0
		.amdhsa_exception_fp_ieee_div_zero 0
		.amdhsa_exception_fp_ieee_overflow 0
		.amdhsa_exception_fp_ieee_underflow 0
		.amdhsa_exception_fp_ieee_inexact 0
		.amdhsa_exception_int_div_zero 0
	.end_amdhsa_kernel
	.section	.text._ZN5aiter30swiglu_act_and_mul_bias_kernelIffifLi8EEEvPT0_PKT_PKT1_PKT2_il,"axG",@progbits,_ZN5aiter30swiglu_act_and_mul_bias_kernelIffifLi8EEEvPT0_PKT_PKT1_PKT2_il,comdat
.Lfunc_end309:
	.size	_ZN5aiter30swiglu_act_and_mul_bias_kernelIffifLi8EEEvPT0_PKT_PKT1_PKT2_il, .Lfunc_end309-_ZN5aiter30swiglu_act_and_mul_bias_kernelIffifLi8EEEvPT0_PKT_PKT1_PKT2_il
                                        ; -- End function
	.section	.AMDGPU.csdata,"",@progbits
; Kernel info:
; codeLenInByte = 1648
; NumSgprs: 37
; NumVgprs: 47
; NumAgprs: 0
; TotalNumVgprs: 47
; ScratchSize: 0
; MemoryBound: 0
; FloatMode: 240
; IeeeMode: 1
; LDSByteSize: 0 bytes/workgroup (compile time only)
; SGPRBlocks: 4
; VGPRBlocks: 5
; NumSGPRsForWavesPerEU: 37
; NumVGPRsForWavesPerEU: 47
; AccumOffset: 48
; Occupancy: 8
; WaveLimiterHint : 0
; COMPUTE_PGM_RSRC2:SCRATCH_EN: 0
; COMPUTE_PGM_RSRC2:USER_SGPR: 2
; COMPUTE_PGM_RSRC2:TRAP_HANDLER: 0
; COMPUTE_PGM_RSRC2:TGID_X_EN: 1
; COMPUTE_PGM_RSRC2:TGID_Y_EN: 0
; COMPUTE_PGM_RSRC2:TGID_Z_EN: 0
; COMPUTE_PGM_RSRC2:TIDIG_COMP_CNT: 0
; COMPUTE_PGM_RSRC3_GFX90A:ACCUM_OFFSET: 11
; COMPUTE_PGM_RSRC3_GFX90A:TG_SPLIT: 0
	.section	.text._ZN5aiter30swiglu_act_and_mul_bias_kernelIffifLi4EEEvPT0_PKT_PKT1_PKT2_il,"axG",@progbits,_ZN5aiter30swiglu_act_and_mul_bias_kernelIffifLi4EEEvPT0_PKT_PKT1_PKT2_il,comdat
	.protected	_ZN5aiter30swiglu_act_and_mul_bias_kernelIffifLi4EEEvPT0_PKT_PKT1_PKT2_il ; -- Begin function _ZN5aiter30swiglu_act_and_mul_bias_kernelIffifLi4EEEvPT0_PKT_PKT1_PKT2_il
	.globl	_ZN5aiter30swiglu_act_and_mul_bias_kernelIffifLi4EEEvPT0_PKT_PKT1_PKT2_il
	.p2align	8
	.type	_ZN5aiter30swiglu_act_and_mul_bias_kernelIffifLi4EEEvPT0_PKT_PKT1_PKT2_il,@function
_ZN5aiter30swiglu_act_and_mul_bias_kernelIffifLi4EEEvPT0_PKT_PKT1_PKT2_il: ; @_ZN5aiter30swiglu_act_and_mul_bias_kernelIffifLi4EEEvPT0_PKT_PKT1_PKT2_il
; %bb.0:
	s_load_dword s20, s[0:1], 0x20
	s_load_dwordx2 s[4:5], s[0:1], 0x10
	s_load_dwordx2 s[12:13], s[0:1], 0x28
	s_mov_b32 s3, 0
	s_lshl_b64 s[6:7], s[2:3], 2
	s_waitcnt lgkmcnt(0)
	s_ashr_i32 s21, s20, 31
	s_add_u32 s4, s4, s6
	s_addc_u32 s5, s5, s7
	s_load_dword s8, s[4:5], 0x0
	s_load_dwordx2 s[14:15], s[0:1], 0x0
	s_mul_hi_u32 s3, s20, s2
	s_mul_i32 s4, s21, s2
	s_add_i32 s5, s3, s4
	s_mul_i32 s4, s20, s2
	s_waitcnt lgkmcnt(0)
	s_ashr_i32 s9, s8, 31
	s_lshl_b32 s6, s20, 2
	s_lshl_b64 s[4:5], s[4:5], 2
	v_mov_b64_e32 v[2:3], s[12:13]
	v_cmp_gt_i64_e64 s[16:17], s[8:9], -1
	s_add_u32 s4, s14, s4
	v_cmp_lt_i64_e32 vcc, s[8:9], v[2:3]
	s_addc_u32 s3, s15, s5
	s_and_b64 s[12:13], s[16:17], vcc
	s_mov_b64 s[10:11], -1
	s_and_b32 s5, s3, 0xffff
	s_and_b64 vcc, exec, s[12:13]
	v_lshlrev_b32_e32 v16, 2, v0
	s_cbranch_vccnz .LBB310_5
; %bb.1:
	v_cmp_gt_i32_e32 vcc, s20, v16
	s_and_saveexec_b64 s[10:11], vcc
	s_cbranch_execz .LBB310_4
; %bb.2:
	s_load_dword s3, s[0:1], 0x3c
	v_mov_b32_e32 v17, 0
	s_mov_b32 s13, 0
	v_lshlrev_b32_e32 v1, 4, v0
	s_mov_b64 s[14:15], 0
	s_waitcnt lgkmcnt(0)
	s_and_b32 s3, s3, 0xffff
	s_lshl_b32 s12, s3, 2
	s_lshl_b32 s3, s3, 4
	s_mov_b32 s7, 0x20000
	v_mov_b32_e32 v2, v17
	v_mov_b32_e32 v3, v17
	;; [unrolled: 1-line block ×4, first 2 shown]
	v_mov_b64_e32 v[6:7], v[16:17]
.LBB310_3:                              ; =>This Inner Loop Header: Depth=1
	v_lshl_add_u64 v[6:7], s[12:13], 0, v[6:7]
	v_cmp_le_i64_e32 vcc, s[20:21], v[6:7]
	buffer_store_dwordx4 v[2:5], v1, s[4:7], 0 offen
	s_or_b64 s[14:15], vcc, s[14:15]
	v_add_u32_e32 v1, s3, v1
	s_andn2_b64 exec, exec, s[14:15]
	s_cbranch_execnz .LBB310_3
.LBB310_4:
	s_or_b64 exec, exec, s[10:11]
	s_mov_b64 s[10:11], 0
.LBB310_5:
	s_andn2_b64 vcc, exec, s[10:11]
	s_cbranch_vccnz .LBB310_9
; %bb.6:
	v_cmp_gt_i32_e32 vcc, s20, v16
	s_and_saveexec_b64 s[10:11], vcc
	s_cbranch_execz .LBB310_9
; %bb.7:
	s_load_dwordx2 s[10:11], s[0:1], 0x8
	s_load_dwordx2 s[12:13], s[0:1], 0x18
	s_mul_hi_i32 s9, s20, s8
	s_mul_i32 s8, s20, s8
	s_lshl_b64 s[8:9], s[8:9], 3
	s_load_dword s18, s[0:1], 0x3c
	s_waitcnt lgkmcnt(0)
	s_add_u32 s0, s12, s8
	s_addc_u32 s1, s13, s9
	s_lshl_b64 s[14:15], s[20:21], 2
	s_add_u32 s8, s0, s14
	s_addc_u32 s3, s1, s15
	s_and_b32 s9, s3, 0xffff
	s_mul_i32 s3, s2, s21
	s_mul_hi_u32 s12, s2, s20
	s_add_i32 s3, s12, s3
	s_mul_i32 s2, s2, s20
	s_and_b32 s1, s1, 0xffff
	s_lshl_b64 s[2:3], s[2:3], 3
	s_add_u32 s12, s10, s2
	s_addc_u32 s2, s11, s3
	s_add_u32 s16, s12, s14
	s_mov_b32 s7, 0x20000
	s_addc_u32 s3, s2, s15
	s_and_b32 s13, s2, 0xffff
	s_and_b32 s2, s18, 0xffff
	;; [unrolled: 1-line block ×3, first 2 shown]
	s_mov_b32 s23, 0
	v_mov_b32_e32 v17, 0
	s_lshl_b32 s22, s2, 2
	v_lshlrev_b32_e32 v18, 4, v0
	s_lshl_b32 s26, s2, 4
	s_mov_b64 s[24:25], 0
	s_mov_b32 s11, s7
	s_mov_b32 s10, s6
	;; [unrolled: 1-line block ×7, first 2 shown]
	v_mov_b32_e32 v19, 0x7f800000
	s_mov_b32 s30, 0xc0e00000
	v_mov_b32_e32 v20, 0x40e00000
	s_mov_b32 s18, s6
	s_mov_b32 s19, s7
	;; [unrolled: 1-line block ×4, first 2 shown]
.LBB310_8:                              ; =>This Inner Loop Header: Depth=1
	buffer_load_dwordx4 v[4:7], v18, s[0:3], 0 offen
	buffer_load_dwordx4 v[8:11], v18, s[12:15], 0 offen
	;; [unrolled: 1-line block ×4, first 2 shown]
	v_lshl_add_u64 v[16:17], s[22:23], 0, v[16:17]
	v_cmp_le_i64_e32 vcc, s[20:21], v[16:17]
	s_or_b64 s[24:25], vcc, s[24:25]
	s_waitcnt vmcnt(2)
	v_pk_add_f32 v[4:5], v[8:9], v[4:5]
	s_nop 0
	v_min_f32_e32 v4, 0x40e00000, v4
	v_pk_add_f32 v[6:7], v[10:11], v[6:7]
	v_min_f32_e32 v5, 0x40e00000, v5
	v_mul_f32_e32 v8, 0xbfd9db23, v4
	s_waitcnt vmcnt(0)
	v_pk_add_f32 v[0:1], v[0:1], v[12:13]
	v_min_f32_e32 v6, 0x40e00000, v6
	v_mul_f32_e32 v9, 0xbfd9db23, v5
	v_mul_f32_e32 v12, 0x3fb8aa3b, v8
	v_min_f32_e32 v7, 0x40e00000, v7
	v_mul_f32_e32 v10, 0xbfd9db23, v6
	v_mul_f32_e32 v13, 0x3fb8aa3b, v9
	v_fma_f32 v21, v8, s27, -v12
	v_rndne_f32_e32 v22, v12
	v_pk_add_f32 v[2:3], v[2:3], v[14:15]
	v_mul_f32_e32 v11, 0xbfd9db23, v7
	v_mul_f32_e32 v14, 0x3fb8aa3b, v10
	v_fma_f32 v23, v9, s27, -v13
	v_rndne_f32_e32 v24, v13
	v_fmac_f32_e32 v21, 0x32a5705f, v8
	v_sub_f32_e32 v12, v12, v22
	v_mul_f32_e32 v15, 0x3fb8aa3b, v11
	v_fma_f32 v25, v10, s27, -v14
	v_rndne_f32_e32 v26, v14
	v_fmac_f32_e32 v23, 0x32a5705f, v9
	v_sub_f32_e32 v13, v13, v24
	v_add_f32_e32 v12, v12, v21
	v_fma_f32 v27, v11, s27, -v15
	v_rndne_f32_e32 v28, v15
	v_cvt_i32_f32_e32 v22, v22
	v_fmac_f32_e32 v25, 0x32a5705f, v10
	v_sub_f32_e32 v14, v14, v26
	v_add_f32_e32 v13, v13, v23
	v_exp_f32_e32 v12, v12
	v_cvt_i32_f32_e32 v24, v24
	v_fmac_f32_e32 v27, 0x32a5705f, v11
	v_sub_f32_e32 v15, v15, v28
	v_add_f32_e32 v14, v14, v25
	v_exp_f32_e32 v13, v13
	v_cvt_i32_f32_e32 v26, v26
	v_add_f32_e32 v15, v15, v27
	v_exp_f32_e32 v14, v14
	v_cvt_i32_f32_e32 v28, v28
	v_exp_f32_e32 v15, v15
	v_ldexp_f32 v12, v12, v22
	v_cmp_ngt_f32_e32 vcc, s28, v8
	v_ldexp_f32 v13, v13, v24
	v_ldexp_f32 v14, v14, v26
	v_cndmask_b32_e32 v12, 0, v12, vcc
	v_cmp_ngt_f32_e32 vcc, s28, v9
	v_ldexp_f32 v15, v15, v28
	v_med3_f32 v3, v3, s30, v20
	v_cndmask_b32_e32 v13, 0, v13, vcc
	v_cmp_ngt_f32_e32 vcc, s28, v10
	v_med3_f32 v2, v2, s30, v20
	v_med3_f32 v1, v1, s30, v20
	v_cndmask_b32_e32 v14, 0, v14, vcc
	v_cmp_ngt_f32_e32 vcc, s28, v11
	v_med3_f32 v0, v0, s30, v20
	v_pk_add_f32 v[2:3], v[2:3], 1.0 op_sel_hi:[1,0]
	v_cndmask_b32_e32 v15, 0, v15, vcc
	v_cmp_nlt_f32_e32 vcc, s29, v8
	v_pk_add_f32 v[0:1], v[0:1], 1.0 op_sel_hi:[1,0]
	s_nop 0
	v_cndmask_b32_e32 v8, v19, v12, vcc
	v_cmp_nlt_f32_e32 vcc, s29, v9
	v_add_f32_e32 v8, 1.0, v8
	v_rcp_f32_e32 v8, v8
	v_cndmask_b32_e32 v9, v19, v13, vcc
	v_cmp_nlt_f32_e32 vcc, s29, v10
	v_add_f32_e32 v9, 1.0, v9
	v_rcp_f32_e32 v9, v9
	v_cndmask_b32_e32 v10, v19, v14, vcc
	v_cmp_nlt_f32_e32 vcc, s29, v11
	v_add_f32_e32 v10, 1.0, v10
	v_rcp_f32_e32 v10, v10
	v_cndmask_b32_e32 v11, v19, v15, vcc
	v_add_f32_e32 v11, 1.0, v11
	v_rcp_f32_e32 v11, v11
	v_pk_mul_f32 v[4:5], v[4:5], v[8:9]
	v_pk_mul_f32 v[6:7], v[6:7], v[10:11]
	s_nop 0
	v_pk_mul_f32 v[2:3], v[2:3], v[6:7]
	v_pk_mul_f32 v[0:1], v[0:1], v[4:5]
	buffer_store_dwordx4 v[0:3], v18, s[4:7], 0 offen
	v_add_u32_e32 v18, s26, v18
	s_andn2_b64 exec, exec, s[24:25]
	s_cbranch_execnz .LBB310_8
.LBB310_9:
	s_endpgm
	.section	.rodata,"a",@progbits
	.p2align	6, 0x0
	.amdhsa_kernel _ZN5aiter30swiglu_act_and_mul_bias_kernelIffifLi4EEEvPT0_PKT_PKT1_PKT2_il
		.amdhsa_group_segment_fixed_size 0
		.amdhsa_private_segment_fixed_size 0
		.amdhsa_kernarg_size 304
		.amdhsa_user_sgpr_count 2
		.amdhsa_user_sgpr_dispatch_ptr 0
		.amdhsa_user_sgpr_queue_ptr 0
		.amdhsa_user_sgpr_kernarg_segment_ptr 1
		.amdhsa_user_sgpr_dispatch_id 0
		.amdhsa_user_sgpr_kernarg_preload_length 0
		.amdhsa_user_sgpr_kernarg_preload_offset 0
		.amdhsa_user_sgpr_private_segment_size 0
		.amdhsa_uses_dynamic_stack 0
		.amdhsa_enable_private_segment 0
		.amdhsa_system_sgpr_workgroup_id_x 1
		.amdhsa_system_sgpr_workgroup_id_y 0
		.amdhsa_system_sgpr_workgroup_id_z 0
		.amdhsa_system_sgpr_workgroup_info 0
		.amdhsa_system_vgpr_workitem_id 0
		.amdhsa_next_free_vgpr 29
		.amdhsa_next_free_sgpr 31
		.amdhsa_accum_offset 32
		.amdhsa_reserve_vcc 1
		.amdhsa_float_round_mode_32 0
		.amdhsa_float_round_mode_16_64 0
		.amdhsa_float_denorm_mode_32 3
		.amdhsa_float_denorm_mode_16_64 3
		.amdhsa_dx10_clamp 1
		.amdhsa_ieee_mode 1
		.amdhsa_fp16_overflow 0
		.amdhsa_tg_split 0
		.amdhsa_exception_fp_ieee_invalid_op 0
		.amdhsa_exception_fp_denorm_src 0
		.amdhsa_exception_fp_ieee_div_zero 0
		.amdhsa_exception_fp_ieee_overflow 0
		.amdhsa_exception_fp_ieee_underflow 0
		.amdhsa_exception_fp_ieee_inexact 0
		.amdhsa_exception_int_div_zero 0
	.end_amdhsa_kernel
	.section	.text._ZN5aiter30swiglu_act_and_mul_bias_kernelIffifLi4EEEvPT0_PKT_PKT1_PKT2_il,"axG",@progbits,_ZN5aiter30swiglu_act_and_mul_bias_kernelIffifLi4EEEvPT0_PKT_PKT1_PKT2_il,comdat
.Lfunc_end310:
	.size	_ZN5aiter30swiglu_act_and_mul_bias_kernelIffifLi4EEEvPT0_PKT_PKT1_PKT2_il, .Lfunc_end310-_ZN5aiter30swiglu_act_and_mul_bias_kernelIffifLi4EEEvPT0_PKT_PKT1_PKT2_il
                                        ; -- End function
	.section	.AMDGPU.csdata,"",@progbits
; Kernel info:
; codeLenInByte = 1116
; NumSgprs: 37
; NumVgprs: 29
; NumAgprs: 0
; TotalNumVgprs: 29
; ScratchSize: 0
; MemoryBound: 0
; FloatMode: 240
; IeeeMode: 1
; LDSByteSize: 0 bytes/workgroup (compile time only)
; SGPRBlocks: 4
; VGPRBlocks: 3
; NumSGPRsForWavesPerEU: 37
; NumVGPRsForWavesPerEU: 29
; AccumOffset: 32
; Occupancy: 8
; WaveLimiterHint : 0
; COMPUTE_PGM_RSRC2:SCRATCH_EN: 0
; COMPUTE_PGM_RSRC2:USER_SGPR: 2
; COMPUTE_PGM_RSRC2:TRAP_HANDLER: 0
; COMPUTE_PGM_RSRC2:TGID_X_EN: 1
; COMPUTE_PGM_RSRC2:TGID_Y_EN: 0
; COMPUTE_PGM_RSRC2:TGID_Z_EN: 0
; COMPUTE_PGM_RSRC2:TIDIG_COMP_CNT: 0
; COMPUTE_PGM_RSRC3_GFX90A:ACCUM_OFFSET: 7
; COMPUTE_PGM_RSRC3_GFX90A:TG_SPLIT: 0
	.section	.text._ZN5aiter30swiglu_act_and_mul_bias_kernelIffifLi2EEEvPT0_PKT_PKT1_PKT2_il,"axG",@progbits,_ZN5aiter30swiglu_act_and_mul_bias_kernelIffifLi2EEEvPT0_PKT_PKT1_PKT2_il,comdat
	.protected	_ZN5aiter30swiglu_act_and_mul_bias_kernelIffifLi2EEEvPT0_PKT_PKT1_PKT2_il ; -- Begin function _ZN5aiter30swiglu_act_and_mul_bias_kernelIffifLi2EEEvPT0_PKT_PKT1_PKT2_il
	.globl	_ZN5aiter30swiglu_act_and_mul_bias_kernelIffifLi2EEEvPT0_PKT_PKT1_PKT2_il
	.p2align	8
	.type	_ZN5aiter30swiglu_act_and_mul_bias_kernelIffifLi2EEEvPT0_PKT_PKT1_PKT2_il,@function
_ZN5aiter30swiglu_act_and_mul_bias_kernelIffifLi2EEEvPT0_PKT_PKT1_PKT2_il: ; @_ZN5aiter30swiglu_act_and_mul_bias_kernelIffifLi2EEEvPT0_PKT_PKT1_PKT2_il
; %bb.0:
	s_load_dword s20, s[0:1], 0x20
	s_load_dwordx2 s[4:5], s[0:1], 0x10
	s_load_dwordx2 s[12:13], s[0:1], 0x28
	s_mov_b32 s3, 0
	s_lshl_b64 s[6:7], s[2:3], 2
	s_waitcnt lgkmcnt(0)
	s_ashr_i32 s21, s20, 31
	s_add_u32 s4, s4, s6
	s_addc_u32 s5, s5, s7
	s_load_dword s8, s[4:5], 0x0
	s_load_dwordx2 s[14:15], s[0:1], 0x0
	s_mul_hi_u32 s3, s20, s2
	s_mul_i32 s4, s21, s2
	s_add_i32 s5, s3, s4
	s_mul_i32 s4, s20, s2
	s_waitcnt lgkmcnt(0)
	s_ashr_i32 s9, s8, 31
	s_lshl_b32 s6, s20, 2
	s_lshl_b64 s[4:5], s[4:5], 2
	v_mov_b64_e32 v[2:3], s[12:13]
	v_cmp_gt_i64_e64 s[16:17], s[8:9], -1
	s_add_u32 s4, s14, s4
	v_cmp_lt_i64_e32 vcc, s[8:9], v[2:3]
	s_addc_u32 s3, s15, s5
	s_and_b64 s[12:13], s[16:17], vcc
	s_mov_b64 s[10:11], -1
	s_and_b32 s5, s3, 0xffff
	s_and_b64 vcc, exec, s[12:13]
	v_lshlrev_b32_e32 v2, 1, v0
	s_cbranch_vccnz .LBB311_5
; %bb.1:
	v_cmp_gt_i32_e32 vcc, s20, v2
	s_and_saveexec_b64 s[10:11], vcc
	s_cbranch_execz .LBB311_4
; %bb.2:
	s_load_dword s3, s[0:1], 0x3c
	v_mov_b32_e32 v3, 0
	s_mov_b32 s13, 0
	v_lshlrev_b32_e32 v1, 3, v0
	s_mov_b64 s[14:15], 0
	s_waitcnt lgkmcnt(0)
	s_and_b32 s3, s3, 0xffff
	s_lshl_b32 s12, s3, 1
	s_lshl_b32 s3, s3, 3
	s_mov_b32 s7, 0x20000
	v_mov_b32_e32 v4, v3
	v_mov_b32_e32 v5, v3
	v_mov_b64_e32 v[6:7], v[2:3]
.LBB311_3:                              ; =>This Inner Loop Header: Depth=1
	v_lshl_add_u64 v[6:7], s[12:13], 0, v[6:7]
	v_cmp_le_i64_e32 vcc, s[20:21], v[6:7]
	buffer_store_dwordx2 v[4:5], v1, s[4:7], 0 offen
	s_or_b64 s[14:15], vcc, s[14:15]
	v_add_u32_e32 v1, s3, v1
	s_andn2_b64 exec, exec, s[14:15]
	s_cbranch_execnz .LBB311_3
.LBB311_4:
	s_or_b64 exec, exec, s[10:11]
	s_mov_b64 s[10:11], 0
.LBB311_5:
	s_andn2_b64 vcc, exec, s[10:11]
	s_cbranch_vccnz .LBB311_9
; %bb.6:
	v_cmp_gt_i32_e32 vcc, s20, v2
	s_and_saveexec_b64 s[10:11], vcc
	s_cbranch_execz .LBB311_9
; %bb.7:
	s_load_dwordx2 s[10:11], s[0:1], 0x8
	s_load_dwordx2 s[12:13], s[0:1], 0x18
	s_mul_hi_i32 s9, s20, s8
	s_mul_i32 s8, s20, s8
	s_lshl_b64 s[8:9], s[8:9], 3
	s_load_dword s18, s[0:1], 0x3c
	s_waitcnt lgkmcnt(0)
	s_add_u32 s0, s12, s8
	s_addc_u32 s1, s13, s9
	s_lshl_b64 s[14:15], s[20:21], 2
	s_add_u32 s8, s0, s14
	s_addc_u32 s3, s1, s15
	s_and_b32 s9, s3, 0xffff
	s_mul_i32 s3, s2, s21
	s_mul_hi_u32 s12, s2, s20
	s_add_i32 s3, s12, s3
	s_mul_i32 s2, s2, s20
	s_and_b32 s1, s1, 0xffff
	s_lshl_b64 s[2:3], s[2:3], 3
	s_add_u32 s12, s10, s2
	s_addc_u32 s2, s11, s3
	s_add_u32 s16, s12, s14
	s_mov_b32 s7, 0x20000
	s_addc_u32 s3, s2, s15
	s_and_b32 s13, s2, 0xffff
	s_and_b32 s2, s18, 0xffff
	;; [unrolled: 1-line block ×3, first 2 shown]
	s_mov_b32 s23, 0
	v_mov_b32_e32 v3, 0
	s_lshl_b32 s22, s2, 1
	v_lshlrev_b32_e32 v0, 3, v0
	s_lshl_b32 s26, s2, 3
	s_mov_b64 s[24:25], 0
	s_mov_b32 s11, s7
	s_mov_b32 s10, s6
	;; [unrolled: 1-line block ×7, first 2 shown]
	v_mov_b32_e32 v1, 0x7f800000
	s_mov_b32 s30, 0xc0e00000
	v_mov_b32_e32 v4, 0x40e00000
	s_mov_b32 s18, s6
	s_mov_b32 s19, s7
	;; [unrolled: 1-line block ×4, first 2 shown]
.LBB311_8:                              ; =>This Inner Loop Header: Depth=1
	buffer_load_dwordx2 v[6:7], v0, s[0:3], 0 offen
	buffer_load_dwordx2 v[8:9], v0, s[12:15], 0 offen
	;; [unrolled: 1-line block ×4, first 2 shown]
	v_lshl_add_u64 v[2:3], s[22:23], 0, v[2:3]
	v_cmp_le_i64_e32 vcc, s[20:21], v[2:3]
	s_or_b64 s[24:25], vcc, s[24:25]
	s_waitcnt vmcnt(2)
	v_pk_add_f32 v[6:7], v[8:9], v[6:7]
	s_nop 0
	v_min_f32_e32 v6, 0x40e00000, v6
	v_min_f32_e32 v7, 0x40e00000, v7
	v_mul_f32_e32 v5, 0xbfd9db23, v6
	v_mul_f32_e32 v14, 0xbfd9db23, v7
	v_mul_f32_e32 v8, 0x3fb8aa3b, v5
	v_mul_f32_e32 v9, 0x3fb8aa3b, v14
	v_fma_f32 v15, v5, s27, -v8
	v_rndne_f32_e32 v16, v8
	v_fma_f32 v17, v14, s27, -v9
	v_rndne_f32_e32 v18, v9
	v_fmac_f32_e32 v15, 0x32a5705f, v5
	v_sub_f32_e32 v8, v8, v16
	v_fmac_f32_e32 v17, 0x32a5705f, v14
	v_sub_f32_e32 v9, v9, v18
	v_add_f32_e32 v8, v8, v15
	v_cvt_i32_f32_e32 v16, v16
	v_add_f32_e32 v9, v9, v17
	v_exp_f32_e32 v15, v8
	v_cvt_i32_f32_e32 v18, v18
	v_exp_f32_e32 v17, v9
	s_waitcnt vmcnt(0)
	v_pk_add_f32 v[8:9], v[10:11], v[12:13]
	v_ldexp_f32 v10, v15, v16
	v_cmp_ngt_f32_e32 vcc, s28, v5
	v_ldexp_f32 v11, v17, v18
	v_med3_f32 v9, v9, s30, v4
	v_cndmask_b32_e32 v10, 0, v10, vcc
	v_cmp_ngt_f32_e32 vcc, s28, v14
	v_med3_f32 v8, v8, s30, v4
	v_pk_add_f32 v[8:9], v[8:9], 1.0 op_sel_hi:[1,0]
	v_cndmask_b32_e32 v11, 0, v11, vcc
	v_cmp_nlt_f32_e32 vcc, s29, v5
	s_nop 1
	v_cndmask_b32_e32 v5, v1, v10, vcc
	v_cmp_nlt_f32_e32 vcc, s29, v14
	v_add_f32_e32 v5, 1.0, v5
	s_nop 0
	v_cndmask_b32_e32 v10, v1, v11, vcc
	v_add_f32_e32 v11, 1.0, v10
	v_rcp_f32_e32 v10, v5
	v_rcp_f32_e32 v11, v11
	s_nop 0
	v_pk_mul_f32 v[6:7], v[6:7], v[10:11]
	s_nop 0
	v_pk_mul_f32 v[6:7], v[8:9], v[6:7]
	buffer_store_dwordx2 v[6:7], v0, s[4:7], 0 offen
	v_add_u32_e32 v0, s26, v0
	s_andn2_b64 exec, exec, s[24:25]
	s_cbranch_execnz .LBB311_8
.LBB311_9:
	s_endpgm
	.section	.rodata,"a",@progbits
	.p2align	6, 0x0
	.amdhsa_kernel _ZN5aiter30swiglu_act_and_mul_bias_kernelIffifLi2EEEvPT0_PKT_PKT1_PKT2_il
		.amdhsa_group_segment_fixed_size 0
		.amdhsa_private_segment_fixed_size 0
		.amdhsa_kernarg_size 304
		.amdhsa_user_sgpr_count 2
		.amdhsa_user_sgpr_dispatch_ptr 0
		.amdhsa_user_sgpr_queue_ptr 0
		.amdhsa_user_sgpr_kernarg_segment_ptr 1
		.amdhsa_user_sgpr_dispatch_id 0
		.amdhsa_user_sgpr_kernarg_preload_length 0
		.amdhsa_user_sgpr_kernarg_preload_offset 0
		.amdhsa_user_sgpr_private_segment_size 0
		.amdhsa_uses_dynamic_stack 0
		.amdhsa_enable_private_segment 0
		.amdhsa_system_sgpr_workgroup_id_x 1
		.amdhsa_system_sgpr_workgroup_id_y 0
		.amdhsa_system_sgpr_workgroup_id_z 0
		.amdhsa_system_sgpr_workgroup_info 0
		.amdhsa_system_vgpr_workitem_id 0
		.amdhsa_next_free_vgpr 19
		.amdhsa_next_free_sgpr 31
		.amdhsa_accum_offset 20
		.amdhsa_reserve_vcc 1
		.amdhsa_float_round_mode_32 0
		.amdhsa_float_round_mode_16_64 0
		.amdhsa_float_denorm_mode_32 3
		.amdhsa_float_denorm_mode_16_64 3
		.amdhsa_dx10_clamp 1
		.amdhsa_ieee_mode 1
		.amdhsa_fp16_overflow 0
		.amdhsa_tg_split 0
		.amdhsa_exception_fp_ieee_invalid_op 0
		.amdhsa_exception_fp_denorm_src 0
		.amdhsa_exception_fp_ieee_div_zero 0
		.amdhsa_exception_fp_ieee_overflow 0
		.amdhsa_exception_fp_ieee_underflow 0
		.amdhsa_exception_fp_ieee_inexact 0
		.amdhsa_exception_int_div_zero 0
	.end_amdhsa_kernel
	.section	.text._ZN5aiter30swiglu_act_and_mul_bias_kernelIffifLi2EEEvPT0_PKT_PKT1_PKT2_il,"axG",@progbits,_ZN5aiter30swiglu_act_and_mul_bias_kernelIffifLi2EEEvPT0_PKT_PKT1_PKT2_il,comdat
.Lfunc_end311:
	.size	_ZN5aiter30swiglu_act_and_mul_bias_kernelIffifLi2EEEvPT0_PKT_PKT1_PKT2_il, .Lfunc_end311-_ZN5aiter30swiglu_act_and_mul_bias_kernelIffifLi2EEEvPT0_PKT_PKT1_PKT2_il
                                        ; -- End function
	.section	.AMDGPU.csdata,"",@progbits
; Kernel info:
; codeLenInByte = 876
; NumSgprs: 37
; NumVgprs: 19
; NumAgprs: 0
; TotalNumVgprs: 19
; ScratchSize: 0
; MemoryBound: 0
; FloatMode: 240
; IeeeMode: 1
; LDSByteSize: 0 bytes/workgroup (compile time only)
; SGPRBlocks: 4
; VGPRBlocks: 2
; NumSGPRsForWavesPerEU: 37
; NumVGPRsForWavesPerEU: 19
; AccumOffset: 20
; Occupancy: 8
; WaveLimiterHint : 0
; COMPUTE_PGM_RSRC2:SCRATCH_EN: 0
; COMPUTE_PGM_RSRC2:USER_SGPR: 2
; COMPUTE_PGM_RSRC2:TRAP_HANDLER: 0
; COMPUTE_PGM_RSRC2:TGID_X_EN: 1
; COMPUTE_PGM_RSRC2:TGID_Y_EN: 0
; COMPUTE_PGM_RSRC2:TGID_Z_EN: 0
; COMPUTE_PGM_RSRC2:TIDIG_COMP_CNT: 0
; COMPUTE_PGM_RSRC3_GFX90A:ACCUM_OFFSET: 4
; COMPUTE_PGM_RSRC3_GFX90A:TG_SPLIT: 0
	.section	.text._ZN5aiter30swiglu_act_and_mul_bias_kernelIffifLi1EEEvPT0_PKT_PKT1_PKT2_il,"axG",@progbits,_ZN5aiter30swiglu_act_and_mul_bias_kernelIffifLi1EEEvPT0_PKT_PKT1_PKT2_il,comdat
	.protected	_ZN5aiter30swiglu_act_and_mul_bias_kernelIffifLi1EEEvPT0_PKT_PKT1_PKT2_il ; -- Begin function _ZN5aiter30swiglu_act_and_mul_bias_kernelIffifLi1EEEvPT0_PKT_PKT1_PKT2_il
	.globl	_ZN5aiter30swiglu_act_and_mul_bias_kernelIffifLi1EEEvPT0_PKT_PKT1_PKT2_il
	.p2align	8
	.type	_ZN5aiter30swiglu_act_and_mul_bias_kernelIffifLi1EEEvPT0_PKT_PKT1_PKT2_il,@function
_ZN5aiter30swiglu_act_and_mul_bias_kernelIffifLi1EEEvPT0_PKT_PKT1_PKT2_il: ; @_ZN5aiter30swiglu_act_and_mul_bias_kernelIffifLi1EEEvPT0_PKT_PKT1_PKT2_il
; %bb.0:
	s_load_dword s20, s[0:1], 0x20
	s_load_dwordx2 s[4:5], s[0:1], 0x10
	s_load_dwordx2 s[14:15], s[0:1], 0x28
	s_mov_b32 s3, 0
	s_lshl_b64 s[6:7], s[2:3], 2
	s_waitcnt lgkmcnt(0)
	s_ashr_i32 s21, s20, 31
	s_add_u32 s4, s4, s6
	s_addc_u32 s5, s5, s7
	s_load_dword s6, s[4:5], 0x0
	s_load_dwordx2 s[8:9], s[0:1], 0x0
	s_mul_hi_u32 s3, s20, s2
	s_mul_i32 s11, s21, s2
	s_add_i32 s17, s3, s11
	s_mul_i32 s16, s20, s2
	s_waitcnt lgkmcnt(0)
	s_ashr_i32 s7, s6, 31
	s_lshl_b32 s10, s20, 2
	s_lshl_b64 s[16:17], s[16:17], 2
	v_mov_b64_e32 v[2:3], s[14:15]
	v_cmp_gt_i64_e64 s[4:5], s[6:7], -1
	s_add_u32 s8, s8, s16
	v_cmp_lt_i64_e32 vcc, s[6:7], v[2:3]
	s_addc_u32 s3, s9, s17
	s_and_b64 s[4:5], s[4:5], vcc
	s_mov_b64 s[12:13], -1
	s_and_b32 s9, s3, 0xffff
	s_and_b64 vcc, exec, s[4:5]
	v_cmp_gt_i32_e64 s[4:5], s20, v0
	s_cbranch_vccnz .LBB312_5
; %bb.1:
	s_and_saveexec_b64 s[12:13], s[4:5]
	s_cbranch_execz .LBB312_4
; %bb.2:
	s_load_dword s3, s[0:1], 0x3c
	v_mov_b32_e32 v1, 0
	s_mov_b32 s5, 0
	v_lshlrev_b32_e32 v4, 2, v0
	s_mov_b64 s[14:15], 0
	s_waitcnt lgkmcnt(0)
	s_and_b32 s4, s3, 0xffff
	s_lshl_b32 s3, s4, 2
	s_mov_b32 s11, 0x20000
	v_mov_b64_e32 v[2:3], v[0:1]
.LBB312_3:                              ; =>This Inner Loop Header: Depth=1
	v_lshl_add_u64 v[2:3], v[2:3], 0, s[4:5]
	v_cmp_le_i64_e32 vcc, s[20:21], v[2:3]
	buffer_store_dword v1, v4, s[8:11], 0 offen
	s_or_b64 s[14:15], vcc, s[14:15]
	v_add_u32_e32 v4, s3, v4
	s_andn2_b64 exec, exec, s[14:15]
	s_cbranch_execnz .LBB312_3
.LBB312_4:
	s_or_b64 exec, exec, s[12:13]
	s_mov_b64 s[12:13], 0
.LBB312_5:
	s_andn2_b64 vcc, exec, s[12:13]
	s_cbranch_vccnz .LBB312_9
; %bb.6:
	v_cmp_gt_i32_e32 vcc, s20, v0
	s_and_saveexec_b64 s[4:5], vcc
	s_cbranch_execz .LBB312_9
; %bb.7:
	s_load_dwordx2 s[12:13], s[0:1], 0x8
	s_load_dwordx2 s[4:5], s[0:1], 0x18
	s_mul_hi_i32 s7, s20, s6
	s_mul_i32 s6, s20, s6
	s_lshl_b64 s[6:7], s[6:7], 3
	s_load_dword s14, s[0:1], 0x3c
	s_waitcnt lgkmcnt(0)
	s_add_u32 s0, s4, s6
	s_addc_u32 s1, s5, s7
	s_lshl_b64 s[6:7], s[20:21], 2
	s_add_u32 s4, s0, s6
	s_addc_u32 s3, s1, s7
	s_and_b32 s5, s3, 0xffff
	s_mul_i32 s3, s2, s21
	s_mul_hi_u32 s15, s2, s20
	s_add_i32 s3, s15, s3
	s_mul_i32 s2, s2, s20
	s_and_b32 s1, s1, 0xffff
	s_lshl_b64 s[2:3], s[2:3], 3
	s_add_u32 s12, s12, s2
	s_addc_u32 s2, s13, s3
	s_add_u32 s16, s12, s6
	s_mov_b32 s11, 0x20000
	s_addc_u32 s3, s2, s7
	s_and_b32 s22, s14, 0xffff
	s_and_b32 s13, s2, 0xffff
	;; [unrolled: 1-line block ×3, first 2 shown]
	s_mov_b32 s23, 0
	v_mov_b32_e32 v1, 0
	v_lshlrev_b32_e32 v2, 2, v0
	s_lshl_b32 s26, s22, 2
	s_mov_b64 s[24:25], 0
	s_mov_b32 s7, s11
	s_mov_b32 s6, s10
	;; [unrolled: 1-line block ×7, first 2 shown]
	v_mov_b32_e32 v3, 0x7f800000
	s_mov_b32 s18, s10
	s_mov_b32 s19, s11
	;; [unrolled: 1-line block ×4, first 2 shown]
.LBB312_8:                              ; =>This Inner Loop Header: Depth=1
	buffer_load_dword v4, v2, s[0:3], 0 offen
	buffer_load_dword v5, v2, s[12:15], 0 offen
	;; [unrolled: 1-line block ×4, first 2 shown]
	v_lshl_add_u64 v[0:1], v[0:1], 0, s[22:23]
	v_cmp_le_i64_e32 vcc, s[20:21], v[0:1]
	s_or_b64 s[24:25], vcc, s[24:25]
	s_waitcnt vmcnt(2)
	v_add_f32_e32 v4, v5, v4
	v_min_f32_e32 v4, 0x40e00000, v4
	v_mul_f32_e32 v5, 0xbfd9db23, v4
	v_mul_f32_e32 v8, 0x3fb8aa3b, v5
	v_fma_f32 v9, v5, s27, -v8
	v_rndne_f32_e32 v10, v8
	v_fmac_f32_e32 v9, 0x32a5705f, v5
	v_sub_f32_e32 v8, v8, v10
	v_add_f32_e32 v8, v8, v9
	v_cvt_i32_f32_e32 v10, v10
	v_exp_f32_e32 v8, v8
	s_waitcnt vmcnt(0)
	v_add_f32_e32 v6, v6, v7
	v_cmp_ngt_f32_e32 vcc, s28, v5
	v_max_f32_e32 v6, 0xc0e00000, v6
	v_ldexp_f32 v7, v8, v10
	v_cndmask_b32_e32 v7, 0, v7, vcc
	v_cmp_nlt_f32_e32 vcc, s29, v5
	v_min_f32_e32 v6, 0x40e00000, v6
	v_add_f32_e32 v6, 1.0, v6
	v_cndmask_b32_e32 v5, v3, v7, vcc
	v_add_f32_e32 v5, 1.0, v5
	v_rcp_f32_e32 v5, v5
	s_nop 0
	v_mul_f32_e32 v4, v4, v5
	v_mul_f32_e32 v4, v6, v4
	buffer_store_dword v4, v2, s[8:11], 0 offen
	v_add_u32_e32 v2, s26, v2
	s_andn2_b64 exec, exec, s[24:25]
	s_cbranch_execnz .LBB312_8
.LBB312_9:
	s_endpgm
	.section	.rodata,"a",@progbits
	.p2align	6, 0x0
	.amdhsa_kernel _ZN5aiter30swiglu_act_and_mul_bias_kernelIffifLi1EEEvPT0_PKT_PKT1_PKT2_il
		.amdhsa_group_segment_fixed_size 0
		.amdhsa_private_segment_fixed_size 0
		.amdhsa_kernarg_size 304
		.amdhsa_user_sgpr_count 2
		.amdhsa_user_sgpr_dispatch_ptr 0
		.amdhsa_user_sgpr_queue_ptr 0
		.amdhsa_user_sgpr_kernarg_segment_ptr 1
		.amdhsa_user_sgpr_dispatch_id 0
		.amdhsa_user_sgpr_kernarg_preload_length 0
		.amdhsa_user_sgpr_kernarg_preload_offset 0
		.amdhsa_user_sgpr_private_segment_size 0
		.amdhsa_uses_dynamic_stack 0
		.amdhsa_enable_private_segment 0
		.amdhsa_system_sgpr_workgroup_id_x 1
		.amdhsa_system_sgpr_workgroup_id_y 0
		.amdhsa_system_sgpr_workgroup_id_z 0
		.amdhsa_system_sgpr_workgroup_info 0
		.amdhsa_system_vgpr_workitem_id 0
		.amdhsa_next_free_vgpr 11
		.amdhsa_next_free_sgpr 30
		.amdhsa_accum_offset 12
		.amdhsa_reserve_vcc 1
		.amdhsa_float_round_mode_32 0
		.amdhsa_float_round_mode_16_64 0
		.amdhsa_float_denorm_mode_32 3
		.amdhsa_float_denorm_mode_16_64 3
		.amdhsa_dx10_clamp 1
		.amdhsa_ieee_mode 1
		.amdhsa_fp16_overflow 0
		.amdhsa_tg_split 0
		.amdhsa_exception_fp_ieee_invalid_op 0
		.amdhsa_exception_fp_denorm_src 0
		.amdhsa_exception_fp_ieee_div_zero 0
		.amdhsa_exception_fp_ieee_overflow 0
		.amdhsa_exception_fp_ieee_underflow 0
		.amdhsa_exception_fp_ieee_inexact 0
		.amdhsa_exception_int_div_zero 0
	.end_amdhsa_kernel
	.section	.text._ZN5aiter30swiglu_act_and_mul_bias_kernelIffifLi1EEEvPT0_PKT_PKT1_PKT2_il,"axG",@progbits,_ZN5aiter30swiglu_act_and_mul_bias_kernelIffifLi1EEEvPT0_PKT_PKT1_PKT2_il,comdat
.Lfunc_end312:
	.size	_ZN5aiter30swiglu_act_and_mul_bias_kernelIffifLi1EEEvPT0_PKT_PKT1_PKT2_il, .Lfunc_end312-_ZN5aiter30swiglu_act_and_mul_bias_kernelIffifLi1EEEvPT0_PKT_PKT1_PKT2_il
                                        ; -- End function
	.section	.AMDGPU.csdata,"",@progbits
; Kernel info:
; codeLenInByte = 716
; NumSgprs: 36
; NumVgprs: 11
; NumAgprs: 0
; TotalNumVgprs: 11
; ScratchSize: 0
; MemoryBound: 0
; FloatMode: 240
; IeeeMode: 1
; LDSByteSize: 0 bytes/workgroup (compile time only)
; SGPRBlocks: 4
; VGPRBlocks: 1
; NumSGPRsForWavesPerEU: 36
; NumVGPRsForWavesPerEU: 11
; AccumOffset: 12
; Occupancy: 8
; WaveLimiterHint : 0
; COMPUTE_PGM_RSRC2:SCRATCH_EN: 0
; COMPUTE_PGM_RSRC2:USER_SGPR: 2
; COMPUTE_PGM_RSRC2:TRAP_HANDLER: 0
; COMPUTE_PGM_RSRC2:TGID_X_EN: 1
; COMPUTE_PGM_RSRC2:TGID_Y_EN: 0
; COMPUTE_PGM_RSRC2:TGID_Z_EN: 0
; COMPUTE_PGM_RSRC2:TIDIG_COMP_CNT: 0
; COMPUTE_PGM_RSRC3_GFX90A:ACCUM_OFFSET: 2
; COMPUTE_PGM_RSRC3_GFX90A:TG_SPLIT: 0
	.section	.text._ZN5aiter30swiglu_act_and_mul_bias_kernelIDF16_DF16_ifLi32EEEvPT0_PKT_PKT1_PKT2_il,"axG",@progbits,_ZN5aiter30swiglu_act_and_mul_bias_kernelIDF16_DF16_ifLi32EEEvPT0_PKT_PKT1_PKT2_il,comdat
	.protected	_ZN5aiter30swiglu_act_and_mul_bias_kernelIDF16_DF16_ifLi32EEEvPT0_PKT_PKT1_PKT2_il ; -- Begin function _ZN5aiter30swiglu_act_and_mul_bias_kernelIDF16_DF16_ifLi32EEEvPT0_PKT_PKT1_PKT2_il
	.globl	_ZN5aiter30swiglu_act_and_mul_bias_kernelIDF16_DF16_ifLi32EEEvPT0_PKT_PKT1_PKT2_il
	.p2align	8
	.type	_ZN5aiter30swiglu_act_and_mul_bias_kernelIDF16_DF16_ifLi32EEEvPT0_PKT_PKT1_PKT2_il,@function
_ZN5aiter30swiglu_act_and_mul_bias_kernelIDF16_DF16_ifLi32EEEvPT0_PKT_PKT1_PKT2_il: ; @_ZN5aiter30swiglu_act_and_mul_bias_kernelIDF16_DF16_ifLi32EEEvPT0_PKT_PKT1_PKT2_il
; %bb.0:
	s_load_dword s24, s[0:1], 0x20
	s_load_dwordx2 s[4:5], s[0:1], 0x10
	s_load_dwordx2 s[12:13], s[0:1], 0x28
	s_mov_b32 s3, 0
	s_lshl_b64 s[6:7], s[2:3], 2
	s_waitcnt lgkmcnt(0)
	s_ashr_i32 s25, s24, 31
	s_add_u32 s4, s4, s6
	s_addc_u32 s5, s5, s7
	s_add_i32 s3, s24, 1
	s_load_dword s8, s[4:5], 0x0
	s_load_dwordx2 s[14:15], s[0:1], 0x0
	s_lshr_b32 s4, s3, 31
	s_add_i32 s3, s3, s4
	s_lshl_b32 s3, s3, 1
	s_and_b32 s6, s3, -4
	s_mul_hi_u32 s3, s24, s2
	s_mul_i32 s4, s25, s2
	s_add_i32 s5, s3, s4
	s_mul_i32 s4, s24, s2
	s_waitcnt lgkmcnt(0)
	s_ashr_i32 s9, s8, 31
	s_lshl_b64 s[4:5], s[4:5], 1
	v_mov_b64_e32 v[2:3], s[12:13]
	v_cmp_gt_i64_e64 s[16:17], s[8:9], -1
	s_add_u32 s4, s14, s4
	v_cmp_lt_i64_e32 vcc, s[8:9], v[2:3]
	s_addc_u32 s3, s15, s5
	s_and_b64 s[12:13], s[16:17], vcc
	s_mov_b64 s[10:11], -1
	s_and_b32 s5, s3, 0xffff
	s_and_b64 vcc, exec, s[12:13]
	v_lshlrev_b32_e32 v42, 5, v0
	s_cbranch_vccnz .LBB313_5
; %bb.1:
	v_cmp_gt_i32_e32 vcc, s24, v42
	s_and_saveexec_b64 s[10:11], vcc
	s_cbranch_execz .LBB313_4
; %bb.2:
	s_load_dword s3, s[0:1], 0x3c
	s_mov_b32 s13, 0
	s_mov_b32 s16, s13
	;; [unrolled: 1-line block ×3, first 2 shown]
	v_mov_b32_e32 v43, 0
	s_waitcnt lgkmcnt(0)
	s_and_b32 s3, s3, 0xffff
	s_mov_b32 s18, s13
	s_mov_b32 s19, s13
	v_mov_b64_e32 v[2:3], s[16:17]
	v_lshlrev_b32_e32 v1, 6, v0
	s_lshl_b32 s12, s3, 5
	s_lshl_b32 s3, s3, 6
	s_mov_b64 s[14:15], 0
	s_mov_b32 s7, 0x20000
	v_mov_b64_e32 v[4:5], s[18:19]
	v_mov_b64_e32 v[6:7], v[42:43]
.LBB313_3:                              ; =>This Inner Loop Header: Depth=1
	v_lshl_add_u64 v[6:7], s[12:13], 0, v[6:7]
	v_cmp_le_i64_e32 vcc, s[24:25], v[6:7]
	buffer_store_dwordx4 v[2:5], v1, s[4:7], 0 offen
	buffer_store_dwordx4 v[2:5], v1, s[4:7], 16 offen
	buffer_store_dwordx4 v[2:5], v1, s[4:7], 32 offen
	buffer_store_dwordx4 v[2:5], v1, s[4:7], 48 offen
	s_or_b64 s[14:15], vcc, s[14:15]
	v_add_u32_e32 v1, s3, v1
	s_andn2_b64 exec, exec, s[14:15]
	s_cbranch_execnz .LBB313_3
.LBB313_4:
	s_or_b64 exec, exec, s[10:11]
	s_mov_b64 s[10:11], 0
.LBB313_5:
	s_andn2_b64 vcc, exec, s[10:11]
	s_cbranch_vccnz .LBB313_9
; %bb.6:
	v_cmp_gt_i32_e32 vcc, s24, v42
	s_and_saveexec_b64 s[10:11], vcc
	s_cbranch_execz .LBB313_9
; %bb.7:
	s_load_dwordx2 s[14:15], s[0:1], 0x8
	s_load_dwordx2 s[10:11], s[0:1], 0x18
	s_mul_hi_i32 s9, s24, s8
	s_mul_i32 s8, s24, s8
	s_lshl_b64 s[8:9], s[8:9], 3
	s_load_dword s18, s[0:1], 0x3c
	s_waitcnt lgkmcnt(0)
	s_add_u32 s8, s10, s8
	s_addc_u32 s3, s11, s9
	s_lshl_b64 s[0:1], s[24:25], 2
	s_add_u32 s12, s8, s0
	s_addc_u32 s0, s3, s1
	s_and_b32 s13, s0, 0xffff
	s_mul_i32 s0, s2, s25
	s_mul_hi_u32 s1, s2, s24
	s_add_i32 s1, s1, s0
	s_mul_i32 s0, s2, s24
	s_lshl_b32 s10, s24, 2
	s_and_b32 s9, s3, 0xffff
	s_lshl_b64 s[0:1], s[0:1], 2
	s_add_u32 s16, s14, s0
	s_addc_u32 s2, s15, s1
	s_lshl_b64 s[0:1], s[24:25], 1
	s_add_u32 s20, s16, s0
	s_addc_u32 s0, s2, s1
	s_mov_b32 s7, 0x20000
	s_and_b32 s21, s0, 0xffff
	s_and_b32 s0, s18, 0xffff
	s_mov_b32 s11, s7
	s_and_b32 s17, s2, 0xffff
	s_mov_b64 s[22:23], s[6:7]
	s_mov_b32 s3, 0
	v_mov_b32_e32 v43, 0
	s_lshl_b32 s2, s0, 5
	v_lshlrev_b32_e32 v50, 7, v0
	s_lshl_b32 s28, s0, 7
	v_lshlrev_b32_e32 v51, 6, v0
	s_lshl_b32 s29, s0, 6
	s_mov_b64 s[26:27], 0
	s_movk_i32 s30, 0x50
	s_movk_i32 s31, 0x60
	;; [unrolled: 1-line block ×3, first 2 shown]
	s_mov_b32 s34, 0x3fb8aa3b
	s_mov_b32 s35, 0xc2ce8ed0
	;; [unrolled: 1-line block ×3, first 2 shown]
	v_mov_b32_e32 v52, 0x7f800000
	s_mov_b32 s37, 0xc0e00000
	v_mov_b32_e32 v53, 0x40e00000
	s_mov_b32 s18, s6
	s_mov_b32 s19, s7
.LBB313_8:                              ; =>This Inner Loop Header: Depth=1
	buffer_load_dwordx4 v[22:25], v51, s[16:19], 0 offen
	buffer_load_dwordx4 v[10:13], v51, s[20:23], 0 offen
	;; [unrolled: 1-line block ×3, first 2 shown]
	s_mov_b32 s14, s10
	s_mov_b32 s15, s11
	buffer_load_dwordx4 v[44:47], v50, s[12:15], 0 offen
	buffer_load_dwordx4 v[18:21], v51, s[16:19], 16 offen
	;; [unrolled: 1-line block ×7, first 2 shown]
	v_lshl_add_u64 v[42:43], s[2:3], 0, v[42:43]
	s_waitcnt vmcnt(9)
	v_cvt_f32_f16_e32 v8, v22
	v_cvt_f32_f16_sdwa v9, v22 dst_sel:DWORD dst_unused:UNUSED_PAD src0_sel:WORD_1
	v_cvt_f32_f16_e32 v22, v23
	v_cvt_f32_f16_sdwa v23, v23 dst_sel:DWORD dst_unused:UNUSED_PAD src0_sel:WORD_1
	s_waitcnt vmcnt(8)
	v_cvt_f32_f16_e32 v30, v10
	v_cvt_f32_f16_sdwa v31, v10 dst_sel:DWORD dst_unused:UNUSED_PAD src0_sel:WORD_1
	v_cvt_f32_f16_e32 v10, v11
	v_cvt_f32_f16_sdwa v11, v11 dst_sel:DWORD dst_unused:UNUSED_PAD src0_sel:WORD_1
	s_waitcnt vmcnt(7)
	v_pk_add_f32 v[8:9], v[36:37], v[8:9]
	v_pk_add_f32 v[22:23], v[38:39], v[22:23]
	v_min_f32_e32 v37, 0x40e00000, v9
	v_min_f32_e32 v36, 0x40e00000, v8
	;; [unrolled: 1-line block ×3, first 2 shown]
	v_mul_f32_e32 v38, 0xbfd9db23, v36
	v_mul_f32_e32 v39, 0xbfd9db23, v37
	s_waitcnt vmcnt(6)
	v_pk_add_f32 v[10:11], v[46:47], v[10:11]
	v_min_f32_e32 v23, 0x40e00000, v23
	v_mul_f32_e32 v40, 0xbfd9db23, v22
	v_mul_f32_e32 v8, 0x3fb8aa3b, v38
	;; [unrolled: 1-line block ×3, first 2 shown]
	v_pk_add_f32 v[30:31], v[44:45], v[30:31]
	v_med3_f32 v44, v10, s37, v53
	v_mul_f32_e32 v41, 0xbfd9db23, v23
	v_mul_f32_e32 v10, 0x3fb8aa3b, v40
	v_fma_f32 v46, v38, s34, -v8
	v_rndne_f32_e32 v47, v8
	v_fma_f32 v48, v39, s34, -v9
	v_rndne_f32_e32 v49, v9
	v_med3_f32 v45, v11, s37, v53
	v_mul_f32_e32 v11, 0x3fb8aa3b, v41
	v_fma_f32 v54, v40, s34, -v10
	v_rndne_f32_e32 v55, v10
	v_fmac_f32_e32 v46, 0x32a5705f, v38
	v_sub_f32_e32 v8, v8, v47
	v_fmac_f32_e32 v48, 0x32a5705f, v39
	v_sub_f32_e32 v9, v9, v49
	v_add_f32_e32 v8, v8, v46
	v_fma_f32 v46, v41, s34, -v11
	v_add_f32_e32 v9, v9, v48
	v_rndne_f32_e32 v48, v11
	v_fmac_f32_e32 v54, 0x32a5705f, v40
	v_sub_f32_e32 v10, v10, v55
	v_cvt_i32_f32_e32 v47, v47
	v_fmac_f32_e32 v46, 0x32a5705f, v41
	v_sub_f32_e32 v11, v11, v48
	v_add_f32_e32 v10, v10, v54
	v_exp_f32_e32 v8, v8
	v_cvt_i32_f32_e32 v49, v49
	v_cvt_i32_f32_e32 v55, v55
	v_add_f32_e32 v11, v11, v46
	v_exp_f32_e32 v9, v9
	v_exp_f32_e32 v46, v10
	v_cvt_i32_f32_e32 v48, v48
	v_exp_f32_e32 v54, v11
	v_ldexp_f32 v56, v8, v47
	v_cmp_ngt_f32_e32 vcc, s35, v38
	v_ldexp_f32 v49, v9, v49
	v_ldexp_f32 v55, v46, v55
	v_cvt_f32_f16_e32 v46, v24
	v_cvt_f32_f16_sdwa v47, v24 dst_sel:DWORD dst_unused:UNUSED_PAD src0_sel:WORD_1
	v_cndmask_b32_e32 v24, 0, v56, vcc
	v_cmp_ngt_f32_e32 vcc, s35, v39
	v_ldexp_f32 v48, v54, v48
	s_waitcnt vmcnt(1)
	v_pk_add_f32 v[32:33], v[32:33], v[46:47]
	v_cndmask_b32_e32 v49, 0, v49, vcc
	v_cmp_ngt_f32_e32 vcc, s35, v40
	v_med3_f32 v31, v31, s37, v53
	v_med3_f32 v30, v30, s37, v53
	v_cndmask_b32_e32 v54, 0, v55, vcc
	v_cmp_ngt_f32_e32 vcc, s35, v41
	v_min_f32_e32 v46, 0x40e00000, v32
	v_pk_add_f32 v[30:31], v[30:31], 1.0 op_sel_hi:[1,0]
	v_cndmask_b32_e32 v48, 0, v48, vcc
	v_cmp_nlt_f32_e32 vcc, s36, v38
	v_min_f32_e32 v47, 0x40e00000, v33
	buffer_load_dwordx4 v[8:11], v51, s[20:23], 32 offen
	v_cndmask_b32_e32 v24, v52, v24, vcc
	v_cmp_nlt_f32_e32 vcc, s36, v39
	v_add_f32_e32 v24, 1.0, v24
	s_nop 0
	v_cndmask_b32_e32 v38, v52, v49, vcc
	v_cmp_nlt_f32_e32 vcc, s36, v40
	v_add_f32_e32 v38, 1.0, v38
	v_rcp_f32_e32 v49, v38
	v_cndmask_b32_e32 v39, v52, v54, vcc
	v_cmp_nlt_f32_e32 vcc, s36, v41
	v_add_f32_e32 v39, 1.0, v39
	v_rcp_f32_e32 v54, v39
	v_cndmask_b32_e32 v40, v52, v48, vcc
	v_rcp_f32_e32 v48, v24
	v_add_f32_e32 v40, 1.0, v40
	v_rcp_f32_e32 v55, v40
	buffer_load_dwordx4 v[38:41], v50, s[8:11], 32 offen
	v_pk_mul_f32 v[36:37], v[36:37], v[48:49]
	v_mul_f32_e32 v24, 0xbfd9db23, v46
	v_pk_mul_f32 v[36:37], v[30:31], v[36:37]
	v_mul_f32_e32 v30, 0x3fb8aa3b, v24
	v_fma_f32 v31, v24, s34, -v30
	v_rndne_f32_e32 v32, v30
	v_fmac_f32_e32 v31, 0x32a5705f, v24
	v_sub_f32_e32 v30, v30, v32
	v_add_f32_e32 v30, v30, v31
	v_exp_f32_e32 v48, v30
	v_cvt_i32_f32_e32 v32, v32
	v_pk_mul_f32 v[22:23], v[22:23], v[54:55]
	v_pk_add_f32 v[30:31], v[44:45], 1.0 op_sel_hi:[1,0]
	v_cmp_ngt_f32_e32 vcc, s35, v24
	v_pk_mul_f32 v[44:45], v[30:31], v[22:23]
	v_ldexp_f32 v22, v48, v32
	v_cndmask_b32_e32 v22, 0, v22, vcc
	v_cmp_nlt_f32_e32 vcc, s36, v24
	v_cvt_f32_f16_sdwa v23, v12 dst_sel:DWORD dst_unused:UNUSED_PAD src0_sel:WORD_1
	v_cvt_f16_f32_e32 v54, v37
	v_cndmask_b32_e32 v24, v52, v22, vcc
	v_cvt_f32_f16_e32 v22, v12
	v_mul_f32_e32 v12, 0xbfd9db23, v47
	v_mul_f32_e32 v30, 0x3fb8aa3b, v12
	v_fma_f32 v31, v12, s34, -v30
	v_rndne_f32_e32 v32, v30
	v_fmac_f32_e32 v31, 0x32a5705f, v12
	v_sub_f32_e32 v30, v30, v32
	v_add_f32_e32 v30, v30, v31
	v_exp_f32_e32 v30, v30
	v_cvt_i32_f32_e32 v31, v32
	v_add_f32_e32 v24, 1.0, v24
	v_rcp_f32_e32 v48, v24
	v_cmp_ngt_f32_e32 vcc, s35, v12
	v_ldexp_f32 v24, v30, v31
	buffer_load_dwordx4 v[30:33], v50, s[8:11], 48 offen
	v_cndmask_b32_e32 v24, 0, v24, vcc
	v_cmp_nlt_f32_e32 vcc, s36, v12
	s_waitcnt vmcnt(3)
	v_pk_add_f32 v[22:23], v[26:27], v[22:23]
	v_cvt_f16_f32_e32 v55, v36
	v_cndmask_b32_e32 v12, v52, v24, vcc
	v_add_f32_e32 v12, 1.0, v12
	v_rcp_f32_e32 v49, v12
	v_med3_f32 v23, v23, s37, v53
	v_med3_f32 v22, v22, s37, v53
	v_pk_add_f32 v[22:23], v[22:23], 1.0 op_sel_hi:[1,0]
	v_pk_mul_f32 v[46:47], v[46:47], v[48:49]
	v_cvt_f32_f16_e32 v48, v25
	v_cvt_f32_f16_sdwa v49, v25 dst_sel:DWORD dst_unused:UNUSED_PAD src0_sel:WORD_1
	buffer_load_dwordx4 v[24:27], v50, s[12:15], 32 offen
	v_pk_mul_f32 v[46:47], v[22:23], v[46:47]
	v_pk_add_f32 v[22:23], v[34:35], v[48:49]
	s_nop 0
	v_min_f32_e32 v22, 0x40e00000, v22
	v_mul_f32_e32 v12, 0xbfd9db23, v22
	v_mul_f32_e32 v34, 0x3fb8aa3b, v12
	v_fma_f32 v35, v12, s34, -v34
	v_rndne_f32_e32 v48, v34
	v_fmac_f32_e32 v35, 0x32a5705f, v12
	v_sub_f32_e32 v34, v34, v48
	v_add_f32_e32 v34, v34, v35
	v_exp_f32_e32 v34, v34
	v_cvt_i32_f32_e32 v35, v48
	v_min_f32_e32 v23, 0x40e00000, v23
	v_cmp_ngt_f32_e32 vcc, s35, v12
	v_mul_f32_e32 v49, 0xbfd9db23, v23
	v_ldexp_f32 v34, v34, v35
	v_cndmask_b32_e32 v48, 0, v34, vcc
	v_mul_f32_e32 v34, 0x3fb8aa3b, v49
	v_fma_f32 v35, v49, s34, -v34
	v_rndne_f32_e32 v56, v34
	v_fmac_f32_e32 v35, 0x32a5705f, v49
	v_sub_f32_e32 v34, v34, v56
	v_add_f32_e32 v57, v34, v35
	buffer_load_dwordx4 v[34:37], v50, s[12:15], 48 offen
	v_cmp_nlt_f32_e32 vcc, s36, v12
	v_cvt_f32_f16_e32 v12, v13
	v_cvt_f32_f16_sdwa v13, v13 dst_sel:DWORD dst_unused:UNUSED_PAD src0_sel:WORD_1
	v_exp_f32_e32 v57, v57
	v_cvt_i32_f32_e32 v56, v56
	v_cndmask_b32_e32 v48, v52, v48, vcc
	v_pk_add_f32 v[12:13], v[28:29], v[12:13]
	v_cmp_ngt_f32_e32 vcc, s35, v49
	v_ldexp_f32 v29, v57, v56
	v_add_f32_e32 v48, 1.0, v48
	v_cndmask_b32_e32 v29, 0, v29, vcc
	v_cmp_nlt_f32_e32 vcc, s36, v49
	v_rcp_f32_e32 v28, v48
	v_cvt_f32_f16_e32 v48, v18
	v_cndmask_b32_e32 v29, v52, v29, vcc
	v_add_f32_e32 v29, 1.0, v29
	v_rcp_f32_e32 v29, v29
	v_cvt_f32_f16_sdwa v49, v18 dst_sel:DWORD dst_unused:UNUSED_PAD src0_sel:WORD_1
	v_med3_f32 v13, v13, s37, v53
	v_med3_f32 v12, v12, s37, v53
	v_pk_mul_f32 v[22:23], v[22:23], v[28:29]
	s_waitcnt vmcnt(3)
	v_pk_add_f32 v[28:29], v[38:39], v[48:49]
	v_pk_add_f32 v[12:13], v[12:13], 1.0 op_sel_hi:[1,0]
	v_min_f32_e32 v28, 0x40e00000, v28
	v_mul_f32_e32 v18, 0xbfd9db23, v28
	v_mul_f32_e32 v38, 0x3fb8aa3b, v18
	v_fma_f32 v39, v18, s34, -v38
	v_rndne_f32_e32 v48, v38
	v_fmac_f32_e32 v39, 0x32a5705f, v18
	v_sub_f32_e32 v38, v38, v48
	v_add_f32_e32 v38, v38, v39
	v_exp_f32_e32 v38, v38
	v_cvt_i32_f32_e32 v39, v48
	v_min_f32_e32 v29, 0x40e00000, v29
	v_pk_mul_f32 v[48:49], v[12:13], v[22:23]
	v_cmp_ngt_f32_e32 vcc, s35, v18
	v_ldexp_f32 v12, v38, v39
	v_mul_f32_e32 v13, 0xbfd9db23, v29
	v_cndmask_b32_e32 v12, 0, v12, vcc
	v_cmp_nlt_f32_e32 vcc, s36, v18
	v_mul_f32_e32 v18, 0x3fb8aa3b, v13
	v_fma_f32 v22, v13, s34, -v18
	v_rndne_f32_e32 v23, v18
	v_fmac_f32_e32 v22, 0x32a5705f, v13
	v_sub_f32_e32 v18, v18, v23
	v_add_f32_e32 v18, v18, v22
	v_exp_f32_e32 v18, v18
	v_cvt_i32_f32_e32 v38, v23
	v_cndmask_b32_e32 v12, v52, v12, vcc
	v_cvt_f32_f16_e32 v22, v14
	v_cvt_f32_f16_sdwa v23, v14 dst_sel:DWORD dst_unused:UNUSED_PAD src0_sel:WORD_1
	v_ldexp_f32 v14, v18, v38
	v_cmp_ngt_f32_e32 vcc, s35, v13
	v_add_f32_e32 v12, 1.0, v12
	v_rcp_f32_e32 v12, v12
	v_cndmask_b32_e32 v14, 0, v14, vcc
	v_cmp_nlt_f32_e32 vcc, s36, v13
	s_waitcnt vmcnt(1)
	v_pk_add_f32 v[22:23], v[24:25], v[22:23]
	v_cndmask_b32_e32 v13, v52, v14, vcc
	v_add_f32_e32 v13, 1.0, v13
	v_rcp_f32_e32 v13, v13
	v_med3_f32 v39, v23, s37, v53
	v_med3_f32 v38, v22, s37, v53
	buffer_load_dwordx4 v[22:25], v50, s[8:11], 64 offen
	v_pk_mul_f32 v[12:13], v[28:29], v[12:13]
	v_cvt_f32_f16_e32 v28, v19
	v_cvt_f32_f16_sdwa v29, v19 dst_sel:DWORD dst_unused:UNUSED_PAD src0_sel:WORD_1
	v_pk_add_f32 v[18:19], v[38:39], 1.0 op_sel_hi:[1,0]
	s_nop 0
	v_pk_mul_f32 v[18:19], v[18:19], v[12:13]
	v_pk_add_f32 v[12:13], v[40:41], v[28:29]
	s_nop 0
	v_min_f32_e32 v12, 0x40e00000, v12
	v_mul_f32_e32 v28, 0xbfd9db23, v12
	v_mul_f32_e32 v14, 0x3fb8aa3b, v28
	v_fma_f32 v29, v28, s34, -v14
	v_rndne_f32_e32 v38, v14
	v_fmac_f32_e32 v29, 0x32a5705f, v28
	v_sub_f32_e32 v14, v14, v38
	v_add_f32_e32 v14, v14, v29
	v_exp_f32_e32 v29, v14
	v_cvt_i32_f32_e32 v38, v38
	v_cvt_f32_f16_e32 v14, v15
	v_cvt_f32_f16_sdwa v15, v15 dst_sel:DWORD dst_unused:UNUSED_PAD src0_sel:WORD_1
	v_min_f32_e32 v13, 0x40e00000, v13
	v_mul_f32_e32 v39, 0xbfd9db23, v13
	v_ldexp_f32 v29, v29, v38
	v_cmp_ngt_f32_e32 vcc, s35, v28
	v_pk_add_f32 v[14:15], v[26:27], v[14:15]
	v_mul_f32_e32 v26, 0x3fb8aa3b, v39
	v_cndmask_b32_e32 v38, 0, v29, vcc
	v_fma_f32 v27, v39, s34, -v26
	v_rndne_f32_e32 v29, v26
	v_fmac_f32_e32 v27, 0x32a5705f, v39
	v_sub_f32_e32 v26, v26, v29
	v_add_f32_e32 v26, v26, v27
	v_exp_f32_e32 v40, v26
	v_cvt_i32_f32_e32 v41, v29
	v_cmp_nlt_f32_e32 vcc, s36, v28
	buffer_load_dwordx4 v[26:29], v50, s[12:15], 64 offen
	v_med3_f32 v15, v15, s37, v53
	v_cndmask_b32_e32 v38, v52, v38, vcc
	v_ldexp_f32 v40, v40, v41
	v_cmp_ngt_f32_e32 vcc, s35, v39
	v_add_f32_e32 v38, 1.0, v38
	v_rcp_f32_e32 v38, v38
	v_cndmask_b32_e32 v40, 0, v40, vcc
	v_cmp_nlt_f32_e32 vcc, s36, v39
	v_cvt_f32_f16_sdwa v41, v20 dst_sel:DWORD dst_unused:UNUSED_PAD src0_sel:WORD_1
	v_med3_f32 v14, v14, s37, v53
	v_cndmask_b32_e32 v39, v52, v40, vcc
	v_add_f32_e32 v39, 1.0, v39
	v_rcp_f32_e32 v39, v39
	v_cvt_f32_f16_e32 v40, v20
	v_pk_add_f32 v[14:15], v[14:15], 1.0 op_sel_hi:[1,0]
	v_pk_mul_f32 v[12:13], v[12:13], v[38:39]
	s_nop 0
	v_pk_mul_f32 v[38:39], v[14:15], v[12:13]
	v_pk_add_f32 v[12:13], v[30:31], v[40:41]
	v_cvt_f16_f32_e32 v40, v45
	v_min_f32_e32 v12, 0x40e00000, v12
	v_mul_f32_e32 v14, 0xbfd9db23, v12
	v_mul_f32_e32 v15, 0x3fb8aa3b, v14
	v_min_f32_e32 v13, 0x40e00000, v13
	v_fma_f32 v20, v14, s34, -v15
	v_rndne_f32_e32 v30, v15
	v_fmac_f32_e32 v20, 0x32a5705f, v14
	v_sub_f32_e32 v15, v15, v30
	v_cvt_f16_f32_e32 v45, v46
	v_mul_f32_e32 v46, 0xbfd9db23, v13
	v_add_f32_e32 v15, v15, v20
	v_cvt_i32_f32_e32 v20, v30
	v_mul_f32_e32 v30, 0x3fb8aa3b, v46
	v_exp_f32_e32 v15, v15
	v_cvt_f16_f32_e32 v41, v44
	v_cvt_f16_f32_e32 v44, v47
	v_fma_f32 v31, v46, s34, -v30
	v_rndne_f32_e32 v47, v30
	v_fmac_f32_e32 v31, 0x32a5705f, v46
	v_sub_f32_e32 v30, v30, v47
	v_add_f32_e32 v30, v30, v31
	v_exp_f32_e32 v30, v30
	v_cvt_i32_f32_e32 v31, v47
	v_ldexp_f32 v15, v15, v20
	v_cvt_f32_f16_e32 v20, v21
	v_cvt_f32_f16_sdwa v21, v21 dst_sel:DWORD dst_unused:UNUSED_PAD src0_sel:WORD_1
	v_cmp_ngt_f32_e32 vcc, s35, v14
	v_cvt_f16_f32_e32 v47, v48
	v_pk_add_f32 v[20:21], v[32:33], v[20:21]
	v_cndmask_b32_e32 v15, 0, v15, vcc
	v_cmp_nlt_f32_e32 vcc, s36, v14
	v_min_f32_e32 v20, 0x40e00000, v20
	v_mul_f32_e32 v60, 0xbfd9db23, v20
	v_cndmask_b32_e32 v14, v52, v15, vcc
	v_ldexp_f32 v15, v30, v31
	v_cvt_f32_f16_e32 v30, v16
	v_cvt_f32_f16_sdwa v31, v16 dst_sel:DWORD dst_unused:UNUSED_PAD src0_sel:WORD_1
	v_mul_f32_e32 v16, 0x3fb8aa3b, v60
	v_min_f32_e32 v21, 0x40e00000, v21
	v_cmp_ngt_f32_e32 vcc, s35, v46
	s_waitcnt vmcnt(2)
	v_pk_add_f32 v[30:31], v[34:35], v[30:31]
	v_cvt_f16_f32_e32 v35, v18
	v_med3_f32 v57, v31, s37, v53
	v_med3_f32 v56, v30, s37, v53
	v_fma_f32 v30, v60, s34, -v16
	v_rndne_f32_e32 v31, v16
	v_fmac_f32_e32 v30, 0x32a5705f, v60
	v_sub_f32_e32 v16, v16, v31
	v_add_f32_e32 v16, v16, v30
	v_exp_f32_e32 v16, v16
	v_cvt_i32_f32_e32 v30, v31
	v_cvt_f16_f32_e32 v34, v19
	v_cndmask_b32_e32 v15, 0, v15, vcc
	v_cmp_nlt_f32_e32 vcc, s36, v46
	v_ldexp_f32 v18, v16, v30
	v_cvt_f32_f16_e32 v16, v17
	v_cvt_f32_f16_sdwa v17, v17 dst_sel:DWORD dst_unused:UNUSED_PAD src0_sel:WORD_1
	buffer_load_dwordx4 v[30:33], v50, s[8:11], s30 offen
	v_cndmask_b32_e32 v15, v52, v15, vcc
	v_cmp_ngt_f32_e32 vcc, s35, v60
	v_pk_add_f32 v[36:37], v[36:37], v[16:17]
	v_mul_f32_e32 v16, 0xbfd9db23, v21
	v_mul_f32_e32 v17, 0x3fb8aa3b, v16
	v_fma_f32 v19, v16, s34, -v17
	v_rndne_f32_e32 v48, v17
	v_fmac_f32_e32 v19, 0x32a5705f, v16
	v_sub_f32_e32 v17, v17, v48
	v_add_f32_e32 v17, v17, v19
	v_exp_f32_e32 v17, v17
	v_cvt_i32_f32_e32 v19, v48
	v_cndmask_b32_e32 v18, 0, v18, vcc
	v_cmp_nlt_f32_e32 vcc, s36, v60
	v_cvt_f16_f32_e32 v46, v49
	v_ldexp_f32 v17, v17, v19
	v_cndmask_b32_e32 v18, v52, v18, vcc
	v_cmp_ngt_f32_e32 vcc, s35, v16
	v_add_f32_e32 v18, 1.0, v18
	v_rcp_f32_e32 v48, v18
	v_cndmask_b32_e32 v17, 0, v17, vcc
	v_cmp_nlt_f32_e32 vcc, s36, v16
	v_add_f32_e32 v14, 1.0, v14
	v_add_f32_e32 v15, 1.0, v15
	v_cndmask_b32_e32 v16, v52, v17, vcc
	v_add_f32_e32 v16, 1.0, v16
	v_rcp_f32_e32 v49, v16
	buffer_load_dwordx4 v[16:19], v50, s[12:15], s30 offen
	v_rcp_f32_e32 v14, v14
	v_rcp_f32_e32 v15, v15
	v_pk_mul_f32 v[20:21], v[20:21], v[48:49]
	v_cvt_f32_f16_e32 v48, v4
	v_cvt_f32_f16_sdwa v49, v4 dst_sel:DWORD dst_unused:UNUSED_PAD src0_sel:WORD_1
	v_med3_f32 v37, v37, s37, v53
	v_med3_f32 v36, v36, s37, v53
	v_pk_add_f32 v[36:37], v[36:37], 1.0 op_sel_hi:[1,0]
	v_pk_mul_f32 v[58:59], v[12:13], v[14:15]
	buffer_load_dwordx4 v[12:15], v51, s[20:23], 48 offen
	v_pk_mul_f32 v[20:21], v[36:37], v[20:21]
	v_cvt_f32_f16_e32 v36, v8
	v_cvt_f32_f16_sdwa v37, v8 dst_sel:DWORD dst_unused:UNUSED_PAD src0_sel:WORD_1
	s_waitcnt vmcnt(4)
	v_pk_add_f32 v[22:23], v[22:23], v[48:49]
	v_pk_add_f32 v[56:57], v[56:57], 1.0 op_sel_hi:[1,0]
	v_min_f32_e32 v22, 0x40e00000, v22
	v_mul_f32_e32 v4, 0xbfd9db23, v22
	v_mul_f32_e32 v8, 0x3fb8aa3b, v4
	s_waitcnt vmcnt(3)
	v_pk_add_f32 v[26:27], v[26:27], v[36:37]
	v_fma_f32 v36, v4, s34, -v8
	v_rndne_f32_e32 v37, v8
	v_fmac_f32_e32 v36, 0x32a5705f, v4
	v_sub_f32_e32 v8, v8, v37
	v_add_f32_e32 v8, v8, v36
	v_exp_f32_e32 v8, v8
	v_cvt_i32_f32_e32 v36, v37
	v_min_f32_e32 v23, 0x40e00000, v23
	v_cmp_ngt_f32_e64 s[0:1], s35, v4
	v_med3_f32 v27, v27, s37, v53
	v_ldexp_f32 v8, v8, v36
	v_mul_f32_e32 v36, 0xbfd9db23, v23
	v_mul_f32_e32 v37, 0x3fb8aa3b, v36
	v_fma_f32 v48, v36, s34, -v37
	v_rndne_f32_e32 v49, v37
	v_fmac_f32_e32 v48, 0x32a5705f, v36
	v_sub_f32_e32 v37, v37, v49
	v_add_f32_e32 v37, v37, v48
	v_exp_f32_e32 v37, v37
	v_cvt_i32_f32_e32 v48, v49
	v_cmp_ngt_f32_e32 vcc, s35, v36
	v_cndmask_b32_e64 v8, 0, v8, s[0:1]
	v_cmp_nlt_f32_e64 s[0:1], s36, v4
	v_ldexp_f32 v37, v37, v48
	v_cndmask_b32_e32 v37, 0, v37, vcc
	v_cmp_nlt_f32_e32 vcc, s36, v36
	v_cndmask_b32_e64 v4, v52, v8, s[0:1]
	v_add_f32_e32 v4, 1.0, v4
	v_cndmask_b32_e32 v8, v52, v37, vcc
	v_add_f32_e32 v8, 1.0, v8
	v_rcp_f32_e32 v48, v4
	v_rcp_f32_e32 v49, v8
	v_med3_f32 v26, v26, s37, v53
	v_pk_mul_f32 v[56:57], v[56:57], v[58:59]
	v_cvt_f16_f32_e32 v36, v39
	v_pk_mul_f32 v[22:23], v[22:23], v[48:49]
	v_cvt_f32_f16_e32 v48, v5
	v_cvt_f32_f16_sdwa v49, v5 dst_sel:DWORD dst_unused:UNUSED_PAD src0_sel:WORD_1
	v_pk_add_f32 v[4:5], v[26:27], 1.0 op_sel_hi:[1,0]
	v_cvt_f16_f32_e32 v37, v38
	v_pk_mul_f32 v[4:5], v[4:5], v[22:23]
	v_pk_add_f32 v[22:23], v[24:25], v[48:49]
	v_cvt_f16_f32_e32 v48, v21
	v_min_f32_e32 v22, 0x40e00000, v22
	v_mul_f32_e32 v8, 0xbfd9db23, v22
	v_mul_f32_e32 v24, 0x3fb8aa3b, v8
	v_fma_f32 v25, v8, s34, -v24
	v_rndne_f32_e32 v26, v24
	v_fmac_f32_e32 v25, 0x32a5705f, v8
	v_sub_f32_e32 v24, v24, v26
	v_add_f32_e32 v24, v24, v25
	v_exp_f32_e32 v24, v24
	v_cvt_i32_f32_e32 v25, v26
	v_min_f32_e32 v23, 0x40e00000, v23
	v_cvt_f16_f32_e32 v49, v20
	v_cmp_ngt_f32_e32 vcc, s35, v8
	v_ldexp_f32 v20, v24, v25
	v_mul_f32_e32 v21, 0xbfd9db23, v23
	v_cndmask_b32_e32 v20, 0, v20, vcc
	v_cmp_nlt_f32_e32 vcc, s36, v8
	v_mul_f32_e32 v8, 0x3fb8aa3b, v21
	v_fma_f32 v24, v21, s34, -v8
	v_rndne_f32_e32 v25, v8
	v_fmac_f32_e32 v24, 0x32a5705f, v21
	v_sub_f32_e32 v8, v8, v25
	v_add_f32_e32 v24, v8, v24
	v_exp_f32_e32 v24, v24
	v_cvt_i32_f32_e32 v25, v25
	v_cndmask_b32_e32 v20, v52, v20, vcc
	v_cmp_ngt_f32_e32 vcc, s35, v21
	v_add_f32_e32 v20, 1.0, v20
	v_ldexp_f32 v24, v24, v25
	v_cndmask_b32_e32 v24, 0, v24, vcc
	v_cmp_nlt_f32_e32 vcc, s36, v21
	v_rcp_f32_e32 v20, v20
	v_cvt_f32_f16_sdwa v25, v6 dst_sel:DWORD dst_unused:UNUSED_PAD src0_sel:WORD_1
	v_cndmask_b32_e32 v21, v52, v24, vcc
	v_add_f32_e32 v21, 1.0, v21
	v_rcp_f32_e32 v21, v21
	v_cvt_f32_f16_e32 v24, v6
	v_cvt_f32_f16_e32 v8, v9
	v_cvt_f32_f16_sdwa v9, v9 dst_sel:DWORD dst_unused:UNUSED_PAD src0_sel:WORD_1
	v_pk_mul_f32 v[20:21], v[22:23], v[20:21]
	s_waitcnt vmcnt(2)
	v_pk_add_f32 v[22:23], v[30:31], v[24:25]
	v_cvt_f16_f32_e32 v38, v57
	v_min_f32_e32 v22, 0x40e00000, v22
	v_mul_f32_e32 v6, 0xbfd9db23, v22
	v_mul_f32_e32 v24, 0x3fb8aa3b, v6
	v_fma_f32 v25, v6, s34, -v24
	v_rndne_f32_e32 v26, v24
	v_fmac_f32_e32 v25, 0x32a5705f, v6
	v_sub_f32_e32 v24, v24, v26
	v_add_f32_e32 v24, v24, v25
	v_exp_f32_e32 v24, v24
	v_cvt_i32_f32_e32 v25, v26
	v_pk_add_f32 v[8:9], v[28:29], v[8:9]
	v_min_f32_e32 v23, 0x40e00000, v23
	v_med3_f32 v9, v9, s37, v53
	v_med3_f32 v8, v8, s37, v53
	v_pk_add_f32 v[8:9], v[8:9], 1.0 op_sel_hi:[1,0]
	v_cmp_ngt_f32_e32 vcc, s35, v6
	v_pk_mul_f32 v[8:9], v[8:9], v[20:21]
	v_ldexp_f32 v20, v24, v25
	v_cndmask_b32_e32 v20, 0, v20, vcc
	v_cmp_nlt_f32_e32 vcc, s36, v6
	v_mul_f32_e32 v21, 0xbfd9db23, v23
	v_cvt_f16_f32_e32 v39, v56
	v_cndmask_b32_e32 v6, v52, v20, vcc
	v_mul_f32_e32 v20, 0x3fb8aa3b, v21
	v_fma_f32 v24, v21, s34, -v20
	v_rndne_f32_e32 v25, v20
	v_fmac_f32_e32 v24, 0x32a5705f, v21
	v_sub_f32_e32 v20, v20, v25
	v_add_f32_e32 v20, v20, v24
	v_exp_f32_e32 v26, v20
	v_cvt_i32_f32_e32 v27, v25
	v_add_f32_e32 v6, 1.0, v6
	v_rcp_f32_e32 v20, v6
	v_cvt_f32_f16_e32 v24, v10
	v_cvt_f32_f16_sdwa v25, v10 dst_sel:DWORD dst_unused:UNUSED_PAD src0_sel:WORD_1
	v_ldexp_f32 v6, v26, v27
	v_cmp_ngt_f32_e32 vcc, s35, v21
	v_cvt_f16_f32_e32 v28, v9
	s_waitcnt vmcnt(1)
	v_pk_add_f32 v[16:17], v[16:17], v[24:25]
	v_cndmask_b32_e32 v6, 0, v6, vcc
	v_cmp_nlt_f32_e32 vcc, s36, v21
	buffer_load_dwordx4 v[24:27], v50, s[8:11], s31 offen
	v_med3_f32 v31, v17, s37, v53
	v_cndmask_b32_e32 v6, v52, v6, vcc
	v_add_f32_e32 v6, 1.0, v6
	v_rcp_f32_e32 v21, v6
	v_cvt_f32_f16_e32 v6, v7
	v_cvt_f32_f16_sdwa v7, v7 dst_sel:DWORD dst_unused:UNUSED_PAD src0_sel:WORD_1
	v_med3_f32 v30, v16, s37, v53
	v_pk_mul_f32 v[56:57], v[22:23], v[20:21]
	buffer_load_dwordx4 v[20:23], v50, s[12:15], s31 offen
	v_pk_add_f32 v[6:7], v[32:33], v[6:7]
	v_cvt_f16_f32_e32 v16, v5
	v_min_f32_e32 v32, 0x40e00000, v6
	v_mul_f32_e32 v6, 0xbfd9db23, v32
	v_min_f32_e32 v33, 0x40e00000, v7
	v_mul_f32_e32 v7, 0x3fb8aa3b, v6
	v_fma_f32 v10, v6, s34, -v7
	v_rndne_f32_e32 v17, v7
	v_fmac_f32_e32 v10, 0x32a5705f, v6
	v_sub_f32_e32 v7, v7, v17
	v_add_f32_e32 v7, v7, v10
	v_exp_f32_e32 v5, v7
	v_cvt_i32_f32_e32 v7, v17
	v_cvt_f16_f32_e32 v17, v4
	v_cvt_f16_f32_e32 v29, v8
	v_cvt_f32_f16_e32 v4, v11
	v_ldexp_f32 v7, v5, v7
	v_cvt_f32_f16_sdwa v5, v11 dst_sel:DWORD dst_unused:UNUSED_PAD src0_sel:WORD_1
	buffer_load_dwordx4 v[8:11], v50, s[8:11], s33 offen
	v_cmp_ngt_f32_e32 vcc, s35, v6
	v_pk_add_f32 v[30:31], v[30:31], 1.0 op_sel_hi:[1,0]
	v_pk_add_f32 v[18:19], v[18:19], v[4:5]
	v_mul_f32_e32 v4, 0xbfd9db23, v33
	v_mul_f32_e32 v5, 0x3fb8aa3b, v4
	v_fma_f32 v58, v4, s34, -v5
	v_rndne_f32_e32 v59, v5
	v_fmac_f32_e32 v58, 0x32a5705f, v4
	v_sub_f32_e32 v5, v5, v59
	v_add_f32_e32 v5, v5, v58
	v_exp_f32_e32 v5, v5
	v_cvt_i32_f32_e32 v59, v59
	v_cndmask_b32_e32 v7, 0, v7, vcc
	v_cmp_nlt_f32_e32 vcc, s36, v6
	v_pk_mul_f32 v[30:31], v[30:31], v[56:57]
	v_ldexp_f32 v5, v5, v59
	v_cndmask_b32_e32 v6, v52, v7, vcc
	v_cmp_ngt_f32_e32 vcc, s35, v4
	v_add_f32_e32 v6, 1.0, v6
	v_rcp_f32_e32 v58, v6
	v_cndmask_b32_e32 v5, 0, v5, vcc
	v_cmp_nlt_f32_e32 vcc, s36, v4
	v_cvt_f32_f16_e32 v56, v0
	v_cvt_f32_f16_sdwa v57, v0 dst_sel:DWORD dst_unused:UNUSED_PAD src0_sel:WORD_1
	v_cndmask_b32_e32 v4, v52, v5, vcc
	v_add_f32_e32 v4, 1.0, v4
	v_rcp_f32_e32 v59, v4
	buffer_load_dwordx4 v[4:7], v50, s[12:15], s33 offen
	v_med3_f32 v19, v19, s37, v53
	v_med3_f32 v18, v18, s37, v53
	v_pk_mul_f32 v[32:33], v[32:33], v[58:59]
	v_pk_add_f32 v[18:19], v[18:19], 1.0 op_sel_hi:[1,0]
	v_cvt_f16_f32_e32 v31, v31
	v_pk_mul_f32 v[18:19], v[18:19], v[32:33]
	s_waitcnt vmcnt(4)
	v_cvt_f32_f16_e32 v32, v12
	v_cvt_f32_f16_sdwa v33, v12 dst_sel:DWORD dst_unused:UNUSED_PAD src0_sel:WORD_1
	v_cvt_f16_f32_e32 v30, v30
	v_add_u32_e32 v50, s28, v50
	s_waitcnt vmcnt(3)
	v_pk_add_f32 v[24:25], v[24:25], v[56:57]
	s_nop 0
	v_min_f32_e32 v24, 0x40e00000, v24
	v_mul_f32_e32 v0, 0xbfd9db23, v24
	v_mul_f32_e32 v12, 0x3fb8aa3b, v0
	v_min_f32_e32 v25, 0x40e00000, v25
	v_cmp_ngt_f32_e64 s[0:1], s35, v0
	s_waitcnt vmcnt(2)
	v_pk_add_f32 v[20:21], v[20:21], v[32:33]
	v_fma_f32 v32, v0, s34, -v12
	v_rndne_f32_e32 v33, v12
	v_fmac_f32_e32 v32, 0x32a5705f, v0
	v_sub_f32_e32 v12, v12, v33
	v_add_f32_e32 v12, v12, v32
	v_exp_f32_e32 v12, v12
	v_cvt_i32_f32_e32 v32, v33
	v_med3_f32 v21, v21, s37, v53
	v_med3_f32 v20, v20, s37, v53
	v_pk_add_f32 v[20:21], v[20:21], 1.0 op_sel_hi:[1,0]
	v_ldexp_f32 v12, v12, v32
	v_mul_f32_e32 v32, 0xbfd9db23, v25
	v_mul_f32_e32 v33, 0x3fb8aa3b, v32
	v_fma_f32 v56, v32, s34, -v33
	v_rndne_f32_e32 v57, v33
	v_fmac_f32_e32 v56, 0x32a5705f, v32
	v_sub_f32_e32 v33, v33, v57
	v_add_f32_e32 v33, v33, v56
	v_exp_f32_e32 v33, v33
	v_cvt_i32_f32_e32 v56, v57
	v_cndmask_b32_e64 v12, 0, v12, s[0:1]
	v_cmp_nlt_f32_e64 s[0:1], s36, v0
	v_cmp_ngt_f32_e32 vcc, s35, v32
	v_ldexp_f32 v33, v33, v56
	v_cndmask_b32_e64 v0, v52, v12, s[0:1]
	v_cndmask_b32_e32 v33, 0, v33, vcc
	v_cmp_nlt_f32_e32 vcc, s36, v32
	v_add_f32_e32 v0, 1.0, v0
	v_rcp_f32_e32 v32, v0
	v_cndmask_b32_e32 v12, v52, v33, vcc
	v_cvt_f32_f16_e32 v0, v1
	v_cvt_f32_f16_sdwa v1, v1 dst_sel:DWORD dst_unused:UNUSED_PAD src0_sel:WORD_1
	v_add_f32_e32 v12, 1.0, v12
	v_rcp_f32_e32 v33, v12
	v_cvt_f16_f32_e32 v56, v19
	v_pk_add_f32 v[0:1], v[26:27], v[0:1]
	v_cvt_f16_f32_e32 v57, v18
	v_min_f32_e32 v0, 0x40e00000, v0
	v_pk_mul_f32 v[18:19], v[24:25], v[32:33]
	v_mul_f32_e32 v12, 0xbfd9db23, v0
	v_pk_mul_f32 v[18:19], v[20:21], v[18:19]
	v_mul_f32_e32 v20, 0x3fb8aa3b, v12
	v_fma_f32 v21, v12, s34, -v20
	v_rndne_f32_e32 v24, v20
	v_fmac_f32_e32 v21, 0x32a5705f, v12
	v_sub_f32_e32 v20, v20, v24
	v_add_f32_e32 v20, v20, v21
	v_exp_f32_e32 v20, v20
	v_cvt_i32_f32_e32 v21, v24
	v_min_f32_e32 v1, 0x40e00000, v1
	v_cvt_f16_f32_e32 v24, v19
	v_cvt_f16_f32_e32 v25, v18
	v_ldexp_f32 v18, v20, v21
	v_cmp_ngt_f32_e32 vcc, s35, v12
	v_mul_f32_e32 v19, 0xbfd9db23, v1
	s_nop 0
	v_cndmask_b32_e32 v18, 0, v18, vcc
	v_cmp_nlt_f32_e32 vcc, s36, v12
	v_mul_f32_e32 v12, 0x3fb8aa3b, v19
	v_fma_f32 v20, v19, s34, -v12
	v_rndne_f32_e32 v21, v12
	v_fmac_f32_e32 v20, 0x32a5705f, v19
	v_sub_f32_e32 v12, v12, v21
	v_add_f32_e32 v20, v12, v20
	v_exp_f32_e32 v20, v20
	v_cvt_i32_f32_e32 v21, v21
	v_cndmask_b32_e32 v18, v52, v18, vcc
	v_cmp_ngt_f32_e32 vcc, s35, v19
	v_cvt_f32_f16_e32 v12, v13
	v_ldexp_f32 v20, v20, v21
	v_cndmask_b32_e32 v20, 0, v20, vcc
	v_cmp_nlt_f32_e32 vcc, s36, v19
	v_cvt_f32_f16_sdwa v13, v13 dst_sel:DWORD dst_unused:UNUSED_PAD src0_sel:WORD_1
	v_cvt_f32_f16_sdwa v21, v2 dst_sel:DWORD dst_unused:UNUSED_PAD src0_sel:WORD_1
	v_cndmask_b32_e32 v19, v52, v20, vcc
	v_cvt_f32_f16_e32 v20, v2
	v_add_f32_e32 v18, 1.0, v18
	v_add_f32_e32 v19, 1.0, v19
	v_rcp_f32_e32 v18, v18
	v_rcp_f32_e32 v19, v19
	v_pk_add_f32 v[12:13], v[22:23], v[12:13]
	s_waitcnt vmcnt(1)
	v_pk_add_f32 v[8:9], v[8:9], v[20:21]
	v_med3_f32 v13, v13, s37, v53
	v_med3_f32 v12, v12, s37, v53
	v_min_f32_e32 v8, 0x40e00000, v8
	v_pk_mul_f32 v[0:1], v[0:1], v[18:19]
	v_pk_add_f32 v[12:13], v[12:13], 1.0 op_sel_hi:[1,0]
	v_mul_f32_e32 v2, 0xbfd9db23, v8
	v_pk_mul_f32 v[0:1], v[12:13], v[0:1]
	v_mul_f32_e32 v12, 0x3fb8aa3b, v2
	v_fma_f32 v13, v2, s34, -v12
	v_rndne_f32_e32 v18, v12
	v_fmac_f32_e32 v13, 0x32a5705f, v2
	v_sub_f32_e32 v12, v12, v18
	v_add_f32_e32 v12, v12, v13
	v_exp_f32_e32 v12, v12
	v_cvt_i32_f32_e32 v13, v18
	v_min_f32_e32 v9, 0x40e00000, v9
	v_cvt_f16_f32_e32 v19, v0
	v_cmp_ngt_f32_e32 vcc, s35, v2
	v_ldexp_f32 v0, v12, v13
	v_mul_f32_e32 v13, 0xbfd9db23, v9
	v_cndmask_b32_e32 v0, 0, v0, vcc
	v_cmp_nlt_f32_e32 vcc, s36, v2
	v_mul_f32_e32 v12, 0x3fb8aa3b, v13
	v_cvt_f16_f32_e32 v18, v1
	v_cndmask_b32_e32 v2, v52, v0, vcc
	v_cvt_f32_f16_e32 v0, v14
	v_cvt_f32_f16_sdwa v1, v14 dst_sel:DWORD dst_unused:UNUSED_PAD src0_sel:WORD_1
	v_fma_f32 v14, v13, s34, -v12
	v_rndne_f32_e32 v20, v12
	v_fmac_f32_e32 v14, 0x32a5705f, v13
	v_sub_f32_e32 v12, v12, v20
	v_add_f32_e32 v12, v12, v14
	v_exp_f32_e32 v14, v12
	v_cvt_i32_f32_e32 v20, v20
	v_add_f32_e32 v2, 1.0, v2
	v_rcp_f32_e32 v12, v2
	v_cmp_ngt_f32_e32 vcc, s35, v13
	v_ldexp_f32 v2, v14, v20
	s_waitcnt vmcnt(0)
	v_pk_add_f32 v[0:1], v[4:5], v[0:1]
	v_cndmask_b32_e32 v2, 0, v2, vcc
	v_cmp_nlt_f32_e32 vcc, s36, v13
	v_med3_f32 v1, v1, s37, v53
	v_med3_f32 v0, v0, s37, v53
	v_cndmask_b32_e32 v2, v52, v2, vcc
	v_add_f32_e32 v2, 1.0, v2
	v_rcp_f32_e32 v13, v2
	v_cvt_f32_f16_e32 v2, v3
	v_cvt_f32_f16_sdwa v3, v3 dst_sel:DWORD dst_unused:UNUSED_PAD src0_sel:WORD_1
	v_pk_add_f32 v[0:1], v[0:1], 1.0 op_sel_hi:[1,0]
	v_pk_mul_f32 v[4:5], v[8:9], v[12:13]
	v_pk_add_f32 v[2:3], v[10:11], v[2:3]
	s_nop 0
	v_min_f32_e32 v2, 0x40e00000, v2
	v_pk_mul_f32 v[0:1], v[0:1], v[4:5]
	v_mul_f32_e32 v4, 0xbfd9db23, v2
	v_mul_f32_e32 v5, 0x3fb8aa3b, v4
	v_fma_f32 v8, v4, s34, -v5
	v_rndne_f32_e32 v9, v5
	v_fmac_f32_e32 v8, 0x32a5705f, v4
	v_sub_f32_e32 v5, v5, v9
	v_add_f32_e32 v5, v5, v8
	v_exp_f32_e32 v5, v5
	v_cvt_i32_f32_e32 v8, v9
	v_min_f32_e32 v3, 0x40e00000, v3
	v_cvt_f16_f32_e32 v9, v1
	v_cvt_f16_f32_e32 v10, v0
	v_ldexp_f32 v0, v5, v8
	v_cmp_ngt_f32_e32 vcc, s35, v4
	v_mul_f32_e32 v1, 0xbfd9db23, v3
	s_nop 0
	v_cndmask_b32_e32 v0, 0, v0, vcc
	v_cmp_nlt_f32_e32 vcc, s36, v4
	v_mul_f32_e32 v4, 0x3fb8aa3b, v1
	v_fma_f32 v5, v1, s34, -v4
	v_rndne_f32_e32 v8, v4
	v_fmac_f32_e32 v5, 0x32a5705f, v1
	v_sub_f32_e32 v4, v4, v8
	v_add_f32_e32 v4, v4, v5
	v_exp_f32_e32 v11, v4
	v_cvt_i32_f32_e32 v8, v8
	v_cndmask_b32_e32 v0, v52, v0, vcc
	v_cmp_ngt_f32_e32 vcc, s35, v1
	v_cvt_f32_f16_e32 v4, v15
	v_ldexp_f32 v8, v11, v8
	v_cndmask_b32_e32 v8, 0, v8, vcc
	v_cmp_nlt_f32_e32 vcc, s36, v1
	v_cvt_f32_f16_sdwa v5, v15 dst_sel:DWORD dst_unused:UNUSED_PAD src0_sel:WORD_1
	v_add_f32_e32 v0, 1.0, v0
	v_cndmask_b32_e32 v1, v52, v8, vcc
	v_add_f32_e32 v1, 1.0, v1
	v_rcp_f32_e32 v0, v0
	v_rcp_f32_e32 v1, v1
	v_pk_add_f32 v[4:5], v[6:7], v[4:5]
	v_cmp_le_i64_e32 vcc, s[24:25], v[42:43]
	v_med3_f32 v5, v5, s37, v53
	v_med3_f32 v4, v4, s37, v53
	v_pk_mul_f32 v[0:1], v[2:3], v[0:1]
	v_pk_add_f32 v[2:3], v[4:5], 1.0 op_sel_hi:[1,0]
	s_or_b64 s[26:27], vcc, s[26:27]
	v_pk_mul_f32 v[0:1], v[2:3], v[0:1]
	v_pack_b32_f16 v3, v47, v46
	v_cvt_f16_f32_e32 v4, v1
	v_cvt_f16_f32_e32 v5, v0
	v_pack_b32_f16 v1, v41, v40
	v_pack_b32_f16 v2, v45, v44
	v_pack_b32_f16 v0, v55, v54
	buffer_store_dwordx4 v[0:3], v51, s[4:7], 0 offen
	s_nop 1
	v_pack_b32_f16 v3, v49, v48
	v_pack_b32_f16 v1, v37, v36
	v_pack_b32_f16 v2, v39, v38
	v_pack_b32_f16 v0, v35, v34
	buffer_store_dwordx4 v[0:3], v51, s[4:7], 16 offen
	s_nop 1
	v_pack_b32_f16 v3, v57, v56
	;; [unrolled: 6-line block ×3, first 2 shown]
	v_pack_b32_f16 v1, v19, v18
	v_pack_b32_f16 v2, v10, v9
	;; [unrolled: 1-line block ×3, first 2 shown]
	buffer_store_dwordx4 v[0:3], v51, s[4:7], 48 offen
	v_add_u32_e32 v51, s29, v51
	s_andn2_b64 exec, exec, s[26:27]
	s_cbranch_execnz .LBB313_8
.LBB313_9:
	s_endpgm
	.section	.rodata,"a",@progbits
	.p2align	6, 0x0
	.amdhsa_kernel _ZN5aiter30swiglu_act_and_mul_bias_kernelIDF16_DF16_ifLi32EEEvPT0_PKT_PKT1_PKT2_il
		.amdhsa_group_segment_fixed_size 0
		.amdhsa_private_segment_fixed_size 0
		.amdhsa_kernarg_size 304
		.amdhsa_user_sgpr_count 2
		.amdhsa_user_sgpr_dispatch_ptr 0
		.amdhsa_user_sgpr_queue_ptr 0
		.amdhsa_user_sgpr_kernarg_segment_ptr 1
		.amdhsa_user_sgpr_dispatch_id 0
		.amdhsa_user_sgpr_kernarg_preload_length 0
		.amdhsa_user_sgpr_kernarg_preload_offset 0
		.amdhsa_user_sgpr_private_segment_size 0
		.amdhsa_uses_dynamic_stack 0
		.amdhsa_enable_private_segment 0
		.amdhsa_system_sgpr_workgroup_id_x 1
		.amdhsa_system_sgpr_workgroup_id_y 0
		.amdhsa_system_sgpr_workgroup_id_z 0
		.amdhsa_system_sgpr_workgroup_info 0
		.amdhsa_system_vgpr_workitem_id 0
		.amdhsa_next_free_vgpr 61
		.amdhsa_next_free_sgpr 38
		.amdhsa_accum_offset 64
		.amdhsa_reserve_vcc 1
		.amdhsa_float_round_mode_32 0
		.amdhsa_float_round_mode_16_64 0
		.amdhsa_float_denorm_mode_32 3
		.amdhsa_float_denorm_mode_16_64 3
		.amdhsa_dx10_clamp 1
		.amdhsa_ieee_mode 1
		.amdhsa_fp16_overflow 0
		.amdhsa_tg_split 0
		.amdhsa_exception_fp_ieee_invalid_op 0
		.amdhsa_exception_fp_denorm_src 0
		.amdhsa_exception_fp_ieee_div_zero 0
		.amdhsa_exception_fp_ieee_overflow 0
		.amdhsa_exception_fp_ieee_underflow 0
		.amdhsa_exception_fp_ieee_inexact 0
		.amdhsa_exception_int_div_zero 0
	.end_amdhsa_kernel
	.section	.text._ZN5aiter30swiglu_act_and_mul_bias_kernelIDF16_DF16_ifLi32EEEvPT0_PKT_PKT1_PKT2_il,"axG",@progbits,_ZN5aiter30swiglu_act_and_mul_bias_kernelIDF16_DF16_ifLi32EEEvPT0_PKT_PKT1_PKT2_il,comdat
.Lfunc_end313:
	.size	_ZN5aiter30swiglu_act_and_mul_bias_kernelIDF16_DF16_ifLi32EEEvPT0_PKT_PKT1_PKT2_il, .Lfunc_end313-_ZN5aiter30swiglu_act_and_mul_bias_kernelIDF16_DF16_ifLi32EEEvPT0_PKT_PKT1_PKT2_il
                                        ; -- End function
	.section	.AMDGPU.csdata,"",@progbits
; Kernel info:
; codeLenInByte = 5504
; NumSgprs: 44
; NumVgprs: 61
; NumAgprs: 0
; TotalNumVgprs: 61
; ScratchSize: 0
; MemoryBound: 0
; FloatMode: 240
; IeeeMode: 1
; LDSByteSize: 0 bytes/workgroup (compile time only)
; SGPRBlocks: 5
; VGPRBlocks: 7
; NumSGPRsForWavesPerEU: 44
; NumVGPRsForWavesPerEU: 61
; AccumOffset: 64
; Occupancy: 8
; WaveLimiterHint : 0
; COMPUTE_PGM_RSRC2:SCRATCH_EN: 0
; COMPUTE_PGM_RSRC2:USER_SGPR: 2
; COMPUTE_PGM_RSRC2:TRAP_HANDLER: 0
; COMPUTE_PGM_RSRC2:TGID_X_EN: 1
; COMPUTE_PGM_RSRC2:TGID_Y_EN: 0
; COMPUTE_PGM_RSRC2:TGID_Z_EN: 0
; COMPUTE_PGM_RSRC2:TIDIG_COMP_CNT: 0
; COMPUTE_PGM_RSRC3_GFX90A:ACCUM_OFFSET: 15
; COMPUTE_PGM_RSRC3_GFX90A:TG_SPLIT: 0
	.section	.text._ZN5aiter30swiglu_act_and_mul_bias_kernelIDF16_DF16_ifLi16EEEvPT0_PKT_PKT1_PKT2_il,"axG",@progbits,_ZN5aiter30swiglu_act_and_mul_bias_kernelIDF16_DF16_ifLi16EEEvPT0_PKT_PKT1_PKT2_il,comdat
	.protected	_ZN5aiter30swiglu_act_and_mul_bias_kernelIDF16_DF16_ifLi16EEEvPT0_PKT_PKT1_PKT2_il ; -- Begin function _ZN5aiter30swiglu_act_and_mul_bias_kernelIDF16_DF16_ifLi16EEEvPT0_PKT_PKT1_PKT2_il
	.globl	_ZN5aiter30swiglu_act_and_mul_bias_kernelIDF16_DF16_ifLi16EEEvPT0_PKT_PKT1_PKT2_il
	.p2align	8
	.type	_ZN5aiter30swiglu_act_and_mul_bias_kernelIDF16_DF16_ifLi16EEEvPT0_PKT_PKT1_PKT2_il,@function
_ZN5aiter30swiglu_act_and_mul_bias_kernelIDF16_DF16_ifLi16EEEvPT0_PKT_PKT1_PKT2_il: ; @_ZN5aiter30swiglu_act_and_mul_bias_kernelIDF16_DF16_ifLi16EEEvPT0_PKT_PKT1_PKT2_il
; %bb.0:
	s_load_dword s24, s[0:1], 0x20
	s_load_dwordx2 s[4:5], s[0:1], 0x10
	s_load_dwordx2 s[12:13], s[0:1], 0x28
	s_mov_b32 s3, 0
	s_lshl_b64 s[6:7], s[2:3], 2
	s_waitcnt lgkmcnt(0)
	s_ashr_i32 s25, s24, 31
	s_add_u32 s4, s4, s6
	s_addc_u32 s5, s5, s7
	s_add_i32 s3, s24, 1
	s_load_dword s8, s[4:5], 0x0
	s_load_dwordx2 s[14:15], s[0:1], 0x0
	s_lshr_b32 s4, s3, 31
	s_add_i32 s3, s3, s4
	s_lshl_b32 s3, s3, 1
	s_and_b32 s6, s3, -4
	s_mul_hi_u32 s3, s24, s2
	s_mul_i32 s4, s25, s2
	s_add_i32 s5, s3, s4
	s_mul_i32 s4, s24, s2
	s_waitcnt lgkmcnt(0)
	s_ashr_i32 s9, s8, 31
	s_lshl_b64 s[4:5], s[4:5], 1
	v_mov_b64_e32 v[2:3], s[12:13]
	v_cmp_gt_i64_e64 s[16:17], s[8:9], -1
	s_add_u32 s4, s14, s4
	v_cmp_lt_i64_e32 vcc, s[8:9], v[2:3]
	s_addc_u32 s3, s15, s5
	s_and_b64 s[12:13], s[16:17], vcc
	s_mov_b64 s[10:11], -1
	s_and_b32 s5, s3, 0xffff
	s_and_b64 vcc, exec, s[12:13]
	v_lshlrev_b32_e32 v40, 4, v0
	s_cbranch_vccnz .LBB314_5
; %bb.1:
	v_cmp_gt_i32_e32 vcc, s24, v40
	s_and_saveexec_b64 s[10:11], vcc
	s_cbranch_execz .LBB314_4
; %bb.2:
	s_load_dword s3, s[0:1], 0x3c
	s_mov_b32 s13, 0
	s_mov_b32 s16, s13
	;; [unrolled: 1-line block ×3, first 2 shown]
	v_mov_b32_e32 v41, 0
	s_waitcnt lgkmcnt(0)
	s_and_b32 s3, s3, 0xffff
	s_mov_b32 s18, s13
	s_mov_b32 s19, s13
	v_mov_b64_e32 v[2:3], s[16:17]
	v_lshlrev_b32_e32 v1, 5, v0
	s_lshl_b32 s12, s3, 4
	s_lshl_b32 s3, s3, 5
	s_mov_b64 s[14:15], 0
	s_mov_b32 s7, 0x20000
	v_mov_b64_e32 v[4:5], s[18:19]
	v_mov_b64_e32 v[6:7], v[40:41]
.LBB314_3:                              ; =>This Inner Loop Header: Depth=1
	v_lshl_add_u64 v[6:7], s[12:13], 0, v[6:7]
	v_cmp_le_i64_e32 vcc, s[24:25], v[6:7]
	buffer_store_dwordx4 v[2:5], v1, s[4:7], 0 offen
	buffer_store_dwordx4 v[2:5], v1, s[4:7], 16 offen
	s_or_b64 s[14:15], vcc, s[14:15]
	v_add_u32_e32 v1, s3, v1
	s_andn2_b64 exec, exec, s[14:15]
	s_cbranch_execnz .LBB314_3
.LBB314_4:
	s_or_b64 exec, exec, s[10:11]
	s_mov_b64 s[10:11], 0
.LBB314_5:
	s_andn2_b64 vcc, exec, s[10:11]
	s_cbranch_vccnz .LBB314_9
; %bb.6:
	v_cmp_gt_i32_e32 vcc, s24, v40
	s_and_saveexec_b64 s[10:11], vcc
	s_cbranch_execz .LBB314_9
; %bb.7:
	s_load_dwordx2 s[14:15], s[0:1], 0x8
	s_load_dwordx2 s[10:11], s[0:1], 0x18
	s_mul_hi_i32 s9, s24, s8
	s_mul_i32 s8, s24, s8
	s_lshl_b64 s[8:9], s[8:9], 3
	s_load_dword s3, s[0:1], 0x3c
	s_waitcnt lgkmcnt(0)
	s_add_u32 s8, s10, s8
	s_addc_u32 s7, s11, s9
	s_lshl_b64 s[0:1], s[24:25], 2
	s_add_u32 s12, s8, s0
	s_addc_u32 s0, s7, s1
	s_and_b32 s13, s0, 0xffff
	s_mul_i32 s0, s2, s25
	s_mul_hi_u32 s1, s2, s24
	s_add_i32 s1, s1, s0
	s_mul_i32 s0, s2, s24
	s_lshl_b32 s10, s24, 2
	s_and_b32 s9, s7, 0xffff
	s_lshl_b64 s[0:1], s[0:1], 2
	s_add_u32 s16, s14, s0
	s_addc_u32 s2, s15, s1
	s_lshl_b64 s[0:1], s[24:25], 1
	s_add_u32 s20, s16, s0
	s_addc_u32 s0, s2, s1
	s_mov_b32 s7, 0x20000
	s_and_b32 s21, s0, 0xffff
	s_and_b32 s0, s3, 0xffff
	s_mov_b32 s11, s7
	s_and_b32 s17, s2, 0xffff
	s_mov_b32 s27, 0
	v_mov_b32_e32 v41, 0
	s_lshl_b32 s26, s0, 4
	v_lshlrev_b32_e32 v42, 6, v0
	s_lshl_b32 s30, s0, 6
	v_lshlrev_b32_e32 v43, 5, v0
	s_lshl_b32 s31, s0, 5
	s_mov_b64 s[28:29], 0
	s_mov_b32 s33, 0x3fb8aa3b
	s_mov_b32 s34, 0xc2ce8ed0
	;; [unrolled: 1-line block ×3, first 2 shown]
	v_mov_b32_e32 v44, 0x7f800000
	s_mov_b32 s36, 0xc0e00000
	v_mov_b32_e32 v45, 0x40e00000
	s_mov_b32 s18, s6
	s_mov_b32 s19, s7
	;; [unrolled: 1-line block ×4, first 2 shown]
.LBB314_8:                              ; =>This Inner Loop Header: Depth=1
	buffer_load_dwordx4 v[28:31], v43, s[16:19], 0 offen
	buffer_load_dwordx4 v[20:23], v43, s[20:23], 0 offen
	;; [unrolled: 1-line block ×3, first 2 shown]
	s_mov_b32 s14, s10
	s_mov_b32 s15, s11
	buffer_load_dwordx4 v[32:35], v42, s[12:15], 0 offen
	buffer_load_dwordx4 v[8:11], v43, s[16:19], 16 offen
	;; [unrolled: 1-line block ×7, first 2 shown]
	v_lshl_add_u64 v[40:41], s[26:27], 0, v[40:41]
	s_waitcnt vmcnt(9)
	v_cvt_f32_f16_e32 v46, v28
	v_cvt_f32_f16_sdwa v47, v28 dst_sel:DWORD dst_unused:UNUSED_PAD src0_sel:WORD_1
	v_cvt_f32_f16_e32 v28, v29
	v_cvt_f32_f16_sdwa v29, v29 dst_sel:DWORD dst_unused:UNUSED_PAD src0_sel:WORD_1
	s_waitcnt vmcnt(8)
	v_cvt_f32_f16_e32 v48, v20
	v_cvt_f32_f16_sdwa v49, v20 dst_sel:DWORD dst_unused:UNUSED_PAD src0_sel:WORD_1
	v_cvt_f32_f16_e32 v20, v21
	v_cvt_f32_f16_sdwa v21, v21 dst_sel:DWORD dst_unused:UNUSED_PAD src0_sel:WORD_1
	s_waitcnt vmcnt(7)
	v_pk_add_f32 v[12:13], v[12:13], v[46:47]
	v_pk_add_f32 v[14:15], v[14:15], v[28:29]
	v_min_f32_e32 v29, 0x40e00000, v13
	v_min_f32_e32 v28, 0x40e00000, v12
	s_waitcnt vmcnt(6)
	v_pk_add_f32 v[32:33], v[32:33], v[48:49]
	v_pk_add_f32 v[20:21], v[34:35], v[20:21]
	v_min_f32_e32 v48, 0x40e00000, v14
	v_mul_f32_e32 v12, 0xbfd9db23, v28
	v_mul_f32_e32 v13, 0xbfd9db23, v29
	v_min_f32_e32 v49, 0x40e00000, v15
	v_med3_f32 v50, v20, s36, v45
	v_mul_f32_e32 v20, 0xbfd9db23, v48
	v_mul_f32_e32 v14, 0x3fb8aa3b, v12
	;; [unrolled: 1-line block ×3, first 2 shown]
	v_med3_f32 v46, v32, s36, v45
	v_med3_f32 v51, v21, s36, v45
	v_mul_f32_e32 v21, 0xbfd9db23, v49
	v_mul_f32_e32 v32, 0x3fb8aa3b, v20
	v_fma_f32 v34, v12, s33, -v14
	v_rndne_f32_e32 v35, v14
	v_fma_f32 v52, v13, s33, -v15
	v_rndne_f32_e32 v53, v15
	v_med3_f32 v47, v33, s36, v45
	v_mul_f32_e32 v33, 0x3fb8aa3b, v21
	v_fma_f32 v54, v20, s33, -v32
	v_rndne_f32_e32 v55, v32
	v_fmac_f32_e32 v34, 0x32a5705f, v12
	v_sub_f32_e32 v14, v14, v35
	v_fmac_f32_e32 v52, 0x32a5705f, v13
	v_sub_f32_e32 v15, v15, v53
	v_add_f32_e32 v14, v14, v34
	v_fma_f32 v34, v21, s33, -v33
	v_add_f32_e32 v15, v15, v52
	v_rndne_f32_e32 v52, v33
	v_fmac_f32_e32 v54, 0x32a5705f, v20
	v_sub_f32_e32 v32, v32, v55
	v_cvt_i32_f32_e32 v35, v35
	v_fmac_f32_e32 v34, 0x32a5705f, v21
	v_sub_f32_e32 v33, v33, v52
	v_add_f32_e32 v32, v32, v54
	v_exp_f32_e32 v14, v14
	v_cvt_i32_f32_e32 v53, v53
	v_cvt_i32_f32_e32 v55, v55
	v_add_f32_e32 v33, v33, v34
	v_exp_f32_e32 v15, v15
	v_exp_f32_e32 v32, v32
	v_cvt_i32_f32_e32 v52, v52
	v_exp_f32_e32 v33, v33
	v_ldexp_f32 v14, v14, v35
	v_cmp_ngt_f32_e32 vcc, s34, v12
	v_ldexp_f32 v15, v15, v53
	v_ldexp_f32 v53, v32, v55
	v_cndmask_b32_e32 v54, 0, v14, vcc
	v_cmp_nlt_f32_e32 vcc, s35, v12
	v_cmp_ngt_f32_e64 s[2:3], s34, v20
	v_ldexp_f32 v52, v33, v52
	v_cmp_ngt_f32_e64 s[0:1], s34, v13
	v_cndmask_b32_e64 v53, 0, v53, s[2:3]
	v_cmp_ngt_f32_e64 s[2:3], s34, v21
	v_cndmask_b32_e32 v54, v44, v54, vcc
	v_cmp_nlt_f32_e32 vcc, s35, v20
	v_cndmask_b32_e64 v55, 0, v15, s[0:1]
	v_cmp_nlt_f32_e64 s[0:1], s35, v13
	v_cndmask_b32_e64 v52, 0, v52, s[2:3]
	v_cndmask_b32_e32 v20, v44, v53, vcc
	v_cmp_nlt_f32_e32 vcc, s35, v21
	v_cndmask_b32_e64 v55, v44, v55, s[0:1]
	v_add_f32_e32 v53, 1.0, v55
	v_cndmask_b32_e32 v21, v44, v52, vcc
	v_add_f32_e32 v52, 1.0, v54
	v_add_f32_e32 v54, 1.0, v20
	;; [unrolled: 1-line block ×3, first 2 shown]
	v_rcp_f32_e32 v20, v52
	v_rcp_f32_e32 v21, v53
	;; [unrolled: 1-line block ×4, first 2 shown]
	v_cvt_f32_f16_e32 v54, v30
	v_cvt_f32_f16_sdwa v55, v30 dst_sel:DWORD dst_unused:UNUSED_PAD src0_sel:WORD_1
	buffer_load_dwordx4 v[32:35], v42, s[12:15], 32 offen
	buffer_load_dwordx4 v[12:15], v42, s[12:15], 48 offen
	v_pk_add_f32 v[46:47], v[46:47], 1.0 op_sel_hi:[1,0]
	v_pk_mul_f32 v[20:21], v[28:29], v[20:21]
	s_waitcnt vmcnt(5)
	v_pk_add_f32 v[36:37], v[36:37], v[54:55]
	v_pk_mul_f32 v[46:47], v[46:47], v[20:21]
	v_min_f32_e32 v36, 0x40e00000, v36
	v_pk_mul_f32 v[28:29], v[48:49], v[52:53]
	v_cvt_f16_f32_e32 v20, v47
	v_cvt_f16_f32_e32 v21, v46
	v_pk_add_f32 v[46:47], v[50:51], 1.0 op_sel_hi:[1,0]
	v_mul_f32_e32 v30, 0xbfd9db23, v36
	v_pk_mul_f32 v[46:47], v[46:47], v[28:29]
	v_mul_f32_e32 v28, 0x3fb8aa3b, v30
	v_fma_f32 v29, v30, s33, -v28
	v_rndne_f32_e32 v48, v28
	v_fmac_f32_e32 v29, 0x32a5705f, v30
	v_sub_f32_e32 v28, v28, v48
	v_add_f32_e32 v28, v28, v29
	v_exp_f32_e32 v49, v28
	v_cvt_i32_f32_e32 v48, v48
	v_cvt_f16_f32_e32 v29, v46
	v_cmp_ngt_f32_e32 vcc, s34, v30
	v_min_f32_e32 v37, 0x40e00000, v37
	v_ldexp_f32 v46, v49, v48
	v_cndmask_b32_e32 v46, 0, v46, vcc
	v_cmp_nlt_f32_e32 vcc, s35, v30
	v_cvt_f16_f32_e32 v28, v47
	v_cvt_f32_f16_sdwa v47, v22 dst_sel:DWORD dst_unused:UNUSED_PAD src0_sel:WORD_1
	v_cndmask_b32_e32 v30, v44, v46, vcc
	v_cvt_f32_f16_e32 v46, v22
	v_mul_f32_e32 v22, 0xbfd9db23, v37
	v_mul_f32_e32 v48, 0x3fb8aa3b, v22
	v_fma_f32 v49, v22, s33, -v48
	v_rndne_f32_e32 v50, v48
	v_fmac_f32_e32 v49, 0x32a5705f, v22
	v_sub_f32_e32 v48, v48, v50
	v_add_f32_e32 v48, v48, v49
	v_exp_f32_e32 v49, v48
	v_cvt_i32_f32_e32 v50, v50
	v_add_f32_e32 v30, 1.0, v30
	v_rcp_f32_e32 v48, v30
	v_cmp_ngt_f32_e32 vcc, s34, v22
	v_ldexp_f32 v30, v49, v50
	s_waitcnt vmcnt(2)
	v_pk_add_f32 v[24:25], v[24:25], v[46:47]
	v_cndmask_b32_e32 v30, 0, v30, vcc
	v_cmp_nlt_f32_e32 vcc, s35, v22
	v_med3_f32 v25, v25, s36, v45
	v_med3_f32 v24, v24, s36, v45
	v_cndmask_b32_e32 v22, v44, v30, vcc
	v_add_f32_e32 v22, 1.0, v22
	v_cvt_f32_f16_e32 v30, v31
	v_cvt_f32_f16_sdwa v31, v31 dst_sel:DWORD dst_unused:UNUSED_PAD src0_sel:WORD_1
	v_rcp_f32_e32 v49, v22
	v_pk_add_f32 v[24:25], v[24:25], 1.0 op_sel_hi:[1,0]
	v_add_u32_e32 v42, s30, v42
	v_pk_add_f32 v[30:31], v[38:39], v[30:31]
	v_pk_mul_f32 v[36:37], v[36:37], v[48:49]
	v_min_f32_e32 v30, 0x40e00000, v30
	v_pk_mul_f32 v[24:25], v[24:25], v[36:37]
	v_mul_f32_e32 v36, 0xbfd9db23, v30
	v_mul_f32_e32 v22, 0x3fb8aa3b, v36
	v_fma_f32 v37, v36, s33, -v22
	v_rndne_f32_e32 v38, v22
	v_fmac_f32_e32 v37, 0x32a5705f, v36
	v_sub_f32_e32 v22, v22, v38
	v_add_f32_e32 v22, v22, v37
	v_exp_f32_e32 v37, v22
	v_cvt_i32_f32_e32 v38, v38
	v_cvt_f16_f32_e32 v22, v25
	v_min_f32_e32 v31, 0x40e00000, v31
	v_cmp_ngt_f32_e32 vcc, s34, v36
	v_ldexp_f32 v25, v37, v38
	v_cvt_f32_f16_sdwa v37, v23 dst_sel:DWORD dst_unused:UNUSED_PAD src0_sel:WORD_1
	v_cndmask_b32_e32 v25, 0, v25, vcc
	v_cmp_nlt_f32_e32 vcc, s35, v36
	v_cvt_f32_f16_e32 v36, v23
	v_mul_f32_e32 v23, 0xbfd9db23, v31
	v_mul_f32_e32 v38, 0x3fb8aa3b, v23
	v_fma_f32 v39, v23, s33, -v38
	v_rndne_f32_e32 v46, v38
	v_fmac_f32_e32 v39, 0x32a5705f, v23
	v_sub_f32_e32 v38, v38, v46
	v_add_f32_e32 v38, v38, v39
	v_exp_f32_e32 v39, v38
	v_cvt_i32_f32_e32 v46, v46
	v_cndmask_b32_e32 v25, v44, v25, vcc
	v_add_f32_e32 v25, 1.0, v25
	v_rcp_f32_e32 v38, v25
	v_ldexp_f32 v25, v39, v46
	v_cmp_ngt_f32_e32 vcc, s34, v23
	v_pk_add_f32 v[26:27], v[26:27], v[36:37]
	v_cvt_f32_f16_e32 v36, v8
	v_cndmask_b32_e32 v25, 0, v25, vcc
	v_cmp_nlt_f32_e32 vcc, s35, v23
	v_cvt_f32_f16_sdwa v37, v8 dst_sel:DWORD dst_unused:UNUSED_PAD src0_sel:WORD_1
	v_med3_f32 v27, v27, s36, v45
	v_cndmask_b32_e32 v23, v44, v25, vcc
	v_add_f32_e32 v23, 1.0, v23
	v_rcp_f32_e32 v39, v23
	v_med3_f32 v26, v26, s36, v45
	v_pk_add_f32 v[26:27], v[26:27], 1.0 op_sel_hi:[1,0]
	v_pk_add_f32 v[16:17], v[16:17], v[36:37]
	v_pk_mul_f32 v[30:31], v[30:31], v[38:39]
	v_cvt_f16_f32_e32 v24, v24
	v_pk_mul_f32 v[26:27], v[26:27], v[30:31]
	v_min_f32_e32 v30, 0x40e00000, v16
	v_mul_f32_e32 v23, 0xbfd9db23, v30
	v_mul_f32_e32 v8, 0x3fb8aa3b, v23
	v_fma_f32 v16, v23, s33, -v8
	v_rndne_f32_e32 v25, v8
	v_fmac_f32_e32 v16, 0x32a5705f, v23
	v_sub_f32_e32 v8, v8, v25
	v_add_f32_e32 v8, v8, v16
	v_exp_f32_e32 v36, v8
	v_cvt_i32_f32_e32 v25, v25
	v_min_f32_e32 v31, 0x40e00000, v17
	v_cvt_f16_f32_e32 v8, v27
	v_cvt_f16_f32_e32 v16, v26
	v_ldexp_f32 v17, v36, v25
	v_cmp_ngt_f32_e32 vcc, s34, v23
	v_cvt_f32_f16_e32 v26, v0
	v_cvt_f32_f16_sdwa v27, v0 dst_sel:DWORD dst_unused:UNUSED_PAD src0_sel:WORD_1
	v_mul_f32_e32 v0, 0xbfd9db23, v31
	v_cndmask_b32_e32 v17, 0, v17, vcc
	v_cmp_nlt_f32_e32 vcc, s35, v23
	v_mul_f32_e32 v23, 0x3fb8aa3b, v0
	v_fma_f32 v25, v0, s33, -v23
	v_rndne_f32_e32 v36, v23
	v_fmac_f32_e32 v25, 0x32a5705f, v0
	v_sub_f32_e32 v23, v23, v36
	v_add_f32_e32 v23, v23, v25
	v_exp_f32_e32 v23, v23
	v_cvt_i32_f32_e32 v25, v36
	v_cndmask_b32_e32 v17, v44, v17, vcc
	s_waitcnt vmcnt(1)
	v_pk_add_f32 v[26:27], v[32:33], v[26:27]
	v_cvt_f32_f16_e32 v32, v9
	v_cvt_f32_f16_sdwa v33, v9 dst_sel:DWORD dst_unused:UNUSED_PAD src0_sel:WORD_1
	v_add_f32_e32 v17, 1.0, v17
	v_rcp_f32_e32 v36, v17
	v_ldexp_f32 v17, v23, v25
	v_cmp_ngt_f32_e32 vcc, s34, v0
	v_pk_add_f32 v[18:19], v[18:19], v[32:33]
	v_med3_f32 v27, v27, s36, v45
	v_cndmask_b32_e32 v17, 0, v17, vcc
	v_cmp_nlt_f32_e32 vcc, s35, v0
	v_min_f32_e32 v18, 0x40e00000, v18
	v_med3_f32 v26, v26, s36, v45
	v_cndmask_b32_e32 v0, v44, v17, vcc
	v_add_f32_e32 v0, 1.0, v0
	v_rcp_f32_e32 v37, v0
	v_mul_f32_e32 v0, 0xbfd9db23, v18
	v_mul_f32_e32 v9, 0x3fb8aa3b, v0
	v_fma_f32 v17, v0, s33, -v9
	v_rndne_f32_e32 v23, v9
	v_fmac_f32_e32 v17, 0x32a5705f, v0
	v_sub_f32_e32 v9, v9, v23
	v_add_f32_e32 v9, v9, v17
	v_exp_f32_e32 v9, v9
	v_cvt_i32_f32_e32 v17, v23
	v_pk_mul_f32 v[30:31], v[30:31], v[36:37]
	v_pk_add_f32 v[26:27], v[26:27], 1.0 op_sel_hi:[1,0]
	v_min_f32_e32 v19, 0x40e00000, v19
	v_pk_mul_f32 v[26:27], v[26:27], v[30:31]
	v_ldexp_f32 v9, v9, v17
	v_mul_f32_e32 v17, 0xbfd9db23, v19
	v_cvt_f16_f32_e32 v25, v26
	v_mul_f32_e32 v26, 0x3fb8aa3b, v17
	v_cvt_f16_f32_e32 v23, v27
	v_fma_f32 v27, v17, s33, -v26
	v_rndne_f32_e32 v30, v26
	v_fmac_f32_e32 v27, 0x32a5705f, v17
	v_sub_f32_e32 v26, v26, v30
	v_add_f32_e32 v26, v26, v27
	v_cmp_ngt_f32_e32 vcc, s34, v0
	v_exp_f32_e32 v27, v26
	v_cvt_i32_f32_e32 v30, v30
	v_cndmask_b32_e32 v9, 0, v9, vcc
	v_cmp_nlt_f32_e32 vcc, s35, v0
	v_cvt_f32_f16_sdwa v31, v10 dst_sel:DWORD dst_unused:UNUSED_PAD src0_sel:WORD_1
	s_nop 0
	v_cndmask_b32_e32 v0, v44, v9, vcc
	v_add_f32_e32 v9, 1.0, v0
	v_rcp_f32_e32 v26, v9
	v_ldexp_f32 v9, v27, v30
	v_cmp_ngt_f32_e32 vcc, s34, v17
	v_cvt_f32_f16_e32 v30, v10
	v_cvt_f32_f16_e32 v0, v1
	v_cndmask_b32_e32 v9, 0, v9, vcc
	v_cmp_nlt_f32_e32 vcc, s35, v17
	v_cvt_f32_f16_sdwa v1, v1 dst_sel:DWORD dst_unused:UNUSED_PAD src0_sel:WORD_1
	v_pk_add_f32 v[4:5], v[4:5], v[30:31]
	v_cndmask_b32_e32 v9, v44, v9, vcc
	v_add_f32_e32 v9, 1.0, v9
	v_rcp_f32_e32 v27, v9
	v_pk_add_f32 v[0:1], v[34:35], v[0:1]
	v_min_f32_e32 v4, 0x40e00000, v4
	v_med3_f32 v1, v1, s36, v45
	v_med3_f32 v0, v0, s36, v45
	v_mul_f32_e32 v9, 0xbfd9db23, v4
	v_pk_mul_f32 v[18:19], v[18:19], v[26:27]
	v_pk_add_f32 v[0:1], v[0:1], 1.0 op_sel_hi:[1,0]
	v_mul_f32_e32 v10, 0x3fb8aa3b, v9
	v_pk_mul_f32 v[0:1], v[0:1], v[18:19]
	v_fma_f32 v17, v9, s33, -v10
	v_rndne_f32_e32 v18, v10
	v_fmac_f32_e32 v17, 0x32a5705f, v9
	v_sub_f32_e32 v10, v10, v18
	v_add_f32_e32 v10, v10, v17
	v_exp_f32_e32 v10, v10
	v_cvt_i32_f32_e32 v17, v18
	v_cvt_f16_f32_e32 v27, v0
	v_cmp_ngt_f32_e32 vcc, s34, v9
	v_min_f32_e32 v5, 0x40e00000, v5
	v_ldexp_f32 v0, v10, v17
	v_cndmask_b32_e32 v0, 0, v0, vcc
	v_cmp_nlt_f32_e32 vcc, s35, v9
	v_cvt_f16_f32_e32 v26, v1
	v_cvt_f32_f16_sdwa v1, v2 dst_sel:DWORD dst_unused:UNUSED_PAD src0_sel:WORD_1
	v_cndmask_b32_e32 v0, v44, v0, vcc
	v_add_f32_e32 v9, 1.0, v0
	v_cvt_f32_f16_e32 v0, v2
	v_mul_f32_e32 v2, 0xbfd9db23, v5
	v_mul_f32_e32 v10, 0x3fb8aa3b, v2
	v_fma_f32 v17, v2, s33, -v10
	v_rndne_f32_e32 v18, v10
	v_fmac_f32_e32 v17, 0x32a5705f, v2
	v_sub_f32_e32 v10, v10, v18
	v_add_f32_e32 v10, v10, v17
	v_exp_f32_e32 v10, v10
	v_cvt_i32_f32_e32 v17, v18
	v_rcp_f32_e32 v18, v9
	v_cmp_ngt_f32_e32 vcc, s34, v2
	s_waitcnt vmcnt(0)
	v_pk_add_f32 v[0:1], v[12:13], v[0:1]
	v_ldexp_f32 v9, v10, v17
	v_cndmask_b32_e32 v9, 0, v9, vcc
	v_cmp_nlt_f32_e32 vcc, s35, v2
	v_cvt_f32_f16_e32 v10, v11
	v_cvt_f32_f16_sdwa v11, v11 dst_sel:DWORD dst_unused:UNUSED_PAD src0_sel:WORD_1
	v_cndmask_b32_e32 v2, v44, v9, vcc
	v_add_f32_e32 v2, 1.0, v2
	v_rcp_f32_e32 v19, v2
	v_med3_f32 v1, v1, s36, v45
	v_med3_f32 v0, v0, s36, v45
	v_pk_add_f32 v[0:1], v[0:1], 1.0 op_sel_hi:[1,0]
	v_pk_mul_f32 v[4:5], v[4:5], v[18:19]
	s_nop 0
	v_pk_mul_f32 v[0:1], v[0:1], v[4:5]
	v_pk_add_f32 v[4:5], v[6:7], v[10:11]
	v_cvt_f16_f32_e32 v10, v0
	v_min_f32_e32 v4, 0x40e00000, v4
	v_mul_f32_e32 v2, 0xbfd9db23, v4
	v_mul_f32_e32 v6, 0x3fb8aa3b, v2
	v_fma_f32 v7, v2, s33, -v6
	v_rndne_f32_e32 v9, v6
	v_fmac_f32_e32 v7, 0x32a5705f, v2
	v_sub_f32_e32 v6, v6, v9
	v_add_f32_e32 v6, v6, v7
	v_exp_f32_e32 v6, v6
	v_cvt_i32_f32_e32 v7, v9
	v_min_f32_e32 v5, 0x40e00000, v5
	v_cvt_f16_f32_e32 v9, v1
	v_cmp_ngt_f32_e32 vcc, s34, v2
	v_ldexp_f32 v0, v6, v7
	v_mul_f32_e32 v1, 0xbfd9db23, v5
	v_cndmask_b32_e32 v0, 0, v0, vcc
	v_cmp_nlt_f32_e32 vcc, s35, v2
	v_mul_f32_e32 v2, 0x3fb8aa3b, v1
	v_fma_f32 v6, v1, s33, -v2
	v_rndne_f32_e32 v7, v2
	v_fmac_f32_e32 v6, 0x32a5705f, v1
	v_sub_f32_e32 v2, v2, v7
	v_add_f32_e32 v2, v2, v6
	v_exp_f32_e32 v6, v2
	v_cvt_i32_f32_e32 v7, v7
	v_cndmask_b32_e32 v0, v44, v0, vcc
	v_cmp_ngt_f32_e32 vcc, s34, v1
	v_cvt_f32_f16_e32 v2, v3
	v_ldexp_f32 v6, v6, v7
	v_cndmask_b32_e32 v6, 0, v6, vcc
	v_cmp_nlt_f32_e32 vcc, s35, v1
	v_cvt_f32_f16_sdwa v3, v3 dst_sel:DWORD dst_unused:UNUSED_PAD src0_sel:WORD_1
	v_add_f32_e32 v0, 1.0, v0
	v_cndmask_b32_e32 v1, v44, v6, vcc
	v_add_f32_e32 v1, 1.0, v1
	v_rcp_f32_e32 v0, v0
	v_rcp_f32_e32 v1, v1
	v_pk_add_f32 v[2:3], v[14:15], v[2:3]
	v_cmp_le_i64_e32 vcc, s[24:25], v[40:41]
	v_med3_f32 v3, v3, s36, v45
	v_med3_f32 v2, v2, s36, v45
	v_pk_mul_f32 v[0:1], v[4:5], v[0:1]
	v_pk_add_f32 v[2:3], v[2:3], 1.0 op_sel_hi:[1,0]
	s_or_b64 s[28:29], vcc, s[28:29]
	v_pk_mul_f32 v[0:1], v[2:3], v[0:1]
	v_pack_b32_f16 v3, v16, v8
	v_cvt_f16_f32_e32 v4, v1
	v_cvt_f16_f32_e32 v5, v0
	v_pack_b32_f16 v1, v29, v28
	v_pack_b32_f16 v2, v24, v22
	;; [unrolled: 1-line block ×3, first 2 shown]
	buffer_store_dwordx4 v[0:3], v43, s[4:7], 0 offen
	s_nop 1
	v_pack_b32_f16 v3, v5, v4
	v_pack_b32_f16 v1, v27, v26
	;; [unrolled: 1-line block ×4, first 2 shown]
	buffer_store_dwordx4 v[0:3], v43, s[4:7], 16 offen
	v_add_u32_e32 v43, s31, v43
	s_andn2_b64 exec, exec, s[28:29]
	s_cbranch_execnz .LBB314_8
.LBB314_9:
	s_endpgm
	.section	.rodata,"a",@progbits
	.p2align	6, 0x0
	.amdhsa_kernel _ZN5aiter30swiglu_act_and_mul_bias_kernelIDF16_DF16_ifLi16EEEvPT0_PKT_PKT1_PKT2_il
		.amdhsa_group_segment_fixed_size 0
		.amdhsa_private_segment_fixed_size 0
		.amdhsa_kernarg_size 304
		.amdhsa_user_sgpr_count 2
		.amdhsa_user_sgpr_dispatch_ptr 0
		.amdhsa_user_sgpr_queue_ptr 0
		.amdhsa_user_sgpr_kernarg_segment_ptr 1
		.amdhsa_user_sgpr_dispatch_id 0
		.amdhsa_user_sgpr_kernarg_preload_length 0
		.amdhsa_user_sgpr_kernarg_preload_offset 0
		.amdhsa_user_sgpr_private_segment_size 0
		.amdhsa_uses_dynamic_stack 0
		.amdhsa_enable_private_segment 0
		.amdhsa_system_sgpr_workgroup_id_x 1
		.amdhsa_system_sgpr_workgroup_id_y 0
		.amdhsa_system_sgpr_workgroup_id_z 0
		.amdhsa_system_sgpr_workgroup_info 0
		.amdhsa_system_vgpr_workitem_id 0
		.amdhsa_next_free_vgpr 56
		.amdhsa_next_free_sgpr 37
		.amdhsa_accum_offset 56
		.amdhsa_reserve_vcc 1
		.amdhsa_float_round_mode_32 0
		.amdhsa_float_round_mode_16_64 0
		.amdhsa_float_denorm_mode_32 3
		.amdhsa_float_denorm_mode_16_64 3
		.amdhsa_dx10_clamp 1
		.amdhsa_ieee_mode 1
		.amdhsa_fp16_overflow 0
		.amdhsa_tg_split 0
		.amdhsa_exception_fp_ieee_invalid_op 0
		.amdhsa_exception_fp_denorm_src 0
		.amdhsa_exception_fp_ieee_div_zero 0
		.amdhsa_exception_fp_ieee_overflow 0
		.amdhsa_exception_fp_ieee_underflow 0
		.amdhsa_exception_fp_ieee_inexact 0
		.amdhsa_exception_int_div_zero 0
	.end_amdhsa_kernel
	.section	.text._ZN5aiter30swiglu_act_and_mul_bias_kernelIDF16_DF16_ifLi16EEEvPT0_PKT_PKT1_PKT2_il,"axG",@progbits,_ZN5aiter30swiglu_act_and_mul_bias_kernelIDF16_DF16_ifLi16EEEvPT0_PKT_PKT1_PKT2_il,comdat
.Lfunc_end314:
	.size	_ZN5aiter30swiglu_act_and_mul_bias_kernelIDF16_DF16_ifLi16EEEvPT0_PKT_PKT1_PKT2_il, .Lfunc_end314-_ZN5aiter30swiglu_act_and_mul_bias_kernelIDF16_DF16_ifLi16EEEvPT0_PKT_PKT1_PKT2_il
                                        ; -- End function
	.section	.AMDGPU.csdata,"",@progbits
; Kernel info:
; codeLenInByte = 3052
; NumSgprs: 43
; NumVgprs: 56
; NumAgprs: 0
; TotalNumVgprs: 56
; ScratchSize: 0
; MemoryBound: 0
; FloatMode: 240
; IeeeMode: 1
; LDSByteSize: 0 bytes/workgroup (compile time only)
; SGPRBlocks: 5
; VGPRBlocks: 6
; NumSGPRsForWavesPerEU: 43
; NumVGPRsForWavesPerEU: 56
; AccumOffset: 56
; Occupancy: 8
; WaveLimiterHint : 0
; COMPUTE_PGM_RSRC2:SCRATCH_EN: 0
; COMPUTE_PGM_RSRC2:USER_SGPR: 2
; COMPUTE_PGM_RSRC2:TRAP_HANDLER: 0
; COMPUTE_PGM_RSRC2:TGID_X_EN: 1
; COMPUTE_PGM_RSRC2:TGID_Y_EN: 0
; COMPUTE_PGM_RSRC2:TGID_Z_EN: 0
; COMPUTE_PGM_RSRC2:TIDIG_COMP_CNT: 0
; COMPUTE_PGM_RSRC3_GFX90A:ACCUM_OFFSET: 13
; COMPUTE_PGM_RSRC3_GFX90A:TG_SPLIT: 0
	.section	.text._ZN5aiter30swiglu_act_and_mul_bias_kernelIDF16_DF16_ifLi8EEEvPT0_PKT_PKT1_PKT2_il,"axG",@progbits,_ZN5aiter30swiglu_act_and_mul_bias_kernelIDF16_DF16_ifLi8EEEvPT0_PKT_PKT1_PKT2_il,comdat
	.protected	_ZN5aiter30swiglu_act_and_mul_bias_kernelIDF16_DF16_ifLi8EEEvPT0_PKT_PKT1_PKT2_il ; -- Begin function _ZN5aiter30swiglu_act_and_mul_bias_kernelIDF16_DF16_ifLi8EEEvPT0_PKT_PKT1_PKT2_il
	.globl	_ZN5aiter30swiglu_act_and_mul_bias_kernelIDF16_DF16_ifLi8EEEvPT0_PKT_PKT1_PKT2_il
	.p2align	8
	.type	_ZN5aiter30swiglu_act_and_mul_bias_kernelIDF16_DF16_ifLi8EEEvPT0_PKT_PKT1_PKT2_il,@function
_ZN5aiter30swiglu_act_and_mul_bias_kernelIDF16_DF16_ifLi8EEEvPT0_PKT_PKT1_PKT2_il: ; @_ZN5aiter30swiglu_act_and_mul_bias_kernelIDF16_DF16_ifLi8EEEvPT0_PKT_PKT1_PKT2_il
; %bb.0:
	s_load_dword s20, s[0:1], 0x20
	s_load_dwordx2 s[4:5], s[0:1], 0x10
	s_load_dwordx2 s[12:13], s[0:1], 0x28
	s_mov_b32 s3, 0
	s_lshl_b64 s[6:7], s[2:3], 2
	s_waitcnt lgkmcnt(0)
	s_ashr_i32 s21, s20, 31
	s_add_u32 s4, s4, s6
	s_addc_u32 s5, s5, s7
	s_add_i32 s3, s20, 1
	s_load_dword s8, s[4:5], 0x0
	s_load_dwordx2 s[14:15], s[0:1], 0x0
	s_lshr_b32 s4, s3, 31
	s_add_i32 s3, s3, s4
	s_lshl_b32 s3, s3, 1
	s_and_b32 s6, s3, -4
	s_mul_hi_u32 s3, s20, s2
	s_mul_i32 s4, s21, s2
	s_add_i32 s5, s3, s4
	s_mul_i32 s4, s20, s2
	s_waitcnt lgkmcnt(0)
	s_ashr_i32 s9, s8, 31
	s_lshl_b64 s[4:5], s[4:5], 1
	v_mov_b64_e32 v[2:3], s[12:13]
	v_cmp_gt_i64_e64 s[16:17], s[8:9], -1
	s_add_u32 s4, s14, s4
	v_cmp_lt_i64_e32 vcc, s[8:9], v[2:3]
	s_addc_u32 s3, s15, s5
	s_and_b64 s[12:13], s[16:17], vcc
	s_mov_b64 s[10:11], -1
	s_and_b32 s5, s3, 0xffff
	s_and_b64 vcc, exec, s[12:13]
	v_lshlrev_b32_e32 v24, 3, v0
	s_cbranch_vccnz .LBB315_5
; %bb.1:
	v_cmp_gt_i32_e32 vcc, s20, v24
	s_and_saveexec_b64 s[10:11], vcc
	s_cbranch_execz .LBB315_4
; %bb.2:
	s_load_dword s3, s[0:1], 0x3c
	v_mov_b32_e32 v25, 0
	s_mov_b32 s13, 0
	v_lshlrev_b32_e32 v1, 4, v0
	s_mov_b64 s[14:15], 0
	s_waitcnt lgkmcnt(0)
	s_and_b32 s3, s3, 0xffff
	s_lshl_b32 s12, s3, 3
	s_lshl_b32 s3, s3, 4
	s_mov_b32 s7, 0x20000
	v_mov_b32_e32 v2, v25
	v_mov_b32_e32 v3, v25
	;; [unrolled: 1-line block ×4, first 2 shown]
	v_mov_b64_e32 v[6:7], v[24:25]
.LBB315_3:                              ; =>This Inner Loop Header: Depth=1
	v_lshl_add_u64 v[6:7], s[12:13], 0, v[6:7]
	v_cmp_le_i64_e32 vcc, s[20:21], v[6:7]
	buffer_store_dwordx4 v[2:5], v1, s[4:7], 0 offen
	s_or_b64 s[14:15], vcc, s[14:15]
	v_add_u32_e32 v1, s3, v1
	s_andn2_b64 exec, exec, s[14:15]
	s_cbranch_execnz .LBB315_3
.LBB315_4:
	s_or_b64 exec, exec, s[10:11]
	s_mov_b64 s[10:11], 0
.LBB315_5:
	s_andn2_b64 vcc, exec, s[10:11]
	s_cbranch_vccnz .LBB315_9
; %bb.6:
	v_cmp_gt_i32_e32 vcc, s20, v24
	s_and_saveexec_b64 s[10:11], vcc
	s_cbranch_execz .LBB315_9
; %bb.7:
	s_load_dwordx2 s[12:13], s[0:1], 0x8
	s_load_dwordx2 s[10:11], s[0:1], 0x18
	s_mul_hi_i32 s9, s20, s8
	s_mul_i32 s8, s20, s8
	s_lshl_b64 s[8:9], s[8:9], 3
	s_load_dword s14, s[0:1], 0x3c
	s_waitcnt lgkmcnt(0)
	s_add_u32 s8, s10, s8
	s_addc_u32 s3, s11, s9
	s_lshl_b64 s[0:1], s[20:21], 2
	s_add_u32 s0, s8, s0
	s_addc_u32 s1, s3, s1
	s_and_b32 s9, s3, 0xffff
	s_mul_i32 s3, s2, s21
	s_mul_hi_u32 s15, s2, s20
	s_add_i32 s3, s15, s3
	s_mul_i32 s2, s2, s20
	s_lshl_b32 s10, s20, 2
	s_and_b32 s1, s1, 0xffff
	s_lshl_b64 s[2:3], s[2:3], 2
	s_add_u32 s12, s12, s2
	s_addc_u32 s13, s13, s3
	s_lshl_b64 s[2:3], s[20:21], 1
	s_add_u32 s16, s12, s2
	s_addc_u32 s2, s13, s3
	s_mov_b32 s7, 0x20000
	s_and_b32 s17, s2, 0xffff
	s_and_b32 s2, s14, 0xffff
	s_mov_b32 s11, s7
	s_and_b32 s13, s13, 0xffff
	s_mov_b32 s23, 0
	v_mov_b32_e32 v25, 0
	s_lshl_b32 s22, s2, 3
	v_lshlrev_b32_e32 v26, 5, v0
	s_lshl_b32 s26, s2, 5
	v_lshlrev_b32_e32 v27, 4, v0
	s_lshl_b32 s27, s2, 4
	s_mov_b64 s[24:25], 0
	s_mov_b32 s28, 0x3fb8aa3b
	s_mov_b32 s29, 0xc2ce8ed0
	;; [unrolled: 1-line block ×3, first 2 shown]
	v_mov_b32_e32 v28, 0x7f800000
	s_mov_b32 s31, 0xc0e00000
	v_mov_b32_e32 v29, 0x40e00000
	s_mov_b32 s14, s6
	s_mov_b32 s15, s7
	;; [unrolled: 1-line block ×4, first 2 shown]
.LBB315_8:                              ; =>This Inner Loop Header: Depth=1
	buffer_load_dwordx4 v[8:11], v27, s[12:15], 0 offen
	buffer_load_dwordx4 v[0:3], v27, s[16:19], 0 offen
	s_mov_b32 s2, s10
	s_mov_b32 s3, s11
	buffer_load_dwordx4 v[16:19], v26, s[8:11], 0 offen
	buffer_load_dwordx4 v[20:23], v26, s[0:3], 0 offen
	;; [unrolled: 1-line block ×4, first 2 shown]
	v_lshl_add_u64 v[24:25], s[22:23], 0, v[24:25]
	v_add_u32_e32 v26, s26, v26
	s_waitcnt vmcnt(5)
	v_cvt_f32_f16_e32 v30, v8
	v_cvt_f32_f16_sdwa v31, v8 dst_sel:DWORD dst_unused:UNUSED_PAD src0_sel:WORD_1
	s_waitcnt vmcnt(4)
	v_cvt_f32_f16_e32 v32, v0
	v_cvt_f32_f16_sdwa v33, v0 dst_sel:DWORD dst_unused:UNUSED_PAD src0_sel:WORD_1
	v_cvt_f32_f16_e32 v0, v1
	v_cvt_f32_f16_sdwa v1, v1 dst_sel:DWORD dst_unused:UNUSED_PAD src0_sel:WORD_1
	;; [unrolled: 2-line block ×4, first 2 shown]
	s_waitcnt vmcnt(3)
	v_pk_add_f32 v[16:17], v[16:17], v[30:31]
	s_waitcnt vmcnt(2)
	v_pk_add_f32 v[20:21], v[20:21], v[32:33]
	v_pk_add_f32 v[0:1], v[22:23], v[0:1]
	v_min_f32_e32 v16, 0x40e00000, v16
	v_pk_add_f32 v[8:9], v[18:19], v[8:9]
	v_min_f32_e32 v17, 0x40e00000, v17
	v_med3_f32 v19, v21, s31, v29
	v_med3_f32 v21, v1, s31, v29
	v_mul_f32_e32 v1, 0xbfd9db23, v16
	s_waitcnt vmcnt(1)
	v_pk_add_f32 v[12:13], v[12:13], v[34:35]
	v_min_f32_e32 v8, 0x40e00000, v8
	v_mul_f32_e32 v10, 0xbfd9db23, v17
	v_mul_f32_e32 v23, 0x3fb8aa3b, v1
	v_med3_f32 v18, v20, s31, v29
	v_min_f32_e32 v9, 0x40e00000, v9
	v_med3_f32 v20, v0, s31, v29
	v_min_f32_e32 v0, 0x40e00000, v12
	v_mul_f32_e32 v12, 0xbfd9db23, v8
	v_mul_f32_e32 v30, 0x3fb8aa3b, v10
	v_fma_f32 v34, v1, s28, -v23
	v_rndne_f32_e32 v35, v23
	v_mul_f32_e32 v22, 0xbfd9db23, v9
	v_mul_f32_e32 v31, 0x3fb8aa3b, v12
	v_fma_f32 v36, v10, s28, -v30
	v_rndne_f32_e32 v37, v30
	v_fmac_f32_e32 v34, 0x32a5705f, v1
	v_sub_f32_e32 v23, v23, v35
	v_mul_f32_e32 v33, 0x3fb8aa3b, v22
	v_fma_f32 v38, v12, s28, -v31
	v_rndne_f32_e32 v39, v31
	v_fmac_f32_e32 v36, 0x32a5705f, v10
	v_sub_f32_e32 v30, v30, v37
	v_add_f32_e32 v23, v23, v34
	v_fma_f32 v40, v22, s28, -v33
	v_rndne_f32_e32 v41, v33
	v_cvt_i32_f32_e32 v35, v35
	v_fmac_f32_e32 v38, 0x32a5705f, v12
	v_sub_f32_e32 v31, v31, v39
	v_add_f32_e32 v30, v30, v36
	v_exp_f32_e32 v23, v23
	v_cvt_i32_f32_e32 v37, v37
	v_fmac_f32_e32 v40, 0x32a5705f, v22
	v_sub_f32_e32 v33, v33, v41
	v_add_f32_e32 v31, v31, v38
	v_exp_f32_e32 v30, v30
	v_cvt_i32_f32_e32 v39, v39
	v_add_f32_e32 v33, v33, v40
	v_exp_f32_e32 v31, v31
	v_cvt_i32_f32_e32 v41, v41
	v_exp_f32_e32 v33, v33
	v_ldexp_f32 v23, v23, v35
	v_cmp_ngt_f32_e32 vcc, s29, v1
	v_ldexp_f32 v30, v30, v37
	v_ldexp_f32 v31, v31, v39
	v_cndmask_b32_e32 v23, 0, v23, vcc
	v_cmp_ngt_f32_e32 vcc, s29, v10
	v_ldexp_f32 v33, v33, v41
	v_mul_f32_e32 v32, 0xbfd9db23, v0
	v_cndmask_b32_e32 v30, 0, v30, vcc
	v_cmp_ngt_f32_e32 vcc, s29, v12
	v_pk_add_f32 v[18:19], v[18:19], 1.0 op_sel_hi:[1,0]
	v_pk_add_f32 v[20:21], v[20:21], 1.0 op_sel_hi:[1,0]
	v_cndmask_b32_e32 v31, 0, v31, vcc
	v_cmp_ngt_f32_e32 vcc, s29, v22
	s_nop 1
	v_cndmask_b32_e32 v33, 0, v33, vcc
	v_cmp_nlt_f32_e32 vcc, s30, v1
	s_nop 1
	v_cndmask_b32_e32 v1, v28, v23, vcc
	v_cmp_nlt_f32_e32 vcc, s30, v10
	v_add_f32_e32 v1, 1.0, v1
	s_nop 0
	v_cndmask_b32_e32 v10, v28, v30, vcc
	v_cmp_nlt_f32_e32 vcc, s30, v12
	v_add_f32_e32 v10, 1.0, v10
	v_rcp_f32_e32 v23, v10
	v_cndmask_b32_e32 v12, v28, v31, vcc
	v_cmp_nlt_f32_e32 vcc, s30, v22
	v_add_f32_e32 v12, 1.0, v12
	v_rcp_f32_e32 v30, v12
	v_cndmask_b32_e32 v22, v28, v33, vcc
	v_add_f32_e32 v31, 1.0, v22
	v_rcp_f32_e32 v22, v1
	v_mul_f32_e32 v1, 0x3fb8aa3b, v32
	v_fma_f32 v10, v32, s28, -v1
	v_rndne_f32_e32 v12, v1
	v_fmac_f32_e32 v10, 0x32a5705f, v32
	v_sub_f32_e32 v1, v1, v12
	v_rcp_f32_e32 v31, v31
	v_add_f32_e32 v1, v1, v10
	v_exp_f32_e32 v10, v1
	v_cvt_i32_f32_e32 v12, v12
	v_pk_mul_f32 v[16:17], v[16:17], v[22:23]
	v_pk_mul_f32 v[22:23], v[8:9], v[30:31]
	v_min_f32_e32 v1, 0x40e00000, v13
	v_pk_mul_f32 v[8:9], v[18:19], v[16:17]
	v_pk_mul_f32 v[16:17], v[20:21], v[22:23]
	v_ldexp_f32 v10, v10, v12
	v_cvt_f32_f16_e32 v12, v2
	v_cvt_f32_f16_sdwa v13, v2 dst_sel:DWORD dst_unused:UNUSED_PAD src0_sel:WORD_1
	v_mul_f32_e32 v2, 0xbfd9db23, v1
	v_cvt_f16_f32_e32 v19, v16
	v_mul_f32_e32 v16, 0x3fb8aa3b, v2
	v_cvt_f16_f32_e32 v18, v17
	v_fma_f32 v17, v2, s28, -v16
	v_rndne_f32_e32 v20, v16
	v_fmac_f32_e32 v17, 0x32a5705f, v2
	v_sub_f32_e32 v16, v16, v20
	v_add_f32_e32 v16, v16, v17
	v_cmp_ngt_f32_e32 vcc, s29, v32
	v_exp_f32_e32 v17, v16
	v_cvt_i32_f32_e32 v20, v20
	v_cndmask_b32_e32 v10, 0, v10, vcc
	v_cmp_nlt_f32_e32 vcc, s30, v32
	s_waitcnt vmcnt(0)
	v_pk_add_f32 v[4:5], v[4:5], v[12:13]
	v_cvt_f16_f32_e32 v9, v9
	v_cndmask_b32_e32 v10, v28, v10, vcc
	v_add_f32_e32 v10, 1.0, v10
	v_rcp_f32_e32 v16, v10
	v_ldexp_f32 v10, v17, v20
	v_cmp_ngt_f32_e32 vcc, s29, v2
	v_med3_f32 v5, v5, s31, v29
	v_med3_f32 v4, v4, s31, v29
	v_cndmask_b32_e32 v10, 0, v10, vcc
	v_cmp_nlt_f32_e32 vcc, s30, v2
	v_pk_add_f32 v[4:5], v[4:5], 1.0 op_sel_hi:[1,0]
	s_nop 0
	v_cndmask_b32_e32 v2, v28, v10, vcc
	v_cvt_f32_f16_e32 v10, v11
	v_cvt_f32_f16_sdwa v11, v11 dst_sel:DWORD dst_unused:UNUSED_PAD src0_sel:WORD_1
	v_add_f32_e32 v2, 1.0, v2
	v_rcp_f32_e32 v17, v2
	v_pk_add_f32 v[10:11], v[14:15], v[10:11]
	s_nop 0
	v_min_f32_e32 v10, 0x40e00000, v10
	v_mul_f32_e32 v2, 0xbfd9db23, v10
	v_mul_f32_e32 v12, 0x3fb8aa3b, v2
	v_fma_f32 v13, v2, s28, -v12
	v_rndne_f32_e32 v14, v12
	v_fmac_f32_e32 v13, 0x32a5705f, v2
	v_sub_f32_e32 v12, v12, v14
	v_add_f32_e32 v12, v12, v13
	v_exp_f32_e32 v12, v12
	v_cvt_i32_f32_e32 v13, v14
	v_pk_mul_f32 v[0:1], v[0:1], v[16:17]
	v_min_f32_e32 v11, 0x40e00000, v11
	v_pk_mul_f32 v[0:1], v[4:5], v[0:1]
	v_ldexp_f32 v4, v12, v13
	v_cmp_ngt_f32_e32 vcc, s29, v2
	v_mul_f32_e32 v12, 0xbfd9db23, v11
	v_cvt_f16_f32_e32 v0, v0
	v_cndmask_b32_e32 v4, 0, v4, vcc
	v_cmp_nlt_f32_e32 vcc, s30, v2
	s_nop 1
	v_cndmask_b32_e32 v2, v28, v4, vcc
	v_mul_f32_e32 v4, 0x3fb8aa3b, v12
	v_fma_f32 v5, v12, s28, -v4
	v_rndne_f32_e32 v13, v4
	v_fmac_f32_e32 v5, 0x32a5705f, v12
	v_sub_f32_e32 v4, v4, v13
	v_add_f32_e32 v4, v4, v5
	v_exp_f32_e32 v14, v4
	v_cvt_i32_f32_e32 v13, v13
	v_cvt_f32_f16_e32 v4, v3
	v_cvt_f32_f16_sdwa v5, v3 dst_sel:DWORD dst_unused:UNUSED_PAD src0_sel:WORD_1
	v_cmp_ngt_f32_e32 vcc, s29, v12
	v_ldexp_f32 v3, v14, v13
	v_add_f32_e32 v2, 1.0, v2
	v_cndmask_b32_e32 v3, 0, v3, vcc
	v_cmp_nlt_f32_e32 vcc, s30, v12
	v_rcp_f32_e32 v2, v2
	v_pk_add_f32 v[4:5], v[6:7], v[4:5]
	v_cndmask_b32_e32 v3, v28, v3, vcc
	v_add_f32_e32 v3, 1.0, v3
	v_rcp_f32_e32 v3, v3
	v_med3_f32 v5, v5, s31, v29
	v_med3_f32 v4, v4, s31, v29
	v_pk_add_f32 v[4:5], v[4:5], 1.0 op_sel_hi:[1,0]
	v_pk_mul_f32 v[2:3], v[10:11], v[2:3]
	v_cmp_le_i64_e32 vcc, s[20:21], v[24:25]
	v_pk_mul_f32 v[2:3], v[4:5], v[2:3]
	v_cvt_f16_f32_e32 v4, v1
	v_cvt_f16_f32_e32 v3, v3
	;; [unrolled: 1-line block ×4, first 2 shown]
	v_pack_b32_f16 v1, v19, v18
	s_or_b64 s[24:25], vcc, s[24:25]
	v_pack_b32_f16 v3, v2, v3
	v_pack_b32_f16 v2, v0, v4
	;; [unrolled: 1-line block ×3, first 2 shown]
	buffer_store_dwordx4 v[0:3], v27, s[4:7], 0 offen
	v_add_u32_e32 v27, s27, v27
	s_andn2_b64 exec, exec, s[24:25]
	s_cbranch_execnz .LBB315_8
.LBB315_9:
	s_endpgm
	.section	.rodata,"a",@progbits
	.p2align	6, 0x0
	.amdhsa_kernel _ZN5aiter30swiglu_act_and_mul_bias_kernelIDF16_DF16_ifLi8EEEvPT0_PKT_PKT1_PKT2_il
		.amdhsa_group_segment_fixed_size 0
		.amdhsa_private_segment_fixed_size 0
		.amdhsa_kernarg_size 304
		.amdhsa_user_sgpr_count 2
		.amdhsa_user_sgpr_dispatch_ptr 0
		.amdhsa_user_sgpr_queue_ptr 0
		.amdhsa_user_sgpr_kernarg_segment_ptr 1
		.amdhsa_user_sgpr_dispatch_id 0
		.amdhsa_user_sgpr_kernarg_preload_length 0
		.amdhsa_user_sgpr_kernarg_preload_offset 0
		.amdhsa_user_sgpr_private_segment_size 0
		.amdhsa_uses_dynamic_stack 0
		.amdhsa_enable_private_segment 0
		.amdhsa_system_sgpr_workgroup_id_x 1
		.amdhsa_system_sgpr_workgroup_id_y 0
		.amdhsa_system_sgpr_workgroup_id_z 0
		.amdhsa_system_sgpr_workgroup_info 0
		.amdhsa_system_vgpr_workitem_id 0
		.amdhsa_next_free_vgpr 42
		.amdhsa_next_free_sgpr 32
		.amdhsa_accum_offset 44
		.amdhsa_reserve_vcc 1
		.amdhsa_float_round_mode_32 0
		.amdhsa_float_round_mode_16_64 0
		.amdhsa_float_denorm_mode_32 3
		.amdhsa_float_denorm_mode_16_64 3
		.amdhsa_dx10_clamp 1
		.amdhsa_ieee_mode 1
		.amdhsa_fp16_overflow 0
		.amdhsa_tg_split 0
		.amdhsa_exception_fp_ieee_invalid_op 0
		.amdhsa_exception_fp_denorm_src 0
		.amdhsa_exception_fp_ieee_div_zero 0
		.amdhsa_exception_fp_ieee_overflow 0
		.amdhsa_exception_fp_ieee_underflow 0
		.amdhsa_exception_fp_ieee_inexact 0
		.amdhsa_exception_int_div_zero 0
	.end_amdhsa_kernel
	.section	.text._ZN5aiter30swiglu_act_and_mul_bias_kernelIDF16_DF16_ifLi8EEEvPT0_PKT_PKT1_PKT2_il,"axG",@progbits,_ZN5aiter30swiglu_act_and_mul_bias_kernelIDF16_DF16_ifLi8EEEvPT0_PKT_PKT1_PKT2_il,comdat
.Lfunc_end315:
	.size	_ZN5aiter30swiglu_act_and_mul_bias_kernelIDF16_DF16_ifLi8EEEvPT0_PKT_PKT1_PKT2_il, .Lfunc_end315-_ZN5aiter30swiglu_act_and_mul_bias_kernelIDF16_DF16_ifLi8EEEvPT0_PKT_PKT1_PKT2_il
                                        ; -- End function
	.section	.AMDGPU.csdata,"",@progbits
; Kernel info:
; codeLenInByte = 1832
; NumSgprs: 38
; NumVgprs: 42
; NumAgprs: 0
; TotalNumVgprs: 42
; ScratchSize: 0
; MemoryBound: 0
; FloatMode: 240
; IeeeMode: 1
; LDSByteSize: 0 bytes/workgroup (compile time only)
; SGPRBlocks: 4
; VGPRBlocks: 5
; NumSGPRsForWavesPerEU: 38
; NumVGPRsForWavesPerEU: 42
; AccumOffset: 44
; Occupancy: 8
; WaveLimiterHint : 0
; COMPUTE_PGM_RSRC2:SCRATCH_EN: 0
; COMPUTE_PGM_RSRC2:USER_SGPR: 2
; COMPUTE_PGM_RSRC2:TRAP_HANDLER: 0
; COMPUTE_PGM_RSRC2:TGID_X_EN: 1
; COMPUTE_PGM_RSRC2:TGID_Y_EN: 0
; COMPUTE_PGM_RSRC2:TGID_Z_EN: 0
; COMPUTE_PGM_RSRC2:TIDIG_COMP_CNT: 0
; COMPUTE_PGM_RSRC3_GFX90A:ACCUM_OFFSET: 10
; COMPUTE_PGM_RSRC3_GFX90A:TG_SPLIT: 0
	.section	.text._ZN5aiter30swiglu_act_and_mul_bias_kernelIDF16_DF16_ifLi4EEEvPT0_PKT_PKT1_PKT2_il,"axG",@progbits,_ZN5aiter30swiglu_act_and_mul_bias_kernelIDF16_DF16_ifLi4EEEvPT0_PKT_PKT1_PKT2_il,comdat
	.protected	_ZN5aiter30swiglu_act_and_mul_bias_kernelIDF16_DF16_ifLi4EEEvPT0_PKT_PKT1_PKT2_il ; -- Begin function _ZN5aiter30swiglu_act_and_mul_bias_kernelIDF16_DF16_ifLi4EEEvPT0_PKT_PKT1_PKT2_il
	.globl	_ZN5aiter30swiglu_act_and_mul_bias_kernelIDF16_DF16_ifLi4EEEvPT0_PKT_PKT1_PKT2_il
	.p2align	8
	.type	_ZN5aiter30swiglu_act_and_mul_bias_kernelIDF16_DF16_ifLi4EEEvPT0_PKT_PKT1_PKT2_il,@function
_ZN5aiter30swiglu_act_and_mul_bias_kernelIDF16_DF16_ifLi4EEEvPT0_PKT_PKT1_PKT2_il: ; @_ZN5aiter30swiglu_act_and_mul_bias_kernelIDF16_DF16_ifLi4EEEvPT0_PKT_PKT1_PKT2_il
; %bb.0:
	s_load_dword s20, s[0:1], 0x20
	s_load_dwordx2 s[4:5], s[0:1], 0x10
	s_load_dwordx2 s[12:13], s[0:1], 0x28
	s_mov_b32 s3, 0
	s_lshl_b64 s[6:7], s[2:3], 2
	s_waitcnt lgkmcnt(0)
	s_ashr_i32 s21, s20, 31
	s_add_u32 s4, s4, s6
	s_addc_u32 s5, s5, s7
	s_add_i32 s3, s20, 1
	s_load_dword s8, s[4:5], 0x0
	s_load_dwordx2 s[14:15], s[0:1], 0x0
	s_lshr_b32 s4, s3, 31
	s_add_i32 s3, s3, s4
	s_lshl_b32 s3, s3, 1
	s_and_b32 s6, s3, -4
	s_mul_hi_u32 s3, s20, s2
	s_mul_i32 s4, s21, s2
	s_add_i32 s5, s3, s4
	s_mul_i32 s4, s20, s2
	s_waitcnt lgkmcnt(0)
	s_ashr_i32 s9, s8, 31
	s_lshl_b64 s[4:5], s[4:5], 1
	v_mov_b64_e32 v[2:3], s[12:13]
	v_cmp_gt_i64_e64 s[16:17], s[8:9], -1
	s_add_u32 s4, s14, s4
	v_cmp_lt_i64_e32 vcc, s[8:9], v[2:3]
	s_addc_u32 s3, s15, s5
	s_and_b64 s[12:13], s[16:17], vcc
	s_mov_b64 s[10:11], -1
	s_and_b32 s5, s3, 0xffff
	s_and_b64 vcc, exec, s[12:13]
	v_lshlrev_b32_e32 v8, 2, v0
	s_cbranch_vccnz .LBB316_5
; %bb.1:
	v_cmp_gt_i32_e32 vcc, s20, v8
	s_and_saveexec_b64 s[10:11], vcc
	s_cbranch_execz .LBB316_4
; %bb.2:
	s_load_dword s3, s[0:1], 0x3c
	v_mov_b32_e32 v9, 0
	s_mov_b32 s13, 0
	v_lshlrev_b32_e32 v1, 3, v0
	s_mov_b64 s[14:15], 0
	s_waitcnt lgkmcnt(0)
	s_and_b32 s3, s3, 0xffff
	s_lshl_b32 s12, s3, 2
	s_lshl_b32 s3, s3, 3
	s_mov_b32 s7, 0x20000
	v_mov_b32_e32 v2, v9
	v_mov_b32_e32 v3, v9
	v_mov_b64_e32 v[4:5], v[8:9]
.LBB316_3:                              ; =>This Inner Loop Header: Depth=1
	v_lshl_add_u64 v[4:5], s[12:13], 0, v[4:5]
	v_cmp_le_i64_e32 vcc, s[20:21], v[4:5]
	buffer_store_dwordx2 v[2:3], v1, s[4:7], 0 offen
	s_or_b64 s[14:15], vcc, s[14:15]
	v_add_u32_e32 v1, s3, v1
	s_andn2_b64 exec, exec, s[14:15]
	s_cbranch_execnz .LBB316_3
.LBB316_4:
	s_or_b64 exec, exec, s[10:11]
	s_mov_b64 s[10:11], 0
.LBB316_5:
	s_andn2_b64 vcc, exec, s[10:11]
	s_cbranch_vccnz .LBB316_9
; %bb.6:
	v_cmp_gt_i32_e32 vcc, s20, v8
	s_and_saveexec_b64 s[10:11], vcc
	s_cbranch_execz .LBB316_9
; %bb.7:
	s_load_dwordx2 s[12:13], s[0:1], 0x8
	s_load_dwordx2 s[10:11], s[0:1], 0x18
	s_mul_hi_i32 s9, s20, s8
	s_mul_i32 s8, s20, s8
	s_lshl_b64 s[8:9], s[8:9], 3
	s_load_dword s14, s[0:1], 0x3c
	s_waitcnt lgkmcnt(0)
	s_add_u32 s8, s10, s8
	s_addc_u32 s3, s11, s9
	s_lshl_b64 s[0:1], s[20:21], 2
	s_add_u32 s0, s8, s0
	s_addc_u32 s1, s3, s1
	s_and_b32 s9, s3, 0xffff
	s_mul_i32 s3, s2, s21
	s_mul_hi_u32 s15, s2, s20
	s_add_i32 s3, s15, s3
	s_mul_i32 s2, s2, s20
	s_lshl_b32 s10, s20, 2
	s_and_b32 s1, s1, 0xffff
	s_lshl_b64 s[2:3], s[2:3], 2
	s_add_u32 s12, s12, s2
	s_addc_u32 s13, s13, s3
	s_lshl_b64 s[2:3], s[20:21], 1
	s_add_u32 s16, s12, s2
	s_addc_u32 s2, s13, s3
	s_mov_b32 s7, 0x20000
	s_and_b32 s17, s2, 0xffff
	s_and_b32 s2, s14, 0xffff
	s_mov_b32 s11, s7
	s_and_b32 s13, s13, 0xffff
	s_mov_b32 s23, 0
	v_mov_b32_e32 v9, 0
	s_lshl_b32 s22, s2, 2
	v_lshlrev_b32_e32 v14, 4, v0
	s_lshl_b32 s26, s2, 4
	v_lshlrev_b32_e32 v15, 3, v0
	s_lshl_b32 s27, s2, 3
	s_mov_b64 s[24:25], 0
	s_mov_b32 s28, 0x3fb8aa3b
	s_mov_b32 s29, 0xc2ce8ed0
	;; [unrolled: 1-line block ×3, first 2 shown]
	v_mov_b32_e32 v16, 0x7f800000
	s_mov_b32 s31, 0xc0e00000
	v_mov_b32_e32 v17, 0x40e00000
	s_mov_b32 s14, s6
	s_mov_b32 s15, s7
	;; [unrolled: 1-line block ×4, first 2 shown]
.LBB316_8:                              ; =>This Inner Loop Header: Depth=1
	buffer_load_dwordx2 v[12:13], v15, s[12:15], 0 offen
	buffer_load_dwordx2 v[10:11], v15, s[16:19], 0 offen
	s_mov_b32 s2, s10
	s_mov_b32 s3, s11
	buffer_load_dwordx4 v[0:3], v14, s[8:11], 0 offen
	buffer_load_dwordx4 v[4:7], v14, s[0:3], 0 offen
	v_lshl_add_u64 v[8:9], s[22:23], 0, v[8:9]
	v_add_u32_e32 v14, s26, v14
	s_waitcnt vmcnt(3)
	v_cvt_f32_f16_e32 v18, v12
	v_cvt_f32_f16_sdwa v19, v12 dst_sel:DWORD dst_unused:UNUSED_PAD src0_sel:WORD_1
	s_waitcnt vmcnt(2)
	v_cvt_f32_f16_e32 v20, v10
	v_cvt_f32_f16_sdwa v21, v10 dst_sel:DWORD dst_unused:UNUSED_PAD src0_sel:WORD_1
	v_cvt_f32_f16_e32 v12, v13
	v_cvt_f32_f16_sdwa v13, v13 dst_sel:DWORD dst_unused:UNUSED_PAD src0_sel:WORD_1
	;; [unrolled: 2-line block ×3, first 2 shown]
	s_waitcnt vmcnt(1)
	v_pk_add_f32 v[0:1], v[0:1], v[18:19]
	v_pk_add_f32 v[2:3], v[2:3], v[12:13]
	v_min_f32_e32 v0, 0x40e00000, v0
	s_waitcnt vmcnt(0)
	v_pk_add_f32 v[6:7], v[6:7], v[10:11]
	v_min_f32_e32 v1, 0x40e00000, v1
	v_mul_f32_e32 v10, 0xbfd9db23, v0
	v_min_f32_e32 v2, 0x40e00000, v2
	v_mul_f32_e32 v11, 0xbfd9db23, v1
	v_mul_f32_e32 v18, 0x3fb8aa3b, v10
	v_min_f32_e32 v3, 0x40e00000, v3
	v_mul_f32_e32 v12, 0xbfd9db23, v2
	v_mul_f32_e32 v19, 0x3fb8aa3b, v11
	v_fma_f32 v22, v10, s28, -v18
	v_rndne_f32_e32 v23, v18
	v_pk_add_f32 v[4:5], v[4:5], v[20:21]
	v_mul_f32_e32 v13, 0xbfd9db23, v3
	v_mul_f32_e32 v20, 0x3fb8aa3b, v12
	v_fma_f32 v24, v11, s28, -v19
	v_rndne_f32_e32 v25, v19
	v_fmac_f32_e32 v22, 0x32a5705f, v10
	v_sub_f32_e32 v18, v18, v23
	v_mul_f32_e32 v21, 0x3fb8aa3b, v13
	v_fma_f32 v26, v12, s28, -v20
	v_rndne_f32_e32 v27, v20
	v_fmac_f32_e32 v24, 0x32a5705f, v11
	v_sub_f32_e32 v19, v19, v25
	v_add_f32_e32 v18, v18, v22
	v_fma_f32 v28, v13, s28, -v21
	v_rndne_f32_e32 v29, v21
	v_cvt_i32_f32_e32 v23, v23
	v_fmac_f32_e32 v26, 0x32a5705f, v12
	v_sub_f32_e32 v20, v20, v27
	v_add_f32_e32 v19, v19, v24
	v_exp_f32_e32 v18, v18
	v_cvt_i32_f32_e32 v25, v25
	v_fmac_f32_e32 v28, 0x32a5705f, v13
	v_sub_f32_e32 v21, v21, v29
	v_add_f32_e32 v20, v20, v26
	v_exp_f32_e32 v19, v19
	v_cvt_i32_f32_e32 v27, v27
	v_add_f32_e32 v21, v21, v28
	v_exp_f32_e32 v20, v20
	v_cvt_i32_f32_e32 v29, v29
	v_exp_f32_e32 v21, v21
	v_ldexp_f32 v18, v18, v23
	v_cmp_ngt_f32_e32 vcc, s29, v10
	v_ldexp_f32 v19, v19, v25
	v_ldexp_f32 v20, v20, v27
	v_cndmask_b32_e32 v18, 0, v18, vcc
	v_cmp_ngt_f32_e32 vcc, s29, v11
	v_ldexp_f32 v21, v21, v29
	v_med3_f32 v5, v5, s31, v17
	v_cndmask_b32_e32 v19, 0, v19, vcc
	v_cmp_ngt_f32_e32 vcc, s29, v12
	v_med3_f32 v4, v4, s31, v17
	v_med3_f32 v7, v7, s31, v17
	v_cndmask_b32_e32 v20, 0, v20, vcc
	v_cmp_ngt_f32_e32 vcc, s29, v13
	v_med3_f32 v6, v6, s31, v17
	v_pk_add_f32 v[4:5], v[4:5], 1.0 op_sel_hi:[1,0]
	v_cndmask_b32_e32 v21, 0, v21, vcc
	v_cmp_nlt_f32_e32 vcc, s30, v10
	v_pk_add_f32 v[6:7], v[6:7], 1.0 op_sel_hi:[1,0]
	s_nop 0
	v_cndmask_b32_e32 v10, v16, v18, vcc
	v_cmp_nlt_f32_e32 vcc, s30, v11
	v_add_f32_e32 v10, 1.0, v10
	v_rcp_f32_e32 v10, v10
	v_cndmask_b32_e32 v11, v16, v19, vcc
	v_cmp_nlt_f32_e32 vcc, s30, v12
	v_add_f32_e32 v11, 1.0, v11
	v_rcp_f32_e32 v11, v11
	;; [unrolled: 4-line block ×3, first 2 shown]
	v_cndmask_b32_e32 v13, v16, v21, vcc
	v_add_f32_e32 v13, 1.0, v13
	v_rcp_f32_e32 v13, v13
	v_pk_mul_f32 v[0:1], v[0:1], v[10:11]
	v_cmp_le_i64_e32 vcc, s[20:21], v[8:9]
	v_pk_mul_f32 v[0:1], v[4:5], v[0:1]
	v_pk_mul_f32 v[2:3], v[2:3], v[12:13]
	v_cvt_f16_f32_e32 v4, v1
	v_pk_mul_f32 v[2:3], v[6:7], v[2:3]
	v_cvt_f16_f32_e32 v0, v0
	v_cvt_f16_f32_e32 v1, v3
	;; [unrolled: 1-line block ×3, first 2 shown]
	s_or_b64 s[24:25], vcc, s[24:25]
	v_pack_b32_f16 v0, v0, v4
	v_pack_b32_f16 v1, v2, v1
	buffer_store_dwordx2 v[0:1], v15, s[4:7], 0 offen
	v_add_u32_e32 v15, s27, v15
	s_andn2_b64 exec, exec, s[24:25]
	s_cbranch_execnz .LBB316_8
.LBB316_9:
	s_endpgm
	.section	.rodata,"a",@progbits
	.p2align	6, 0x0
	.amdhsa_kernel _ZN5aiter30swiglu_act_and_mul_bias_kernelIDF16_DF16_ifLi4EEEvPT0_PKT_PKT1_PKT2_il
		.amdhsa_group_segment_fixed_size 0
		.amdhsa_private_segment_fixed_size 0
		.amdhsa_kernarg_size 304
		.amdhsa_user_sgpr_count 2
		.amdhsa_user_sgpr_dispatch_ptr 0
		.amdhsa_user_sgpr_queue_ptr 0
		.amdhsa_user_sgpr_kernarg_segment_ptr 1
		.amdhsa_user_sgpr_dispatch_id 0
		.amdhsa_user_sgpr_kernarg_preload_length 0
		.amdhsa_user_sgpr_kernarg_preload_offset 0
		.amdhsa_user_sgpr_private_segment_size 0
		.amdhsa_uses_dynamic_stack 0
		.amdhsa_enable_private_segment 0
		.amdhsa_system_sgpr_workgroup_id_x 1
		.amdhsa_system_sgpr_workgroup_id_y 0
		.amdhsa_system_sgpr_workgroup_id_z 0
		.amdhsa_system_sgpr_workgroup_info 0
		.amdhsa_system_vgpr_workitem_id 0
		.amdhsa_next_free_vgpr 30
		.amdhsa_next_free_sgpr 32
		.amdhsa_accum_offset 32
		.amdhsa_reserve_vcc 1
		.amdhsa_float_round_mode_32 0
		.amdhsa_float_round_mode_16_64 0
		.amdhsa_float_denorm_mode_32 3
		.amdhsa_float_denorm_mode_16_64 3
		.amdhsa_dx10_clamp 1
		.amdhsa_ieee_mode 1
		.amdhsa_fp16_overflow 0
		.amdhsa_tg_split 0
		.amdhsa_exception_fp_ieee_invalid_op 0
		.amdhsa_exception_fp_denorm_src 0
		.amdhsa_exception_fp_ieee_div_zero 0
		.amdhsa_exception_fp_ieee_overflow 0
		.amdhsa_exception_fp_ieee_underflow 0
		.amdhsa_exception_fp_ieee_inexact 0
		.amdhsa_exception_int_div_zero 0
	.end_amdhsa_kernel
	.section	.text._ZN5aiter30swiglu_act_and_mul_bias_kernelIDF16_DF16_ifLi4EEEvPT0_PKT_PKT1_PKT2_il,"axG",@progbits,_ZN5aiter30swiglu_act_and_mul_bias_kernelIDF16_DF16_ifLi4EEEvPT0_PKT_PKT1_PKT2_il,comdat
.Lfunc_end316:
	.size	_ZN5aiter30swiglu_act_and_mul_bias_kernelIDF16_DF16_ifLi4EEEvPT0_PKT_PKT1_PKT2_il, .Lfunc_end316-_ZN5aiter30swiglu_act_and_mul_bias_kernelIDF16_DF16_ifLi4EEEvPT0_PKT_PKT1_PKT2_il
                                        ; -- End function
	.section	.AMDGPU.csdata,"",@progbits
; Kernel info:
; codeLenInByte = 1220
; NumSgprs: 38
; NumVgprs: 30
; NumAgprs: 0
; TotalNumVgprs: 30
; ScratchSize: 0
; MemoryBound: 0
; FloatMode: 240
; IeeeMode: 1
; LDSByteSize: 0 bytes/workgroup (compile time only)
; SGPRBlocks: 4
; VGPRBlocks: 3
; NumSGPRsForWavesPerEU: 38
; NumVGPRsForWavesPerEU: 30
; AccumOffset: 32
; Occupancy: 8
; WaveLimiterHint : 0
; COMPUTE_PGM_RSRC2:SCRATCH_EN: 0
; COMPUTE_PGM_RSRC2:USER_SGPR: 2
; COMPUTE_PGM_RSRC2:TRAP_HANDLER: 0
; COMPUTE_PGM_RSRC2:TGID_X_EN: 1
; COMPUTE_PGM_RSRC2:TGID_Y_EN: 0
; COMPUTE_PGM_RSRC2:TGID_Z_EN: 0
; COMPUTE_PGM_RSRC2:TIDIG_COMP_CNT: 0
; COMPUTE_PGM_RSRC3_GFX90A:ACCUM_OFFSET: 7
; COMPUTE_PGM_RSRC3_GFX90A:TG_SPLIT: 0
	.section	.text._ZN5aiter30swiglu_act_and_mul_bias_kernelIDF16_DF16_ifLi2EEEvPT0_PKT_PKT1_PKT2_il,"axG",@progbits,_ZN5aiter30swiglu_act_and_mul_bias_kernelIDF16_DF16_ifLi2EEEvPT0_PKT_PKT1_PKT2_il,comdat
	.protected	_ZN5aiter30swiglu_act_and_mul_bias_kernelIDF16_DF16_ifLi2EEEvPT0_PKT_PKT1_PKT2_il ; -- Begin function _ZN5aiter30swiglu_act_and_mul_bias_kernelIDF16_DF16_ifLi2EEEvPT0_PKT_PKT1_PKT2_il
	.globl	_ZN5aiter30swiglu_act_and_mul_bias_kernelIDF16_DF16_ifLi2EEEvPT0_PKT_PKT1_PKT2_il
	.p2align	8
	.type	_ZN5aiter30swiglu_act_and_mul_bias_kernelIDF16_DF16_ifLi2EEEvPT0_PKT_PKT1_PKT2_il,@function
_ZN5aiter30swiglu_act_and_mul_bias_kernelIDF16_DF16_ifLi2EEEvPT0_PKT_PKT1_PKT2_il: ; @_ZN5aiter30swiglu_act_and_mul_bias_kernelIDF16_DF16_ifLi2EEEvPT0_PKT_PKT1_PKT2_il
; %bb.0:
	s_load_dword s20, s[0:1], 0x20
	s_load_dwordx2 s[4:5], s[0:1], 0x10
	s_load_dwordx2 s[12:13], s[0:1], 0x28
	s_mov_b32 s3, 0
	s_lshl_b64 s[6:7], s[2:3], 2
	s_waitcnt lgkmcnt(0)
	s_ashr_i32 s21, s20, 31
	s_add_u32 s4, s4, s6
	s_addc_u32 s5, s5, s7
	s_add_i32 s3, s20, 1
	s_load_dword s8, s[4:5], 0x0
	s_load_dwordx2 s[14:15], s[0:1], 0x0
	s_lshr_b32 s4, s3, 31
	s_add_i32 s3, s3, s4
	s_lshl_b32 s3, s3, 1
	s_and_b32 s6, s3, -4
	s_mul_hi_u32 s3, s20, s2
	s_mul_i32 s4, s21, s2
	s_add_i32 s5, s3, s4
	s_mul_i32 s4, s20, s2
	s_waitcnt lgkmcnt(0)
	s_ashr_i32 s9, s8, 31
	s_lshl_b64 s[4:5], s[4:5], 1
	v_mov_b64_e32 v[2:3], s[12:13]
	v_cmp_gt_i64_e64 s[16:17], s[8:9], -1
	s_add_u32 s4, s14, s4
	v_cmp_lt_i64_e32 vcc, s[8:9], v[2:3]
	s_addc_u32 s3, s15, s5
	s_and_b64 s[12:13], s[16:17], vcc
	s_mov_b64 s[10:11], -1
	s_and_b32 s5, s3, 0xffff
	s_and_b64 vcc, exec, s[12:13]
	v_lshlrev_b32_e32 v2, 1, v0
	s_cbranch_vccnz .LBB317_5
; %bb.1:
	v_cmp_gt_i32_e32 vcc, s20, v2
	s_and_saveexec_b64 s[10:11], vcc
	s_cbranch_execz .LBB317_4
; %bb.2:
	s_load_dword s3, s[0:1], 0x3c
	v_mov_b32_e32 v3, 0
	s_mov_b32 s13, 0
	v_lshlrev_b32_e32 v1, 2, v0
	s_mov_b64 s[14:15], 0
	s_waitcnt lgkmcnt(0)
	s_and_b32 s3, s3, 0xffff
	s_lshl_b32 s12, s3, 1
	s_lshl_b32 s3, s3, 2
	s_mov_b32 s7, 0x20000
	v_mov_b64_e32 v[4:5], v[2:3]
.LBB317_3:                              ; =>This Inner Loop Header: Depth=1
	v_lshl_add_u64 v[4:5], s[12:13], 0, v[4:5]
	v_cmp_le_i64_e32 vcc, s[20:21], v[4:5]
	buffer_store_dword v3, v1, s[4:7], 0 offen
	s_or_b64 s[14:15], vcc, s[14:15]
	v_add_u32_e32 v1, s3, v1
	s_andn2_b64 exec, exec, s[14:15]
	s_cbranch_execnz .LBB317_3
.LBB317_4:
	s_or_b64 exec, exec, s[10:11]
	s_mov_b64 s[10:11], 0
.LBB317_5:
	s_andn2_b64 vcc, exec, s[10:11]
	s_cbranch_vccnz .LBB317_9
; %bb.6:
	v_cmp_gt_i32_e32 vcc, s20, v2
	s_and_saveexec_b64 s[10:11], vcc
	s_cbranch_execz .LBB317_9
; %bb.7:
	s_load_dwordx2 s[12:13], s[0:1], 0x8
	s_load_dwordx2 s[10:11], s[0:1], 0x18
	s_mul_hi_i32 s9, s20, s8
	s_mul_i32 s8, s20, s8
	s_lshl_b64 s[8:9], s[8:9], 3
	s_load_dword s14, s[0:1], 0x3c
	s_waitcnt lgkmcnt(0)
	s_add_u32 s8, s10, s8
	s_addc_u32 s3, s11, s9
	s_lshl_b64 s[0:1], s[20:21], 2
	s_add_u32 s0, s8, s0
	s_addc_u32 s1, s3, s1
	s_and_b32 s9, s3, 0xffff
	s_mul_i32 s3, s2, s21
	s_mul_hi_u32 s15, s2, s20
	s_add_i32 s3, s15, s3
	s_mul_i32 s2, s2, s20
	s_lshl_b32 s10, s20, 2
	s_and_b32 s1, s1, 0xffff
	s_lshl_b64 s[2:3], s[2:3], 2
	s_add_u32 s12, s12, s2
	s_addc_u32 s13, s13, s3
	s_lshl_b64 s[2:3], s[20:21], 1
	s_add_u32 s16, s12, s2
	s_addc_u32 s2, s13, s3
	s_mov_b32 s7, 0x20000
	s_and_b32 s17, s2, 0xffff
	s_and_b32 s2, s14, 0xffff
	s_mov_b32 s11, s7
	s_and_b32 s13, s13, 0xffff
	s_mov_b32 s23, 0
	v_mov_b32_e32 v3, 0
	s_lshl_b32 s22, s2, 1
	v_lshlrev_b32_e32 v1, 3, v0
	s_lshl_b32 s26, s2, 3
	v_lshlrev_b32_e32 v0, 2, v0
	s_lshl_b32 s27, s2, 2
	s_mov_b64 s[24:25], 0
	s_mov_b32 s28, 0x3fb8aa3b
	s_mov_b32 s29, 0xc2ce8ed0
	;; [unrolled: 1-line block ×3, first 2 shown]
	v_mov_b32_e32 v4, 0x7f800000
	s_mov_b32 s31, 0xc0e00000
	v_mov_b32_e32 v5, 0x40e00000
	s_mov_b32 s14, s6
	s_mov_b32 s15, s7
	;; [unrolled: 1-line block ×4, first 2 shown]
.LBB317_8:                              ; =>This Inner Loop Header: Depth=1
	buffer_load_dword v11, v0, s[12:15], 0 offen
	buffer_load_dword v13, v0, s[16:19], 0 offen
	buffer_load_dwordx2 v[6:7], v1, s[8:11], 0 offen
	s_mov_b32 s2, s10
	s_mov_b32 s3, s11
	buffer_load_dwordx2 v[8:9], v1, s[0:3], 0 offen
	v_lshl_add_u64 v[2:3], s[22:23], 0, v[2:3]
	v_add_u32_e32 v1, s26, v1
	s_waitcnt vmcnt(3)
	v_cvt_f32_f16_e32 v10, v11
	v_cvt_f32_f16_sdwa v11, v11 dst_sel:DWORD dst_unused:UNUSED_PAD src0_sel:WORD_1
	s_waitcnt vmcnt(2)
	v_cvt_f32_f16_e32 v12, v13
	v_cvt_f32_f16_sdwa v13, v13 dst_sel:DWORD dst_unused:UNUSED_PAD src0_sel:WORD_1
	s_waitcnt vmcnt(1)
	v_pk_add_f32 v[6:7], v[6:7], v[10:11]
	s_nop 0
	v_min_f32_e32 v6, 0x40e00000, v6
	v_min_f32_e32 v7, 0x40e00000, v7
	v_mul_f32_e32 v10, 0xbfd9db23, v6
	v_mul_f32_e32 v11, 0xbfd9db23, v7
	;; [unrolled: 1-line block ×4, first 2 shown]
	v_fma_f32 v16, v10, s28, -v14
	v_rndne_f32_e32 v17, v14
	v_fma_f32 v18, v11, s28, -v15
	v_rndne_f32_e32 v19, v15
	v_fmac_f32_e32 v16, 0x32a5705f, v10
	v_sub_f32_e32 v14, v14, v17
	v_fmac_f32_e32 v18, 0x32a5705f, v11
	v_sub_f32_e32 v15, v15, v19
	v_add_f32_e32 v14, v14, v16
	v_cvt_i32_f32_e32 v17, v17
	v_add_f32_e32 v15, v15, v18
	v_exp_f32_e32 v14, v14
	v_cvt_i32_f32_e32 v19, v19
	v_exp_f32_e32 v15, v15
	s_waitcnt vmcnt(0)
	v_pk_add_f32 v[8:9], v[8:9], v[12:13]
	v_ldexp_f32 v12, v14, v17
	v_cmp_ngt_f32_e32 vcc, s29, v10
	v_ldexp_f32 v13, v15, v19
	v_med3_f32 v9, v9, s31, v5
	v_cndmask_b32_e32 v12, 0, v12, vcc
	v_cmp_ngt_f32_e32 vcc, s29, v11
	v_med3_f32 v8, v8, s31, v5
	v_pk_add_f32 v[8:9], v[8:9], 1.0 op_sel_hi:[1,0]
	v_cndmask_b32_e32 v13, 0, v13, vcc
	v_cmp_nlt_f32_e32 vcc, s30, v10
	s_nop 1
	v_cndmask_b32_e32 v10, v4, v12, vcc
	v_cmp_nlt_f32_e32 vcc, s30, v11
	v_add_f32_e32 v10, 1.0, v10
	v_rcp_f32_e32 v10, v10
	v_cndmask_b32_e32 v11, v4, v13, vcc
	v_add_f32_e32 v11, 1.0, v11
	v_rcp_f32_e32 v11, v11
	v_cmp_le_i64_e32 vcc, s[20:21], v[2:3]
	s_or_b64 s[24:25], vcc, s[24:25]
	v_pk_mul_f32 v[6:7], v[6:7], v[10:11]
	s_nop 0
	v_pk_mul_f32 v[6:7], v[8:9], v[6:7]
	s_nop 0
	v_cvt_f16_f32_e32 v7, v7
	v_cvt_f16_f32_e32 v6, v6
	v_pack_b32_f16 v6, v6, v7
	buffer_store_dword v6, v0, s[4:7], 0 offen
	v_add_u32_e32 v0, s27, v0
	s_andn2_b64 exec, exec, s[24:25]
	s_cbranch_execnz .LBB317_8
.LBB317_9:
	s_endpgm
	.section	.rodata,"a",@progbits
	.p2align	6, 0x0
	.amdhsa_kernel _ZN5aiter30swiglu_act_and_mul_bias_kernelIDF16_DF16_ifLi2EEEvPT0_PKT_PKT1_PKT2_il
		.amdhsa_group_segment_fixed_size 0
		.amdhsa_private_segment_fixed_size 0
		.amdhsa_kernarg_size 304
		.amdhsa_user_sgpr_count 2
		.amdhsa_user_sgpr_dispatch_ptr 0
		.amdhsa_user_sgpr_queue_ptr 0
		.amdhsa_user_sgpr_kernarg_segment_ptr 1
		.amdhsa_user_sgpr_dispatch_id 0
		.amdhsa_user_sgpr_kernarg_preload_length 0
		.amdhsa_user_sgpr_kernarg_preload_offset 0
		.amdhsa_user_sgpr_private_segment_size 0
		.amdhsa_uses_dynamic_stack 0
		.amdhsa_enable_private_segment 0
		.amdhsa_system_sgpr_workgroup_id_x 1
		.amdhsa_system_sgpr_workgroup_id_y 0
		.amdhsa_system_sgpr_workgroup_id_z 0
		.amdhsa_system_sgpr_workgroup_info 0
		.amdhsa_system_vgpr_workitem_id 0
		.amdhsa_next_free_vgpr 20
		.amdhsa_next_free_sgpr 32
		.amdhsa_accum_offset 20
		.amdhsa_reserve_vcc 1
		.amdhsa_float_round_mode_32 0
		.amdhsa_float_round_mode_16_64 0
		.amdhsa_float_denorm_mode_32 3
		.amdhsa_float_denorm_mode_16_64 3
		.amdhsa_dx10_clamp 1
		.amdhsa_ieee_mode 1
		.amdhsa_fp16_overflow 0
		.amdhsa_tg_split 0
		.amdhsa_exception_fp_ieee_invalid_op 0
		.amdhsa_exception_fp_denorm_src 0
		.amdhsa_exception_fp_ieee_div_zero 0
		.amdhsa_exception_fp_ieee_overflow 0
		.amdhsa_exception_fp_ieee_underflow 0
		.amdhsa_exception_fp_ieee_inexact 0
		.amdhsa_exception_int_div_zero 0
	.end_amdhsa_kernel
	.section	.text._ZN5aiter30swiglu_act_and_mul_bias_kernelIDF16_DF16_ifLi2EEEvPT0_PKT_PKT1_PKT2_il,"axG",@progbits,_ZN5aiter30swiglu_act_and_mul_bias_kernelIDF16_DF16_ifLi2EEEvPT0_PKT_PKT1_PKT2_il,comdat
.Lfunc_end317:
	.size	_ZN5aiter30swiglu_act_and_mul_bias_kernelIDF16_DF16_ifLi2EEEvPT0_PKT_PKT1_PKT2_il, .Lfunc_end317-_ZN5aiter30swiglu_act_and_mul_bias_kernelIDF16_DF16_ifLi2EEEvPT0_PKT_PKT1_PKT2_il
                                        ; -- End function
	.section	.AMDGPU.csdata,"",@progbits
; Kernel info:
; codeLenInByte = 944
; NumSgprs: 38
; NumVgprs: 20
; NumAgprs: 0
; TotalNumVgprs: 20
; ScratchSize: 0
; MemoryBound: 0
; FloatMode: 240
; IeeeMode: 1
; LDSByteSize: 0 bytes/workgroup (compile time only)
; SGPRBlocks: 4
; VGPRBlocks: 2
; NumSGPRsForWavesPerEU: 38
; NumVGPRsForWavesPerEU: 20
; AccumOffset: 20
; Occupancy: 8
; WaveLimiterHint : 0
; COMPUTE_PGM_RSRC2:SCRATCH_EN: 0
; COMPUTE_PGM_RSRC2:USER_SGPR: 2
; COMPUTE_PGM_RSRC2:TRAP_HANDLER: 0
; COMPUTE_PGM_RSRC2:TGID_X_EN: 1
; COMPUTE_PGM_RSRC2:TGID_Y_EN: 0
; COMPUTE_PGM_RSRC2:TGID_Z_EN: 0
; COMPUTE_PGM_RSRC2:TIDIG_COMP_CNT: 0
; COMPUTE_PGM_RSRC3_GFX90A:ACCUM_OFFSET: 4
; COMPUTE_PGM_RSRC3_GFX90A:TG_SPLIT: 0
	.section	.text._ZN5aiter30swiglu_act_and_mul_bias_kernelIDF16_DF16_ifLi1EEEvPT0_PKT_PKT1_PKT2_il,"axG",@progbits,_ZN5aiter30swiglu_act_and_mul_bias_kernelIDF16_DF16_ifLi1EEEvPT0_PKT_PKT1_PKT2_il,comdat
	.protected	_ZN5aiter30swiglu_act_and_mul_bias_kernelIDF16_DF16_ifLi1EEEvPT0_PKT_PKT1_PKT2_il ; -- Begin function _ZN5aiter30swiglu_act_and_mul_bias_kernelIDF16_DF16_ifLi1EEEvPT0_PKT_PKT1_PKT2_il
	.globl	_ZN5aiter30swiglu_act_and_mul_bias_kernelIDF16_DF16_ifLi1EEEvPT0_PKT_PKT1_PKT2_il
	.p2align	8
	.type	_ZN5aiter30swiglu_act_and_mul_bias_kernelIDF16_DF16_ifLi1EEEvPT0_PKT_PKT1_PKT2_il,@function
_ZN5aiter30swiglu_act_and_mul_bias_kernelIDF16_DF16_ifLi1EEEvPT0_PKT_PKT1_PKT2_il: ; @_ZN5aiter30swiglu_act_and_mul_bias_kernelIDF16_DF16_ifLi1EEEvPT0_PKT_PKT1_PKT2_il
; %bb.0:
	s_load_dword s20, s[0:1], 0x20
	s_load_dwordx2 s[4:5], s[0:1], 0x10
	s_load_dwordx2 s[14:15], s[0:1], 0x28
	s_mov_b32 s3, 0
	s_lshl_b64 s[6:7], s[2:3], 2
	s_waitcnt lgkmcnt(0)
	s_ashr_i32 s21, s20, 31
	s_add_u32 s4, s4, s6
	s_addc_u32 s5, s5, s7
	s_add_i32 s3, s20, 1
	s_lshr_b32 s10, s3, 31
	s_load_dword s6, s[4:5], 0x0
	s_load_dwordx2 s[8:9], s[0:1], 0x0
	s_add_i32 s3, s3, s10
	s_lshl_b32 s3, s3, 1
	s_and_b32 s10, s3, -4
	s_mul_hi_u32 s3, s20, s2
	s_mul_i32 s11, s21, s2
	s_add_i32 s17, s3, s11
	s_mul_i32 s16, s20, s2
	s_waitcnt lgkmcnt(0)
	s_ashr_i32 s7, s6, 31
	s_lshl_b64 s[16:17], s[16:17], 1
	v_mov_b64_e32 v[2:3], s[14:15]
	v_cmp_gt_i64_e64 s[4:5], s[6:7], -1
	s_add_u32 s8, s8, s16
	v_cmp_lt_i64_e32 vcc, s[6:7], v[2:3]
	s_addc_u32 s3, s9, s17
	s_and_b64 s[4:5], s[4:5], vcc
	s_mov_b64 s[12:13], -1
	s_and_b32 s9, s3, 0xffff
	s_and_b64 vcc, exec, s[4:5]
	v_cmp_gt_i32_e64 s[4:5], s20, v0
	s_cbranch_vccnz .LBB318_5
; %bb.1:
	s_and_saveexec_b64 s[12:13], s[4:5]
	s_cbranch_execz .LBB318_4
; %bb.2:
	s_load_dword s3, s[0:1], 0x3c
	v_mov_b32_e32 v1, 0
	s_mov_b32 s5, 0
	v_lshlrev_b32_e32 v4, 1, v0
	s_mov_b64 s[14:15], 0
	s_waitcnt lgkmcnt(0)
	s_and_b32 s4, s3, 0xffff
	s_lshl_b32 s3, s4, 1
	s_mov_b32 s11, 0x20000
	v_mov_b64_e32 v[2:3], v[0:1]
.LBB318_3:                              ; =>This Inner Loop Header: Depth=1
	v_lshl_add_u64 v[2:3], v[2:3], 0, s[4:5]
	v_cmp_le_i64_e32 vcc, s[20:21], v[2:3]
	buffer_store_short v1, v4, s[8:11], 0 offen
	s_or_b64 s[14:15], vcc, s[14:15]
	v_add_u32_e32 v4, s3, v4
	s_andn2_b64 exec, exec, s[14:15]
	s_cbranch_execnz .LBB318_3
.LBB318_4:
	s_or_b64 exec, exec, s[12:13]
	s_mov_b64 s[12:13], 0
.LBB318_5:
	s_andn2_b64 vcc, exec, s[12:13]
	s_cbranch_vccnz .LBB318_9
; %bb.6:
	v_cmp_gt_i32_e32 vcc, s20, v0
	s_and_saveexec_b64 s[4:5], vcc
	s_cbranch_execz .LBB318_9
; %bb.7:
	s_load_dwordx2 s[12:13], s[0:1], 0x8
	s_load_dwordx2 s[4:5], s[0:1], 0x18
	s_mul_hi_i32 s7, s20, s6
	s_mul_i32 s6, s20, s6
	s_lshl_b64 s[6:7], s[6:7], 3
	s_load_dword s14, s[0:1], 0x3c
	s_waitcnt lgkmcnt(0)
	s_add_u32 s4, s4, s6
	s_addc_u32 s3, s5, s7
	s_lshl_b64 s[0:1], s[20:21], 2
	s_add_u32 s0, s4, s0
	s_addc_u32 s1, s3, s1
	s_and_b32 s5, s3, 0xffff
	s_mul_i32 s3, s2, s21
	s_mul_hi_u32 s15, s2, s20
	s_add_i32 s3, s15, s3
	s_mul_i32 s2, s2, s20
	s_lshl_b32 s6, s20, 2
	s_and_b32 s1, s1, 0xffff
	s_lshl_b64 s[2:3], s[2:3], 2
	s_add_u32 s12, s12, s2
	s_addc_u32 s13, s13, s3
	s_lshl_b64 s[2:3], s[20:21], 1
	s_add_u32 s16, s12, s2
	s_mov_b32 s11, 0x20000
	s_addc_u32 s2, s13, s3
	s_and_b32 s22, s14, 0xffff
	s_mov_b32 s7, s11
	s_and_b32 s13, s13, 0xffff
	s_and_b32 s17, s2, 0xffff
	s_mov_b32 s23, 0
	v_mov_b32_e32 v1, 0
	v_lshlrev_b32_e32 v2, 2, v0
	s_lshl_b32 s26, s22, 2
	v_lshlrev_b32_e32 v3, 1, v0
	s_lshl_b32 s27, s22, 1
	s_mov_b64 s[24:25], 0
	s_mov_b32 s14, s10
	s_mov_b32 s15, s11
	;; [unrolled: 1-line block ×5, first 2 shown]
	v_mov_b32_e32 v4, 0x7f800000
	s_mov_b32 s18, s10
	s_mov_b32 s19, s11
.LBB318_8:                              ; =>This Inner Loop Header: Depth=1
	buffer_load_ushort v5, v3, s[12:15], 0 offen
	buffer_load_ushort v6, v3, s[16:19], 0 offen
	buffer_load_dword v7, v2, s[4:7], 0 offen
	s_mov_b32 s2, s6
	s_mov_b32 s3, s7
	buffer_load_dword v8, v2, s[0:3], 0 offen
	v_lshl_add_u64 v[0:1], v[0:1], 0, s[22:23]
	v_cmp_le_i64_e32 vcc, s[20:21], v[0:1]
	s_or_b64 s[24:25], vcc, s[24:25]
	v_add_u32_e32 v2, s26, v2
	s_waitcnt vmcnt(3)
	v_cvt_f32_f16_e32 v5, v5
	s_waitcnt vmcnt(2)
	v_cvt_f32_f16_e32 v6, v6
	s_waitcnt vmcnt(1)
	v_add_f32_e32 v5, v5, v7
	v_min_f32_e32 v5, 0x40e00000, v5
	v_mul_f32_e32 v7, 0xbfd9db23, v5
	v_mul_f32_e32 v9, 0x3fb8aa3b, v7
	v_fma_f32 v10, v7, s28, -v9
	v_rndne_f32_e32 v11, v9
	v_fmac_f32_e32 v10, 0x32a5705f, v7
	v_sub_f32_e32 v9, v9, v11
	v_add_f32_e32 v9, v9, v10
	v_cvt_i32_f32_e32 v11, v11
	v_exp_f32_e32 v9, v9
	s_waitcnt vmcnt(0)
	v_add_f32_e32 v6, v6, v8
	v_cmp_ngt_f32_e32 vcc, s29, v7
	v_max_f32_e32 v6, 0xc0e00000, v6
	v_ldexp_f32 v8, v9, v11
	v_cndmask_b32_e32 v8, 0, v8, vcc
	v_cmp_nlt_f32_e32 vcc, s30, v7
	v_min_f32_e32 v6, 0x40e00000, v6
	v_add_f32_e32 v6, 1.0, v6
	v_cndmask_b32_e32 v7, v4, v8, vcc
	v_add_f32_e32 v7, 1.0, v7
	v_rcp_f32_e32 v7, v7
	s_nop 0
	v_mul_f32_e32 v5, v5, v7
	v_fma_mixlo_f16 v5, v6, v5, 0
	buffer_store_short v5, v3, s[8:11], 0 offen
	v_add_u32_e32 v3, s27, v3
	s_andn2_b64 exec, exec, s[24:25]
	s_cbranch_execnz .LBB318_8
.LBB318_9:
	s_endpgm
	.section	.rodata,"a",@progbits
	.p2align	6, 0x0
	.amdhsa_kernel _ZN5aiter30swiglu_act_and_mul_bias_kernelIDF16_DF16_ifLi1EEEvPT0_PKT_PKT1_PKT2_il
		.amdhsa_group_segment_fixed_size 0
		.amdhsa_private_segment_fixed_size 0
		.amdhsa_kernarg_size 304
		.amdhsa_user_sgpr_count 2
		.amdhsa_user_sgpr_dispatch_ptr 0
		.amdhsa_user_sgpr_queue_ptr 0
		.amdhsa_user_sgpr_kernarg_segment_ptr 1
		.amdhsa_user_sgpr_dispatch_id 0
		.amdhsa_user_sgpr_kernarg_preload_length 0
		.amdhsa_user_sgpr_kernarg_preload_offset 0
		.amdhsa_user_sgpr_private_segment_size 0
		.amdhsa_uses_dynamic_stack 0
		.amdhsa_enable_private_segment 0
		.amdhsa_system_sgpr_workgroup_id_x 1
		.amdhsa_system_sgpr_workgroup_id_y 0
		.amdhsa_system_sgpr_workgroup_id_z 0
		.amdhsa_system_sgpr_workgroup_info 0
		.amdhsa_system_vgpr_workitem_id 0
		.amdhsa_next_free_vgpr 12
		.amdhsa_next_free_sgpr 31
		.amdhsa_accum_offset 12
		.amdhsa_reserve_vcc 1
		.amdhsa_float_round_mode_32 0
		.amdhsa_float_round_mode_16_64 0
		.amdhsa_float_denorm_mode_32 3
		.amdhsa_float_denorm_mode_16_64 3
		.amdhsa_dx10_clamp 1
		.amdhsa_ieee_mode 1
		.amdhsa_fp16_overflow 0
		.amdhsa_tg_split 0
		.amdhsa_exception_fp_ieee_invalid_op 0
		.amdhsa_exception_fp_denorm_src 0
		.amdhsa_exception_fp_ieee_div_zero 0
		.amdhsa_exception_fp_ieee_overflow 0
		.amdhsa_exception_fp_ieee_underflow 0
		.amdhsa_exception_fp_ieee_inexact 0
		.amdhsa_exception_int_div_zero 0
	.end_amdhsa_kernel
	.section	.text._ZN5aiter30swiglu_act_and_mul_bias_kernelIDF16_DF16_ifLi1EEEvPT0_PKT_PKT1_PKT2_il,"axG",@progbits,_ZN5aiter30swiglu_act_and_mul_bias_kernelIDF16_DF16_ifLi1EEEvPT0_PKT_PKT1_PKT2_il,comdat
.Lfunc_end318:
	.size	_ZN5aiter30swiglu_act_and_mul_bias_kernelIDF16_DF16_ifLi1EEEvPT0_PKT_PKT1_PKT2_il, .Lfunc_end318-_ZN5aiter30swiglu_act_and_mul_bias_kernelIDF16_DF16_ifLi1EEEvPT0_PKT_PKT1_PKT2_il
                                        ; -- End function
	.section	.AMDGPU.csdata,"",@progbits
; Kernel info:
; codeLenInByte = 768
; NumSgprs: 37
; NumVgprs: 12
; NumAgprs: 0
; TotalNumVgprs: 12
; ScratchSize: 0
; MemoryBound: 0
; FloatMode: 240
; IeeeMode: 1
; LDSByteSize: 0 bytes/workgroup (compile time only)
; SGPRBlocks: 4
; VGPRBlocks: 1
; NumSGPRsForWavesPerEU: 37
; NumVGPRsForWavesPerEU: 12
; AccumOffset: 12
; Occupancy: 8
; WaveLimiterHint : 0
; COMPUTE_PGM_RSRC2:SCRATCH_EN: 0
; COMPUTE_PGM_RSRC2:USER_SGPR: 2
; COMPUTE_PGM_RSRC2:TRAP_HANDLER: 0
; COMPUTE_PGM_RSRC2:TGID_X_EN: 1
; COMPUTE_PGM_RSRC2:TGID_Y_EN: 0
; COMPUTE_PGM_RSRC2:TGID_Z_EN: 0
; COMPUTE_PGM_RSRC2:TIDIG_COMP_CNT: 0
; COMPUTE_PGM_RSRC3_GFX90A:ACCUM_OFFSET: 2
; COMPUTE_PGM_RSRC3_GFX90A:TG_SPLIT: 0
	.section	.text._ZN5aiter30swiglu_act_and_mul_bias_kernelIttifLi32EEEvPT0_PKT_PKT1_PKT2_il,"axG",@progbits,_ZN5aiter30swiglu_act_and_mul_bias_kernelIttifLi32EEEvPT0_PKT_PKT1_PKT2_il,comdat
	.protected	_ZN5aiter30swiglu_act_and_mul_bias_kernelIttifLi32EEEvPT0_PKT_PKT1_PKT2_il ; -- Begin function _ZN5aiter30swiglu_act_and_mul_bias_kernelIttifLi32EEEvPT0_PKT_PKT1_PKT2_il
	.globl	_ZN5aiter30swiglu_act_and_mul_bias_kernelIttifLi32EEEvPT0_PKT_PKT1_PKT2_il
	.p2align	8
	.type	_ZN5aiter30swiglu_act_and_mul_bias_kernelIttifLi32EEEvPT0_PKT_PKT1_PKT2_il,@function
_ZN5aiter30swiglu_act_and_mul_bias_kernelIttifLi32EEEvPT0_PKT_PKT1_PKT2_il: ; @_ZN5aiter30swiglu_act_and_mul_bias_kernelIttifLi32EEEvPT0_PKT_PKT1_PKT2_il
; %bb.0:
	s_load_dword s6, s[0:1], 0x20
	s_load_dwordx2 s[4:5], s[0:1], 0x10
	s_load_dwordx2 s[14:15], s[0:1], 0x28
	s_mov_b32 s3, 0
	s_lshl_b64 s[8:9], s[2:3], 2
	s_waitcnt lgkmcnt(0)
	s_ashr_i32 s7, s6, 31
	s_add_u32 s8, s4, s8
	s_addc_u32 s9, s5, s9
	s_add_i32 s3, s6, 1
	s_load_dword s4, s[8:9], 0x0
	s_load_dwordx2 s[16:17], s[0:1], 0x0
	s_lshr_b32 s8, s3, 31
	s_add_i32 s3, s3, s8
	s_lshl_b32 s3, s3, 1
	s_and_b32 s10, s3, -4
	s_mul_hi_u32 s3, s6, s2
	s_mul_i32 s8, s7, s2
	s_add_i32 s9, s3, s8
	s_mul_i32 s8, s6, s2
	s_waitcnt lgkmcnt(0)
	s_ashr_i32 s5, s4, 31
	s_lshl_b64 s[8:9], s[8:9], 1
	v_mov_b64_e32 v[2:3], s[14:15]
	v_cmp_gt_i64_e64 s[18:19], s[4:5], -1
	s_add_u32 s8, s16, s8
	v_cmp_lt_i64_e32 vcc, s[4:5], v[2:3]
	s_addc_u32 s3, s17, s9
	s_and_b64 s[14:15], s[18:19], vcc
	s_mov_b64 s[12:13], -1
	s_and_b32 s9, s3, 0xffff
	s_and_b64 vcc, exec, s[14:15]
	v_lshlrev_b32_e32 v20, 5, v0
	s_cbranch_vccnz .LBB319_5
; %bb.1:
	v_cmp_gt_i32_e32 vcc, s6, v20
	s_and_saveexec_b64 s[12:13], vcc
	s_cbranch_execz .LBB319_4
; %bb.2:
	s_load_dword s3, s[0:1], 0x3c
	s_mov_b32 s15, 0
	s_mov_b32 s20, s15
	;; [unrolled: 1-line block ×3, first 2 shown]
	v_mov_b32_e32 v21, 0
	s_waitcnt lgkmcnt(0)
	s_and_b32 s3, s3, 0xffff
	s_mov_b32 s22, s15
	s_mov_b32 s23, s15
	v_mov_b64_e32 v[2:3], s[20:21]
	v_lshlrev_b32_e32 v1, 6, v0
	s_lshl_b32 s14, s3, 5
	s_lshl_b32 s3, s3, 6
	s_mov_b64 s[16:17], 0
	s_mov_b32 s11, 0x20000
	v_mov_b64_e32 v[4:5], s[22:23]
	v_mov_b64_e32 v[6:7], v[20:21]
.LBB319_3:                              ; =>This Inner Loop Header: Depth=1
	v_lshl_add_u64 v[6:7], s[14:15], 0, v[6:7]
	v_cmp_le_i64_e32 vcc, s[6:7], v[6:7]
	buffer_store_dwordx4 v[2:5], v1, s[8:11], 0 offen
	buffer_store_dwordx4 v[2:5], v1, s[8:11], 16 offen
	;; [unrolled: 1-line block ×4, first 2 shown]
	s_or_b64 s[16:17], vcc, s[16:17]
	v_add_u32_e32 v1, s3, v1
	s_andn2_b64 exec, exec, s[16:17]
	s_cbranch_execnz .LBB319_3
.LBB319_4:
	s_or_b64 exec, exec, s[12:13]
	s_mov_b64 s[12:13], 0
.LBB319_5:
	s_andn2_b64 vcc, exec, s[12:13]
	s_cbranch_vccnz .LBB319_9
; %bb.6:
	v_cmp_gt_i32_e32 vcc, s6, v20
	s_and_saveexec_b64 s[12:13], vcc
	s_cbranch_execz .LBB319_9
; %bb.7:
	s_load_dwordx2 s[18:19], s[0:1], 0x8
	s_load_dwordx2 s[12:13], s[0:1], 0x18
	s_mul_hi_i32 s5, s6, s4
	s_mul_i32 s4, s6, s4
	s_lshl_b64 s[4:5], s[4:5], 3
	s_load_dword s3, s[0:1], 0x3c
	s_waitcnt lgkmcnt(0)
	s_add_u32 s12, s12, s4
	s_addc_u32 s4, s13, s5
	s_lshl_b64 s[0:1], s[6:7], 2
	s_add_u32 s16, s12, s0
	s_addc_u32 s0, s4, s1
	s_and_b32 s17, s0, 0xffff
	s_mul_i32 s0, s2, s7
	s_mul_hi_u32 s1, s2, s6
	s_add_i32 s1, s1, s0
	s_mul_i32 s0, s2, s6
	s_lshl_b32 s14, s6, 2
	s_and_b32 s13, s4, 0xffff
	s_lshl_b64 s[0:1], s[0:1], 2
	s_add_u32 s20, s18, s0
	s_addc_u32 s2, s19, s1
	s_lshl_b64 s[0:1], s[6:7], 1
	s_add_u32 s24, s20, s0
	s_addc_u32 s0, s2, s1
	s_mov_b32 s11, 0x20000
	s_and_b32 s25, s0, 0xffff
	s_and_b32 s0, s3, 0xffff
	s_mov_b32 s15, s11
	s_and_b32 s21, s2, 0xffff
	s_mov_b64 s[26:27], s[10:11]
	s_mov_b32 s29, 0
	v_mov_b32_e32 v21, 0
	s_lshl_b32 s28, s0, 5
	v_lshlrev_b32_e32 v52, 7, v0
	s_lshl_b32 s33, s0, 7
	v_lshlrev_b32_e32 v53, 6, v0
	s_lshl_b32 s34, s0, 6
	s_mov_b64 s[30:31], 0
	s_movk_i32 s35, 0x50
	s_movk_i32 s36, 0x60
	s_movk_i32 s37, 0x70
	s_mov_b32 s38, 0x3fb8aa3b
	s_mov_b32 s39, 0xc2ce8ed0
	s_mov_b32 s40, 0x42b17218
	v_mov_b32_e32 v54, 0x7f800000
	s_mov_b32 s41, 0xc0e00000
	v_mov_b32_e32 v55, 0x40e00000
	s_mov_b32 s42, 0x7060302
	s_mov_b32 s22, s10
	;; [unrolled: 1-line block ×3, first 2 shown]
.LBB319_8:                              ; =>This Inner Loop Header: Depth=1
	buffer_load_dwordx4 v[16:19], v53, s[20:23], 0 offen
	buffer_load_dwordx4 v[12:15], v53, s[20:23], 16 offen
	;; [unrolled: 1-line block ×5, first 2 shown]
	s_mov_b32 s18, s14
	s_mov_b32 s19, s15
	v_lshl_add_u64 v[20:21], s[28:29], 0, v[20:21]
	s_waitcnt vmcnt(4)
	v_and_b32_e32 v23, 0xffff0000, v16
	v_lshlrev_b32_e32 v22, 16, v16
	v_and_b32_e32 v25, 0xffff0000, v17
	v_lshlrev_b32_e32 v24, 16, v17
	s_waitcnt vmcnt(0)
	v_and_b32_e32 v45, 0xffff0000, v2
	v_lshlrev_b32_e32 v44, 16, v2
	v_and_b32_e32 v49, 0xffff0000, v0
	v_lshlrev_b32_e32 v48, 16, v0
	v_and_b32_e32 v51, 0xffff0000, v3
	v_lshlrev_b32_e32 v50, 16, v3
	v_and_b32_e32 v57, 0xffff0000, v1
	v_lshlrev_b32_e32 v56, 16, v1
	buffer_load_dwordx4 v[0:3], v52, s[12:15], 0 offen
	v_and_b32_e32 v17, 0xffff0000, v18
	v_lshlrev_b32_e32 v16, 16, v18
	v_and_b32_e32 v27, 0xffff0000, v19
	v_lshlrev_b32_e32 v26, 16, v19
	;; [unrolled: 2-line block ×14, first 2 shown]
	s_waitcnt vmcnt(0)
	v_pk_add_f32 v[58:59], v[0:1], v[22:23]
	v_pk_add_f32 v[42:43], v[2:3], v[24:25]
	buffer_load_dwordx4 v[0:3], v52, s[12:15], 16 offen
	s_waitcnt vmcnt(0)
	v_pk_add_f32 v[24:25], v[0:1], v[16:17]
	v_pk_add_f32 v[22:23], v[2:3], v[26:27]
	buffer_load_dwordx4 v[0:3], v52, s[12:15], 32 offen
	;; [unrolled: 4-line block ×4, first 2 shown]
	s_waitcnt vmcnt(0)
	v_pk_add_f32 v[38:39], v[26:27], v[14:15]
	buffer_load_dwordx4 v[14:17], v52, s[12:15], s35 offen
	v_pk_add_f32 v[32:33], v[28:29], v[32:33]
	buffer_load_dwordx4 v[26:29], v52, s[16:19], 0 offen
	s_waitcnt vmcnt(1)
	v_pk_add_f32 v[14:15], v[14:15], v[8:9]
	buffer_load_dwordx4 v[6:9], v52, s[12:15], s36 offen
	v_pk_add_f32 v[12:13], v[16:17], v[34:35]
	s_waitcnt vmcnt(1)
	v_pk_add_f32 v[34:35], v[28:29], v[56:57]
	s_waitcnt vmcnt(0)
	v_pk_add_f32 v[16:17], v[6:7], v[10:11]
	v_pk_add_f32 v[10:11], v[8:9], v[40:41]
	buffer_load_dwordx4 v[6:9], v52, s[12:15], s37 offen
	v_pk_add_f32 v[40:41], v[26:27], v[48:49]
	buffer_load_dwordx4 v[26:29], v52, s[16:19], 16 offen
	v_min_f32_e32 v10, 0x40e00000, v10
	v_min_f32_e32 v11, 0x40e00000, v11
	s_waitcnt vmcnt(1)
	v_pk_add_f32 v[6:7], v[6:7], v[4:5]
	v_pk_add_f32 v[4:5], v[8:9], v[46:47]
	s_waitcnt vmcnt(0)
	v_pk_add_f32 v[48:49], v[26:27], v[44:45]
	v_min_f32_e32 v44, 0x40e00000, v58
	v_mul_f32_e32 v8, 0xbfd9db23, v44
	v_min_f32_e32 v45, 0x40e00000, v59
	v_mul_f32_e32 v26, 0x3fb8aa3b, v8
	v_pk_add_f32 v[50:51], v[28:29], v[50:51]
	v_mul_f32_e32 v9, 0xbfd9db23, v45
	v_fma_f32 v28, v8, s38, -v26
	v_rndne_f32_e32 v29, v26
	v_mul_f32_e32 v27, 0x3fb8aa3b, v9
	v_fmac_f32_e32 v28, 0x32a5705f, v8
	v_sub_f32_e32 v26, v26, v29
	v_add_f32_e32 v26, v26, v28
	v_fma_f32 v28, v9, s38, -v27
	v_rndne_f32_e32 v30, v27
	v_fmac_f32_e32 v28, 0x32a5705f, v9
	v_sub_f32_e32 v27, v27, v30
	v_add_f32_e32 v27, v27, v28
	v_exp_f32_e32 v26, v26
	v_cvt_i32_f32_e32 v28, v29
	v_exp_f32_e32 v27, v27
	v_cvt_i32_f32_e32 v29, v30
	v_cmp_ngt_f32_e32 vcc, s39, v8
	v_ldexp_f32 v26, v26, v28
	v_min_f32_e32 v28, 0x40e00000, v42
	v_mul_f32_e32 v30, 0xbfd9db23, v28
	v_mul_f32_e32 v31, 0x3fb8aa3b, v30
	v_ldexp_f32 v27, v27, v29
	v_min_f32_e32 v29, 0x40e00000, v43
	v_fma_f32 v42, v30, s38, -v31
	v_rndne_f32_e32 v43, v31
	v_cndmask_b32_e32 v26, 0, v26, vcc
	v_cmp_nlt_f32_e32 vcc, s40, v8
	v_fmac_f32_e32 v42, 0x32a5705f, v30
	v_sub_f32_e32 v31, v31, v43
	v_cndmask_b32_e32 v8, v54, v26, vcc
	v_add_f32_e32 v31, v31, v42
	v_add_f32_e32 v8, 1.0, v8
	v_cmp_ngt_f32_e32 vcc, s39, v9
	v_rcp_f32_e32 v46, v8
	v_exp_f32_e32 v8, v31
	v_cndmask_b32_e32 v26, 0, v27, vcc
	v_cmp_nlt_f32_e32 vcc, s40, v9
	v_cvt_i32_f32_e32 v9, v43
	v_min_f32_e32 v6, 0x40e00000, v6
	v_cndmask_b32_e32 v26, v54, v26, vcc
	v_add_f32_e32 v26, 1.0, v26
	v_ldexp_f32 v8, v8, v9
	v_mul_f32_e32 v9, 0xbfd9db23, v29
	v_rcp_f32_e32 v47, v26
	v_mul_f32_e32 v26, 0x3fb8aa3b, v9
	v_fma_f32 v27, v9, s38, -v26
	v_rndne_f32_e32 v31, v26
	v_fmac_f32_e32 v27, 0x32a5705f, v9
	v_sub_f32_e32 v26, v26, v31
	v_add_f32_e32 v26, v26, v27
	v_exp_f32_e32 v26, v26
	v_cvt_i32_f32_e32 v27, v31
	v_cmp_ngt_f32_e32 vcc, s39, v30
	v_min_f32_e32 v31, 0x40e00000, v23
	v_min_f32_e32 v23, 0x40e00000, v1
	v_cndmask_b32_e32 v8, 0, v8, vcc
	v_cmp_nlt_f32_e32 vcc, s40, v30
	v_ldexp_f32 v26, v26, v27
	v_min_f32_e32 v30, 0x40e00000, v22
	v_cndmask_b32_e32 v8, v54, v8, vcc
	v_add_f32_e32 v8, 1.0, v8
	v_cmp_ngt_f32_e32 vcc, s39, v9
	v_rcp_f32_e32 v42, v8
	v_min_f32_e32 v22, 0x40e00000, v0
	v_cndmask_b32_e32 v8, 0, v26, vcc
	v_min_f32_e32 v26, 0x40e00000, v24
	v_mul_f32_e32 v56, 0xbfd9db23, v26
	v_min_f32_e32 v0, 0x40e00000, v32
	v_med3_f32 v32, v34, s41, v55
	v_med3_f32 v34, v40, s41, v55
	v_mul_f32_e32 v40, 0x3fb8aa3b, v56
	v_min_f32_e32 v24, 0x40e00000, v18
	v_min_f32_e32 v18, 0x40e00000, v36
	;; [unrolled: 1-line block ×3, first 2 shown]
	v_med3_f32 v33, v35, s41, v55
	v_med3_f32 v35, v41, s41, v55
	v_med3_f32 v36, v48, s41, v55
	v_fma_f32 v41, v56, s38, -v40
	v_rndne_f32_e32 v48, v40
	v_min_f32_e32 v27, 0x40e00000, v25
	v_fmac_f32_e32 v41, 0x32a5705f, v56
	v_sub_f32_e32 v40, v40, v48
	v_min_f32_e32 v25, 0x40e00000, v19
	v_min_f32_e32 v19, 0x40e00000, v37
	v_med3_f32 v37, v49, s41, v55
	v_add_f32_e32 v49, v40, v41
	v_pk_mul_f32 v[40:41], v[44:45], v[46:47]
	v_mul_f32_e32 v44, 0xbfd9db23, v27
	v_mul_f32_e32 v45, 0x3fb8aa3b, v44
	v_fma_f32 v46, v44, s38, -v45
	v_rndne_f32_e32 v47, v45
	v_fmac_f32_e32 v46, 0x32a5705f, v44
	v_sub_f32_e32 v45, v45, v47
	v_add_f32_e32 v45, v45, v46
	v_exp_f32_e32 v45, v45
	v_cvt_i32_f32_e32 v47, v47
	v_exp_f32_e32 v46, v49
	v_cvt_i32_f32_e32 v48, v48
	v_cmp_nlt_f32_e32 vcc, s40, v9
	v_ldexp_f32 v45, v45, v47
	v_mul_f32_e32 v47, 0xbfd9db23, v30
	v_cndmask_b32_e32 v8, v54, v8, vcc
	v_add_f32_e32 v8, 1.0, v8
	v_ldexp_f32 v46, v46, v48
	v_mul_f32_e32 v48, 0x3fb8aa3b, v47
	v_cmp_ngt_f32_e32 vcc, s39, v56
	v_cmp_ngt_f32_e64 s[2:3], s39, v44
	v_rcp_f32_e32 v43, v8
	v_min_f32_e32 v8, 0x40e00000, v2
	v_min_f32_e32 v2, 0x40e00000, v38
	v_med3_f32 v38, v50, s41, v55
	v_fma_f32 v49, v47, s38, -v48
	v_rndne_f32_e32 v50, v48
	v_cmp_nlt_f32_e64 s[0:1], s40, v56
	v_cmp_nlt_f32_e64 s[4:5], s40, v44
	v_cndmask_b32_e32 v44, 0, v46, vcc
	v_cndmask_b32_e64 v45, 0, v45, s[2:3]
	v_fmac_f32_e32 v49, 0x32a5705f, v47
	v_sub_f32_e32 v48, v48, v50
	v_cndmask_b32_e64 v44, v54, v44, s[0:1]
	v_cndmask_b32_e64 v45, v54, v45, s[4:5]
	v_min_f32_e32 v9, 0x40e00000, v3
	v_min_f32_e32 v3, 0x40e00000, v39
	v_med3_f32 v39, v51, s41, v55
	v_add_f32_e32 v51, v48, v49
	v_add_f32_e32 v44, 1.0, v44
	v_add_f32_e32 v45, 1.0, v45
	v_rcp_f32_e32 v48, v44
	v_rcp_f32_e32 v49, v45
	v_exp_f32_e32 v44, v51
	v_cvt_i32_f32_e32 v45, v50
	v_cmp_ngt_f32_e32 vcc, s39, v47
	v_cmp_nlt_f32_e64 s[0:1], s40, v47
	v_pk_add_f32 v[32:33], v[32:33], 1.0 op_sel_hi:[1,0]
	v_ldexp_f32 v44, v44, v45
	v_mul_f32_e32 v45, 0xbfd9db23, v31
	v_mul_f32_e32 v46, 0x3fb8aa3b, v45
	v_fma_f32 v50, v45, s38, -v46
	v_rndne_f32_e32 v51, v46
	v_fmac_f32_e32 v50, 0x32a5705f, v45
	v_sub_f32_e32 v46, v46, v51
	v_add_f32_e32 v46, v46, v50
	v_exp_f32_e32 v46, v46
	v_cvt_i32_f32_e32 v47, v51
	v_cndmask_b32_e32 v44, 0, v44, vcc
	v_cndmask_b32_e64 v44, v54, v44, s[0:1]
	v_add_f32_e32 v44, 1.0, v44
	v_ldexp_f32 v47, v46, v47
	v_cmp_ngt_f32_e32 vcc, s39, v45
	v_cmp_nlt_f32_e64 s[0:1], s40, v45
	v_rcp_f32_e32 v46, v44
	v_cndmask_b32_e32 v44, 0, v47, vcc
	v_cndmask_b32_e64 v44, v54, v44, s[0:1]
	v_add_f32_e32 v44, 1.0, v44
	v_mul_f32_e32 v50, 0xbfd9db23, v24
	v_rcp_f32_e32 v47, v44
	v_pk_mul_f32 v[44:45], v[28:29], v[42:43]
	v_mul_f32_e32 v28, 0x3fb8aa3b, v50
	v_fma_f32 v29, v50, s38, -v28
	v_rndne_f32_e32 v42, v28
	v_fmac_f32_e32 v29, 0x32a5705f, v50
	v_sub_f32_e32 v28, v28, v42
	v_add_f32_e32 v28, v28, v29
	v_exp_f32_e32 v28, v28
	v_cvt_i32_f32_e32 v29, v42
	v_pk_mul_f32 v[46:47], v[30:31], v[46:47]
	v_pk_mul_f32 v[44:45], v[32:33], v[44:45]
	v_pk_add_f32 v[38:39], v[38:39], 1.0 op_sel_hi:[1,0]
	v_ldexp_f32 v28, v28, v29
	v_mul_f32_e32 v29, 0xbfd9db23, v25
	v_mul_f32_e32 v42, 0x3fb8aa3b, v29
	v_fma_f32 v43, v29, s38, -v42
	v_rndne_f32_e32 v51, v42
	v_fmac_f32_e32 v43, 0x32a5705f, v29
	v_sub_f32_e32 v42, v42, v51
	v_add_f32_e32 v42, v42, v43
	v_exp_f32_e32 v42, v42
	v_cvt_i32_f32_e32 v43, v51
	v_cmp_ngt_f32_e32 vcc, s39, v29
	v_cmp_nlt_f32_e64 s[0:1], s40, v29
	v_pk_mul_f32 v[38:39], v[38:39], v[46:47]
	v_ldexp_f32 v42, v42, v43
	v_cndmask_b32_e32 v29, 0, v42, vcc
	v_cmp_ngt_f32_e32 vcc, s39, v50
	v_pk_mul_f32 v[42:43], v[26:27], v[48:49]
	v_cndmask_b32_e64 v29, v54, v29, s[0:1]
	v_cndmask_b32_e32 v28, 0, v28, vcc
	v_cmp_nlt_f32_e32 vcc, s40, v50
	v_mul_f32_e32 v50, 0xbfd9db23, v22
	v_mul_f32_e32 v26, 0x3fb8aa3b, v50
	v_fma_f32 v27, v50, s38, -v26
	v_rndne_f32_e32 v48, v26
	v_fmac_f32_e32 v27, 0x32a5705f, v50
	v_sub_f32_e32 v26, v26, v48
	v_add_f32_e32 v26, v26, v27
	v_exp_f32_e32 v26, v26
	v_cvt_i32_f32_e32 v27, v48
	v_cndmask_b32_e32 v28, v54, v28, vcc
	v_pk_add_f32 v[36:37], v[36:37], 1.0 op_sel_hi:[1,0]
	v_pk_add_f32 v[34:35], v[34:35], 1.0 op_sel_hi:[1,0]
	v_ldexp_f32 v26, v26, v27
	v_mul_f32_e32 v27, 0xbfd9db23, v23
	v_mul_f32_e32 v48, 0x3fb8aa3b, v27
	v_fma_f32 v49, v27, s38, -v48
	v_rndne_f32_e32 v51, v48
	v_fmac_f32_e32 v49, 0x32a5705f, v27
	v_sub_f32_e32 v48, v48, v51
	v_add_f32_e32 v48, v48, v49
	v_exp_f32_e32 v48, v48
	v_cvt_i32_f32_e32 v49, v51
	v_cmp_ngt_f32_e32 vcc, s39, v27
	v_cmp_nlt_f32_e64 s[0:1], s40, v27
	v_pk_mul_f32 v[42:43], v[36:37], v[42:43]
	v_ldexp_f32 v48, v48, v49
	v_cndmask_b32_e32 v27, 0, v48, vcc
	v_mul_f32_e32 v48, 0xbfd9db23, v18
	v_mul_f32_e32 v30, 0x3fb8aa3b, v48
	v_fma_f32 v31, v48, s38, -v30
	v_rndne_f32_e32 v49, v30
	v_fmac_f32_e32 v31, 0x32a5705f, v48
	v_sub_f32_e32 v30, v30, v49
	v_add_f32_e32 v30, v30, v31
	v_exp_f32_e32 v30, v30
	v_cvt_i32_f32_e32 v31, v49
	v_cmp_ngt_f32_e32 vcc, s39, v50
	v_cndmask_b32_e64 v27, v54, v27, s[0:1]
	v_perm_b32 v37, v39, v38, s42
	v_ldexp_f32 v30, v30, v31
	v_mul_f32_e32 v31, 0xbfd9db23, v19
	v_mul_f32_e32 v49, 0x3fb8aa3b, v31
	v_cndmask_b32_e32 v26, 0, v26, vcc
	v_cmp_nlt_f32_e32 vcc, s40, v50
	v_fma_f32 v50, v31, s38, -v49
	v_rndne_f32_e32 v51, v49
	v_fmac_f32_e32 v50, 0x32a5705f, v31
	v_sub_f32_e32 v49, v49, v51
	v_add_f32_e32 v49, v49, v50
	v_exp_f32_e32 v49, v49
	v_cvt_i32_f32_e32 v50, v51
	v_cndmask_b32_e32 v26, v54, v26, vcc
	v_cmp_ngt_f32_e32 vcc, s39, v31
	v_cmp_nlt_f32_e64 s[0:1], s40, v31
	v_ldexp_f32 v49, v49, v50
	v_cndmask_b32_e32 v31, 0, v49, vcc
	v_cmp_ngt_f32_e32 vcc, s39, v48
	v_cndmask_b32_e64 v31, v54, v31, s[0:1]
	v_perm_b32 v36, v43, v42, s42
	v_cndmask_b32_e32 v30, 0, v30, vcc
	v_cmp_nlt_f32_e32 vcc, s40, v48
	v_mul_f32_e32 v48, 0xbfd9db23, v8
	v_mul_f32_e32 v32, 0x3fb8aa3b, v48
	v_fma_f32 v33, v48, s38, -v32
	v_rndne_f32_e32 v49, v32
	v_fmac_f32_e32 v33, 0x32a5705f, v48
	v_sub_f32_e32 v32, v32, v49
	v_add_f32_e32 v32, v32, v33
	v_exp_f32_e32 v32, v32
	v_cvt_i32_f32_e32 v33, v49
	v_cndmask_b32_e32 v30, v54, v30, vcc
	v_add_f32_e32 v28, 1.0, v28
	v_add_f32_e32 v29, 1.0, v29
	v_ldexp_f32 v32, v32, v33
	v_mul_f32_e32 v33, 0xbfd9db23, v9
	v_mul_f32_e32 v49, 0x3fb8aa3b, v33
	v_fma_f32 v50, v33, s38, -v49
	v_rndne_f32_e32 v51, v49
	v_fmac_f32_e32 v50, 0x32a5705f, v33
	v_sub_f32_e32 v49, v49, v51
	v_add_f32_e32 v49, v49, v50
	v_exp_f32_e32 v49, v49
	v_cvt_i32_f32_e32 v50, v51
	v_cmp_ngt_f32_e32 vcc, s39, v33
	v_cmp_nlt_f32_e64 s[0:1], s40, v33
	v_rcp_f32_e32 v28, v28
	v_ldexp_f32 v49, v49, v50
	v_cndmask_b32_e32 v33, 0, v49, vcc
	v_cmp_ngt_f32_e32 vcc, s39, v48
	v_cndmask_b32_e64 v33, v54, v33, s[0:1]
	v_rcp_f32_e32 v29, v29
	v_cndmask_b32_e32 v32, 0, v32, vcc
	v_cmp_nlt_f32_e32 vcc, s40, v48
	v_mul_f32_e32 v48, 0xbfd9db23, v2
	v_mul_f32_e32 v46, 0x3fb8aa3b, v48
	v_fma_f32 v47, v48, s38, -v46
	v_rndne_f32_e32 v49, v46
	v_fmac_f32_e32 v47, 0x32a5705f, v48
	v_sub_f32_e32 v46, v46, v49
	v_add_f32_e32 v46, v46, v47
	v_exp_f32_e32 v46, v46
	v_cvt_i32_f32_e32 v47, v49
	v_cndmask_b32_e32 v32, v54, v32, vcc
	v_pk_mul_f32 v[28:29], v[24:25], v[28:29]
	v_add_f32_e32 v26, 1.0, v26
	v_ldexp_f32 v49, v46, v47
	v_mul_f32_e32 v46, 0xbfd9db23, v3
	v_mul_f32_e32 v47, 0x3fb8aa3b, v46
	v_fma_f32 v50, v46, s38, -v47
	v_rndne_f32_e32 v51, v47
	v_fmac_f32_e32 v50, 0x32a5705f, v46
	v_sub_f32_e32 v47, v47, v51
	v_add_f32_e32 v47, v47, v50
	v_exp_f32_e32 v47, v47
	v_cvt_i32_f32_e32 v50, v51
	v_cmp_ngt_f32_e32 vcc, s39, v46
	v_cmp_nlt_f32_e64 s[0:1], s40, v46
	v_add_f32_e32 v27, 1.0, v27
	v_ldexp_f32 v50, v47, v50
	v_pk_mul_f32 v[46:47], v[34:35], v[40:41]
	v_perm_b32 v35, v45, v44, s42
	buffer_load_dwordx4 v[38:41], v53, s[24:27], 16 offen
	v_perm_b32 v34, v47, v46, s42
	buffer_store_dwordx4 v[34:37], v53, s[8:11], 0 offen
	buffer_load_dwordx4 v[34:37], v52, s[16:19], 32 offen
	v_rcp_f32_e32 v26, v26
	v_rcp_f32_e32 v27, v27
	v_add_f32_e32 v30, 1.0, v30
	v_add_f32_e32 v31, 1.0, v31
	v_rcp_f32_e32 v30, v30
	v_rcp_f32_e32 v31, v31
	v_pk_mul_f32 v[26:27], v[22:23], v[26:27]
	v_add_f32_e32 v32, 1.0, v32
	v_add_f32_e32 v33, 1.0, v33
	v_rcp_f32_e32 v32, v32
	v_rcp_f32_e32 v33, v33
	v_min_f32_e32 v7, 0x40e00000, v7
	v_min_f32_e32 v4, 0x40e00000, v4
	;; [unrolled: 1-line block ×3, first 2 shown]
	s_waitcnt vmcnt(2)
	v_and_b32_e32 v43, 0xffff0000, v40
	v_lshlrev_b32_e32 v42, 16, v40
	v_and_b32_e32 v45, 0xffff0000, v38
	v_lshlrev_b32_e32 v44, 16, v38
	;; [unrolled: 2-line block ×4, first 2 shown]
	s_waitcnt vmcnt(0)
	v_pk_add_f32 v[40:41], v[36:37], v[40:41]
	v_pk_add_f32 v[44:45], v[34:35], v[44:45]
	buffer_load_dwordx4 v[34:37], v52, s[16:19], 48 offen
	v_cndmask_b32_e32 v38, 0, v50, vcc
	v_cmp_ngt_f32_e32 vcc, s39, v48
	v_mul_f32_e32 v50, 0xbfd9db23, v0
	v_cndmask_b32_e64 v38, v54, v38, s[0:1]
	v_cndmask_b32_e32 v39, 0, v49, vcc
	v_cmp_nlt_f32_e32 vcc, s40, v48
	s_waitcnt vmcnt(0)
	v_pk_add_f32 v[48:49], v[34:35], v[42:43]
	v_mul_f32_e32 v34, 0x3fb8aa3b, v50
	v_pk_add_f32 v[46:47], v[36:37], v[46:47]
	v_fma_f32 v35, v50, s38, -v34
	v_rndne_f32_e32 v36, v34
	v_fmac_f32_e32 v35, 0x32a5705f, v50
	v_sub_f32_e32 v34, v34, v36
	v_add_f32_e32 v34, v34, v35
	v_exp_f32_e32 v37, v34
	v_cvt_i32_f32_e32 v36, v36
	v_cndmask_b32_e32 v39, v54, v39, vcc
	v_add_f32_e32 v39, 1.0, v39
	v_add_f32_e32 v35, 1.0, v38
	v_ldexp_f32 v36, v37, v36
	v_mul_f32_e32 v37, 0xbfd9db23, v1
	v_mul_f32_e32 v38, 0x3fb8aa3b, v37
	v_rcp_f32_e32 v34, v39
	v_fma_f32 v39, v37, s38, -v38
	v_rndne_f32_e32 v42, v38
	v_fmac_f32_e32 v39, 0x32a5705f, v37
	v_sub_f32_e32 v38, v38, v42
	v_add_f32_e32 v38, v38, v39
	v_exp_f32_e32 v38, v38
	v_cvt_i32_f32_e32 v39, v42
	v_cmp_ngt_f32_e32 vcc, s39, v50
	v_med3_f32 v42, v40, s41, v55
	v_med3_f32 v40, v44, s41, v55
	v_cndmask_b32_e32 v36, 0, v36, vcc
	v_cmp_nlt_f32_e32 vcc, s40, v50
	v_ldexp_f32 v38, v38, v39
	v_min_f32_e32 v39, 0x40e00000, v15
	v_cndmask_b32_e32 v36, v54, v36, vcc
	v_cmp_ngt_f32_e32 vcc, s39, v37
	v_min_f32_e32 v15, 0x40e00000, v13
	v_min_f32_e32 v13, 0x40e00000, v17
	v_cndmask_b32_e32 v38, 0, v38, vcc
	v_cmp_nlt_f32_e32 vcc, s40, v37
	v_med3_f32 v44, v48, s41, v55
	v_med3_f32 v43, v41, s41, v55
	v_cndmask_b32_e32 v37, v54, v38, vcc
	v_min_f32_e32 v38, 0x40e00000, v14
	v_mul_f32_e32 v50, 0xbfd9db23, v38
	v_min_f32_e32 v14, 0x40e00000, v12
	v_min_f32_e32 v12, 0x40e00000, v16
	v_mul_f32_e32 v16, 0x3fb8aa3b, v50
	v_fma_f32 v17, v50, s38, -v16
	v_rndne_f32_e32 v48, v16
	v_fmac_f32_e32 v17, 0x32a5705f, v50
	v_sub_f32_e32 v16, v16, v48
	v_add_f32_e32 v16, v16, v17
	v_mul_f32_e32 v17, 0xbfd9db23, v39
	v_mul_f32_e32 v24, 0x3fb8aa3b, v17
	v_med3_f32 v41, v45, s41, v55
	v_med3_f32 v45, v49, s41, v55
	v_fma_f32 v25, v17, s38, -v24
	v_rndne_f32_e32 v49, v24
	v_fmac_f32_e32 v25, 0x32a5705f, v17
	v_sub_f32_e32 v24, v24, v49
	v_add_f32_e32 v24, v24, v25
	v_exp_f32_e32 v16, v16
	v_cvt_i32_f32_e32 v25, v48
	v_exp_f32_e32 v24, v24
	v_cmp_ngt_f32_e64 s[2:3], s39, v17
	v_cmp_nlt_f32_e64 s[4:5], s40, v17
	v_ldexp_f32 v16, v16, v25
	v_cvt_i32_f32_e32 v25, v49
	v_cmp_ngt_f32_e32 vcc, s39, v50
	v_cmp_nlt_f32_e64 s[0:1], s40, v50
	v_med3_f32 v47, v47, s41, v55
	v_ldexp_f32 v24, v24, v25
	v_mul_f32_e32 v25, 0xbfd9db23, v14
	v_mul_f32_e32 v48, 0x3fb8aa3b, v25
	v_fma_f32 v49, v25, s38, -v48
	v_rndne_f32_e32 v51, v48
	v_fmac_f32_e32 v49, 0x32a5705f, v25
	v_sub_f32_e32 v48, v48, v51
	v_add_f32_e32 v48, v48, v49
	v_cndmask_b32_e64 v17, 0, v24, s[2:3]
	v_exp_f32_e32 v24, v48
	v_cvt_i32_f32_e32 v48, v51
	v_cndmask_b32_e32 v16, 0, v16, vcc
	v_cndmask_b32_e64 v16, v54, v16, s[0:1]
	v_cmp_ngt_f32_e32 vcc, s39, v25
	v_ldexp_f32 v24, v24, v48
	v_mul_f32_e32 v48, 0xbfd9db23, v15
	v_mul_f32_e32 v49, 0x3fb8aa3b, v48
	v_fma_f32 v50, v48, s38, -v49
	v_rndne_f32_e32 v51, v49
	v_fmac_f32_e32 v50, 0x32a5705f, v48
	v_sub_f32_e32 v49, v49, v51
	v_add_f32_e32 v49, v49, v50
	v_cmp_nlt_f32_e64 s[0:1], s40, v25
	v_exp_f32_e32 v25, v49
	v_cvt_i32_f32_e32 v49, v51
	v_mul_f32_e32 v50, 0xbfd9db23, v12
	v_cndmask_b32_e32 v24, 0, v24, vcc
	v_mul_f32_e32 v22, 0x3fb8aa3b, v50
	v_ldexp_f32 v25, v25, v49
	v_cndmask_b32_e64 v24, v54, v24, s[0:1]
	v_cmp_ngt_f32_e32 vcc, s39, v48
	v_cmp_nlt_f32_e64 s[0:1], s40, v48
	v_fma_f32 v23, v50, s38, -v22
	v_rndne_f32_e32 v51, v22
	v_pk_mul_f32 v[48:49], v[18:19], v[30:31]
	v_mul_f32_e32 v18, 0xbfd9db23, v13
	v_fmac_f32_e32 v23, 0x32a5705f, v50
	v_sub_f32_e32 v22, v22, v51
	v_mul_f32_e32 v19, 0x3fb8aa3b, v18
	v_add_f32_e32 v22, v22, v23
	v_fma_f32 v23, v18, s38, -v19
	v_rndne_f32_e32 v30, v19
	v_fmac_f32_e32 v23, 0x32a5705f, v18
	v_sub_f32_e32 v19, v19, v30
	v_add_f32_e32 v19, v19, v23
	v_exp_f32_e32 v22, v22
	v_cvt_i32_f32_e32 v23, v51
	v_exp_f32_e32 v19, v19
	v_cndmask_b32_e32 v25, 0, v25, vcc
	v_cmp_ngt_f32_e32 vcc, s39, v50
	v_ldexp_f32 v22, v22, v23
	v_cvt_i32_f32_e32 v23, v30
	v_cndmask_b32_e64 v17, v54, v17, s[4:5]
	v_cmp_ngt_f32_e64 s[2:3], s39, v18
	v_cmp_nlt_f32_e64 s[4:5], s40, v18
	v_ldexp_f32 v19, v19, v23
	v_mul_f32_e32 v23, 0xbfd9db23, v10
	v_mul_f32_e32 v30, 0x3fb8aa3b, v23
	v_fma_f32 v31, v23, s38, -v30
	v_rndne_f32_e32 v51, v30
	v_fmac_f32_e32 v31, 0x32a5705f, v23
	v_sub_f32_e32 v30, v30, v51
	v_add_f32_e32 v30, v30, v31
	v_cndmask_b32_e32 v18, 0, v22, vcc
	v_exp_f32_e32 v22, v30
	v_cvt_i32_f32_e32 v30, v51
	v_cndmask_b32_e64 v25, v54, v25, s[0:1]
	v_cmp_nlt_f32_e64 s[0:1], s40, v50
	v_cmp_ngt_f32_e32 vcc, s39, v23
	v_ldexp_f32 v22, v22, v30
	v_mul_f32_e32 v30, 0xbfd9db23, v11
	v_mul_f32_e32 v31, 0x3fb8aa3b, v30
	v_fma_f32 v50, v30, s38, -v31
	v_rndne_f32_e32 v51, v31
	v_fmac_f32_e32 v50, 0x32a5705f, v30
	v_sub_f32_e32 v31, v31, v51
	v_add_f32_e32 v31, v31, v50
	v_cndmask_b32_e64 v18, v54, v18, s[0:1]
	v_cmp_nlt_f32_e64 s[0:1], s40, v23
	v_exp_f32_e32 v23, v31
	v_cvt_i32_f32_e32 v31, v51
	v_cndmask_b32_e32 v22, 0, v22, vcc
	v_mul_f32_e32 v50, 0xbfd9db23, v6
	v_cndmask_b32_e64 v22, v54, v22, s[0:1]
	v_ldexp_f32 v23, v23, v31
	v_cmp_ngt_f32_e32 vcc, s39, v30
	v_cmp_nlt_f32_e64 s[0:1], s40, v30
	v_pk_mul_f32 v[30:31], v[8:9], v[32:33]
	v_mul_f32_e32 v8, 0x3fb8aa3b, v50
	v_fma_f32 v9, v50, s38, -v8
	v_rndne_f32_e32 v32, v8
	v_fmac_f32_e32 v9, 0x32a5705f, v50
	v_sub_f32_e32 v8, v8, v32
	v_add_f32_e32 v8, v8, v9
	v_exp_f32_e32 v8, v8
	v_cvt_i32_f32_e32 v9, v32
	v_cndmask_b32_e32 v23, 0, v23, vcc
	v_cndmask_b32_e64 v23, v54, v23, s[0:1]
	v_med3_f32 v46, v46, s41, v55
	v_ldexp_f32 v8, v8, v9
	v_mul_f32_e32 v9, 0xbfd9db23, v7
	v_mul_f32_e32 v32, 0x3fb8aa3b, v9
	v_fma_f32 v33, v9, s38, -v32
	v_rndne_f32_e32 v51, v32
	v_fmac_f32_e32 v33, 0x32a5705f, v9
	v_sub_f32_e32 v32, v32, v51
	v_add_f32_e32 v32, v32, v33
	v_exp_f32_e32 v32, v32
	v_cvt_i32_f32_e32 v33, v51
	v_cmp_ngt_f32_e32 vcc, s39, v9
	v_cmp_nlt_f32_e64 s[0:1], s40, v9
	v_pk_add_f32 v[42:43], v[42:43], 1.0 op_sel_hi:[1,0]
	v_ldexp_f32 v32, v32, v33
	v_cndmask_b32_e32 v9, 0, v32, vcc
	v_mul_f32_e32 v32, 0xbfd9db23, v4
	v_cmp_ngt_f32_e32 vcc, s39, v50
	v_mul_f32_e32 v33, 0x3fb8aa3b, v32
	v_rndne_f32_e32 v51, v33
	v_cndmask_b32_e32 v8, 0, v8, vcc
	v_cmp_nlt_f32_e32 vcc, s40, v50
	v_fma_f32 v50, v32, s38, -v33
	v_fmac_f32_e32 v50, 0x32a5705f, v32
	v_sub_f32_e32 v33, v33, v51
	v_add_f32_e32 v33, v33, v50
	v_exp_f32_e32 v33, v33
	v_cvt_i32_f32_e32 v50, v51
	v_cndmask_b32_e32 v8, v54, v8, vcc
	v_cndmask_b32_e64 v9, v54, v9, s[0:1]
	v_cmp_ngt_f32_e32 vcc, s39, v32
	v_ldexp_f32 v50, v33, v50
	v_cmp_nlt_f32_e64 s[0:1], s40, v32
	v_pk_add_f32 v[32:33], v[46:47], 1.0 op_sel_hi:[1,0]
	v_pk_add_f32 v[44:45], v[44:45], 1.0 op_sel_hi:[1,0]
	;; [unrolled: 1-line block ×3, first 2 shown]
	v_pk_mul_f32 v[26:27], v[42:43], v[26:27]
	v_pk_mul_f32 v[42:43], v[32:33], v[30:31]
	buffer_load_dwordx4 v[30:33], v53, s[24:27], 32 offen
	v_pk_mul_f32 v[46:47], v[40:41], v[28:29]
	v_pk_mul_f32 v[40:41], v[44:45], v[48:49]
	v_perm_b32 v29, v43, v42, s42
	v_perm_b32 v28, v41, v40, s42
	buffer_load_dwordx4 v[40:43], v52, s[16:19], 64 offen
	v_perm_b32 v27, v27, v26, s42
	v_perm_b32 v26, v47, v46, s42
	buffer_store_dwordx4 v[26:29], v53, s[8:11], 16 offen
	buffer_load_dwordx4 v[26:29], v52, s[16:19], s35 offen
	v_mul_f32_e32 v51, 0xbfd9db23, v5
	v_add_f32_e32 v36, 1.0, v36
	v_add_f32_e32 v37, 1.0, v37
	v_rcp_f32_e32 v35, v35
	v_rcp_f32_e32 v36, v36
	;; [unrolled: 1-line block ×3, first 2 shown]
	v_add_f32_e32 v16, 1.0, v16
	v_pk_mul_f32 v[34:35], v[2:3], v[34:35]
	v_add_f32_e32 v17, 1.0, v17
	v_pk_mul_f32 v[36:37], v[0:1], v[36:37]
	buffer_load_dwordx4 v[0:3], v52, s[16:19], s37 offen
	v_rcp_f32_e32 v16, v16
	v_rcp_f32_e32 v17, v17
	v_add_f32_e32 v24, 1.0, v24
	v_add_f32_e32 v25, 1.0, v25
	v_rcp_f32_e32 v24, v24
	v_rcp_f32_e32 v25, v25
	v_pk_mul_f32 v[16:17], v[38:39], v[16:17]
	v_cndmask_b32_e32 v38, 0, v50, vcc
	v_cmp_ngt_f32_e32 vcc, s39, v51
	v_cndmask_b32_e64 v19, 0, v19, s[2:3]
	v_cndmask_b32_e64 v38, v54, v38, s[0:1]
	v_cmp_nlt_f32_e64 s[0:1], s40, v51
	v_cndmask_b32_e64 v19, v54, v19, s[4:5]
	v_pk_mul_f32 v[14:15], v[14:15], v[24:25]
	v_add_f32_e32 v18, 1.0, v18
	v_add_f32_e32 v19, 1.0, v19
	;; [unrolled: 1-line block ×7, first 2 shown]
	v_rcp_f32_e32 v18, v18
	v_rcp_f32_e32 v19, v19
	;; [unrolled: 1-line block ×7, first 2 shown]
	v_pk_mul_f32 v[12:13], v[12:13], v[18:19]
	v_pk_mul_f32 v[10:11], v[10:11], v[22:23]
	;; [unrolled: 1-line block ×3, first 2 shown]
	s_waitcnt vmcnt(4)
	v_and_b32_e32 v45, 0xffff0000, v32
	v_lshlrev_b32_e32 v44, 16, v32
	v_and_b32_e32 v47, 0xffff0000, v30
	v_lshlrev_b32_e32 v46, 16, v30
	;; [unrolled: 2-line block ×4, first 2 shown]
	s_waitcnt vmcnt(3)
	v_pk_add_f32 v[30:31], v[42:43], v[32:33]
	v_pk_add_f32 v[32:33], v[40:41], v[46:47]
	v_mul_f32_e32 v40, 0x3fb8aa3b, v51
	v_fma_f32 v41, v51, s38, -v40
	v_rndne_f32_e32 v42, v40
	v_fmac_f32_e32 v41, 0x32a5705f, v51
	v_sub_f32_e32 v40, v40, v42
	v_add_f32_e32 v40, v40, v41
	v_exp_f32_e32 v46, v40
	v_cvt_i32_f32_e32 v47, v42
	s_waitcnt vmcnt(1)
	v_pk_add_f32 v[40:41], v[28:29], v[48:49]
	v_pk_add_f32 v[42:43], v[26:27], v[44:45]
	buffer_load_dwordx4 v[26:29], v53, s[24:27], 48 offen
	v_ldexp_f32 v48, v46, v47
	v_med3_f32 v45, v31, s41, v55
	v_med3_f32 v44, v30, s41, v55
	;; [unrolled: 1-line block ×4, first 2 shown]
	buffer_load_dwordx4 v[30:33], v52, s[16:19], s36 offen
	v_med3_f32 v41, v41, s41, v55
	v_med3_f32 v40, v40, s41, v55
	;; [unrolled: 1-line block ×4, first 2 shown]
	v_cndmask_b32_e32 v39, 0, v48, vcc
	v_cndmask_b32_e64 v39, v54, v39, s[0:1]
	v_pk_add_f32 v[40:41], v[40:41], 1.0 op_sel_hi:[1,0]
	v_pk_add_f32 v[44:45], v[44:45], 1.0 op_sel_hi:[1,0]
	;; [unrolled: 1-line block ×4, first 2 shown]
	v_add_f32_e32 v39, 1.0, v39
	v_pk_mul_f32 v[24:25], v[44:45], v[36:37]
	v_pk_mul_f32 v[14:15], v[40:41], v[14:15]
	v_pk_mul_f32 v[34:35], v[46:47], v[34:35]
	v_pk_mul_f32 v[36:37], v[42:43], v[16:17]
	v_rcp_f32_e32 v39, v39
	v_perm_b32 v17, v15, v14, s42
	v_perm_b32 v15, v25, v24, s42
	;; [unrolled: 1-line block ×4, first 2 shown]
	buffer_store_dwordx4 v[14:17], v53, s[8:11], 32 offen
	v_pk_mul_f32 v[4:5], v[4:5], v[38:39]
	v_cmp_le_i64_e32 vcc, s[6:7], v[20:21]
	v_add_u32_e32 v52, s33, v52
	s_or_b64 s[30:31], vcc, s[30:31]
	s_waitcnt vmcnt(2)
	v_and_b32_e32 v15, 0xffff0000, v28
	v_lshlrev_b32_e32 v14, 16, v28
	v_and_b32_e32 v17, 0xffff0000, v26
	v_lshlrev_b32_e32 v16, 16, v26
	;; [unrolled: 2-line block ×4, first 2 shown]
	s_waitcnt vmcnt(1)
	v_pk_add_f32 v[26:27], v[32:33], v[28:29]
	v_pk_add_f32 v[2:3], v[2:3], v[24:25]
	;; [unrolled: 1-line block ×4, first 2 shown]
	v_med3_f32 v15, v27, s41, v55
	v_med3_f32 v14, v26, s41, v55
	;; [unrolled: 1-line block ×8, first 2 shown]
	v_pk_add_f32 v[2:3], v[2:3], 1.0 op_sel_hi:[1,0]
	v_pk_add_f32 v[14:15], v[14:15], 1.0 op_sel_hi:[1,0]
	;; [unrolled: 1-line block ×4, first 2 shown]
	v_pk_mul_f32 v[8:9], v[14:15], v[10:11]
	v_pk_mul_f32 v[2:3], v[2:3], v[4:5]
	;; [unrolled: 1-line block ×4, first 2 shown]
	v_perm_b32 v3, v3, v2, s42
	v_perm_b32 v1, v9, v8, s42
	;; [unrolled: 1-line block ×4, first 2 shown]
	buffer_store_dwordx4 v[0:3], v53, s[8:11], 48 offen
	v_add_u32_e32 v53, s34, v53
	s_andn2_b64 exec, exec, s[30:31]
	s_cbranch_execnz .LBB319_8
.LBB319_9:
	s_endpgm
	.section	.rodata,"a",@progbits
	.p2align	6, 0x0
	.amdhsa_kernel _ZN5aiter30swiglu_act_and_mul_bias_kernelIttifLi32EEEvPT0_PKT_PKT1_PKT2_il
		.amdhsa_group_segment_fixed_size 0
		.amdhsa_private_segment_fixed_size 0
		.amdhsa_kernarg_size 304
		.amdhsa_user_sgpr_count 2
		.amdhsa_user_sgpr_dispatch_ptr 0
		.amdhsa_user_sgpr_queue_ptr 0
		.amdhsa_user_sgpr_kernarg_segment_ptr 1
		.amdhsa_user_sgpr_dispatch_id 0
		.amdhsa_user_sgpr_kernarg_preload_length 0
		.amdhsa_user_sgpr_kernarg_preload_offset 0
		.amdhsa_user_sgpr_private_segment_size 0
		.amdhsa_uses_dynamic_stack 0
		.amdhsa_enable_private_segment 0
		.amdhsa_system_sgpr_workgroup_id_x 1
		.amdhsa_system_sgpr_workgroup_id_y 0
		.amdhsa_system_sgpr_workgroup_id_z 0
		.amdhsa_system_sgpr_workgroup_info 0
		.amdhsa_system_vgpr_workitem_id 0
		.amdhsa_next_free_vgpr 60
		.amdhsa_next_free_sgpr 43
		.amdhsa_accum_offset 60
		.amdhsa_reserve_vcc 1
		.amdhsa_float_round_mode_32 0
		.amdhsa_float_round_mode_16_64 0
		.amdhsa_float_denorm_mode_32 3
		.amdhsa_float_denorm_mode_16_64 3
		.amdhsa_dx10_clamp 1
		.amdhsa_ieee_mode 1
		.amdhsa_fp16_overflow 0
		.amdhsa_tg_split 0
		.amdhsa_exception_fp_ieee_invalid_op 0
		.amdhsa_exception_fp_denorm_src 0
		.amdhsa_exception_fp_ieee_div_zero 0
		.amdhsa_exception_fp_ieee_overflow 0
		.amdhsa_exception_fp_ieee_underflow 0
		.amdhsa_exception_fp_ieee_inexact 0
		.amdhsa_exception_int_div_zero 0
	.end_amdhsa_kernel
	.section	.text._ZN5aiter30swiglu_act_and_mul_bias_kernelIttifLi32EEEvPT0_PKT_PKT1_PKT2_il,"axG",@progbits,_ZN5aiter30swiglu_act_and_mul_bias_kernelIttifLi32EEEvPT0_PKT_PKT1_PKT2_il,comdat
.Lfunc_end319:
	.size	_ZN5aiter30swiglu_act_and_mul_bias_kernelIttifLi32EEEvPT0_PKT_PKT1_PKT2_il, .Lfunc_end319-_ZN5aiter30swiglu_act_and_mul_bias_kernelIttifLi32EEEvPT0_PKT_PKT1_PKT2_il
                                        ; -- End function
	.section	.AMDGPU.csdata,"",@progbits
; Kernel info:
; codeLenInByte = 5496
; NumSgprs: 49
; NumVgprs: 60
; NumAgprs: 0
; TotalNumVgprs: 60
; ScratchSize: 0
; MemoryBound: 0
; FloatMode: 240
; IeeeMode: 1
; LDSByteSize: 0 bytes/workgroup (compile time only)
; SGPRBlocks: 6
; VGPRBlocks: 7
; NumSGPRsForWavesPerEU: 49
; NumVGPRsForWavesPerEU: 60
; AccumOffset: 60
; Occupancy: 8
; WaveLimiterHint : 0
; COMPUTE_PGM_RSRC2:SCRATCH_EN: 0
; COMPUTE_PGM_RSRC2:USER_SGPR: 2
; COMPUTE_PGM_RSRC2:TRAP_HANDLER: 0
; COMPUTE_PGM_RSRC2:TGID_X_EN: 1
; COMPUTE_PGM_RSRC2:TGID_Y_EN: 0
; COMPUTE_PGM_RSRC2:TGID_Z_EN: 0
; COMPUTE_PGM_RSRC2:TIDIG_COMP_CNT: 0
; COMPUTE_PGM_RSRC3_GFX90A:ACCUM_OFFSET: 14
; COMPUTE_PGM_RSRC3_GFX90A:TG_SPLIT: 0
	.section	.text._ZN5aiter30swiglu_act_and_mul_bias_kernelIttifLi16EEEvPT0_PKT_PKT1_PKT2_il,"axG",@progbits,_ZN5aiter30swiglu_act_and_mul_bias_kernelIttifLi16EEEvPT0_PKT_PKT1_PKT2_il,comdat
	.protected	_ZN5aiter30swiglu_act_and_mul_bias_kernelIttifLi16EEEvPT0_PKT_PKT1_PKT2_il ; -- Begin function _ZN5aiter30swiglu_act_and_mul_bias_kernelIttifLi16EEEvPT0_PKT_PKT1_PKT2_il
	.globl	_ZN5aiter30swiglu_act_and_mul_bias_kernelIttifLi16EEEvPT0_PKT_PKT1_PKT2_il
	.p2align	8
	.type	_ZN5aiter30swiglu_act_and_mul_bias_kernelIttifLi16EEEvPT0_PKT_PKT1_PKT2_il,@function
_ZN5aiter30swiglu_act_and_mul_bias_kernelIttifLi16EEEvPT0_PKT_PKT1_PKT2_il: ; @_ZN5aiter30swiglu_act_and_mul_bias_kernelIttifLi16EEEvPT0_PKT_PKT1_PKT2_il
; %bb.0:
	s_load_dword s20, s[0:1], 0x20
	s_load_dwordx2 s[4:5], s[0:1], 0x10
	s_load_dwordx2 s[12:13], s[0:1], 0x28
	s_mov_b32 s3, 0
	s_lshl_b64 s[6:7], s[2:3], 2
	s_waitcnt lgkmcnt(0)
	s_ashr_i32 s21, s20, 31
	s_add_u32 s4, s4, s6
	s_addc_u32 s5, s5, s7
	s_add_i32 s3, s20, 1
	s_load_dword s8, s[4:5], 0x0
	s_load_dwordx2 s[14:15], s[0:1], 0x0
	s_lshr_b32 s4, s3, 31
	s_add_i32 s3, s3, s4
	s_lshl_b32 s3, s3, 1
	s_and_b32 s6, s3, -4
	s_mul_hi_u32 s3, s20, s2
	s_mul_i32 s4, s21, s2
	s_add_i32 s5, s3, s4
	s_mul_i32 s4, s20, s2
	s_waitcnt lgkmcnt(0)
	s_ashr_i32 s9, s8, 31
	s_lshl_b64 s[4:5], s[4:5], 1
	v_mov_b64_e32 v[2:3], s[12:13]
	v_cmp_gt_i64_e64 s[16:17], s[8:9], -1
	s_add_u32 s4, s14, s4
	v_cmp_lt_i64_e32 vcc, s[8:9], v[2:3]
	s_addc_u32 s3, s15, s5
	s_and_b64 s[12:13], s[16:17], vcc
	s_mov_b64 s[10:11], -1
	s_and_b32 s5, s3, 0xffff
	s_and_b64 vcc, exec, s[12:13]
	v_lshlrev_b32_e32 v32, 4, v0
	s_cbranch_vccnz .LBB320_5
; %bb.1:
	v_cmp_gt_i32_e32 vcc, s20, v32
	s_and_saveexec_b64 s[10:11], vcc
	s_cbranch_execz .LBB320_4
; %bb.2:
	s_load_dword s3, s[0:1], 0x3c
	s_mov_b32 s13, 0
	s_mov_b32 s16, s13
	;; [unrolled: 1-line block ×3, first 2 shown]
	v_mov_b32_e32 v33, 0
	s_waitcnt lgkmcnt(0)
	s_and_b32 s3, s3, 0xffff
	s_mov_b32 s18, s13
	s_mov_b32 s19, s13
	v_mov_b64_e32 v[2:3], s[16:17]
	v_lshlrev_b32_e32 v1, 5, v0
	s_lshl_b32 s12, s3, 4
	s_lshl_b32 s3, s3, 5
	s_mov_b64 s[14:15], 0
	s_mov_b32 s7, 0x20000
	v_mov_b64_e32 v[4:5], s[18:19]
	v_mov_b64_e32 v[6:7], v[32:33]
.LBB320_3:                              ; =>This Inner Loop Header: Depth=1
	v_lshl_add_u64 v[6:7], s[12:13], 0, v[6:7]
	v_cmp_le_i64_e32 vcc, s[20:21], v[6:7]
	buffer_store_dwordx4 v[2:5], v1, s[4:7], 0 offen
	buffer_store_dwordx4 v[2:5], v1, s[4:7], 16 offen
	s_or_b64 s[14:15], vcc, s[14:15]
	v_add_u32_e32 v1, s3, v1
	s_andn2_b64 exec, exec, s[14:15]
	s_cbranch_execnz .LBB320_3
.LBB320_4:
	s_or_b64 exec, exec, s[10:11]
	s_mov_b64 s[10:11], 0
.LBB320_5:
	s_andn2_b64 vcc, exec, s[10:11]
	s_cbranch_vccnz .LBB320_9
; %bb.6:
	v_cmp_gt_i32_e32 vcc, s20, v32
	s_and_saveexec_b64 s[10:11], vcc
	s_cbranch_execz .LBB320_9
; %bb.7:
	s_load_dwordx2 s[12:13], s[0:1], 0x8
	s_load_dwordx2 s[10:11], s[0:1], 0x18
	s_mul_hi_i32 s9, s20, s8
	s_mul_i32 s8, s20, s8
	s_lshl_b64 s[8:9], s[8:9], 3
	s_load_dword s14, s[0:1], 0x3c
	s_waitcnt lgkmcnt(0)
	s_add_u32 s8, s10, s8
	s_addc_u32 s3, s11, s9
	s_lshl_b64 s[0:1], s[20:21], 2
	s_add_u32 s0, s8, s0
	s_addc_u32 s1, s3, s1
	s_and_b32 s9, s3, 0xffff
	s_mul_i32 s3, s2, s21
	s_mul_hi_u32 s15, s2, s20
	s_add_i32 s3, s15, s3
	s_mul_i32 s2, s2, s20
	s_lshl_b32 s10, s20, 2
	s_and_b32 s1, s1, 0xffff
	s_lshl_b64 s[2:3], s[2:3], 2
	s_add_u32 s12, s12, s2
	s_addc_u32 s13, s13, s3
	s_lshl_b64 s[2:3], s[20:21], 1
	s_add_u32 s16, s12, s2
	s_addc_u32 s2, s13, s3
	s_mov_b32 s7, 0x20000
	s_and_b32 s17, s2, 0xffff
	s_and_b32 s2, s14, 0xffff
	s_mov_b32 s11, s7
	s_and_b32 s13, s13, 0xffff
	s_mov_b32 s23, 0
	v_mov_b32_e32 v33, 0
	s_lshl_b32 s22, s2, 4
	v_lshlrev_b32_e32 v40, 6, v0
	s_lshl_b32 s26, s2, 6
	v_lshlrev_b32_e32 v41, 5, v0
	s_lshl_b32 s27, s2, 5
	s_mov_b64 s[24:25], 0
	s_mov_b32 s19, s7
	s_mov_b32 s18, s6
	;; [unrolled: 1-line block ×5, first 2 shown]
	v_mov_b32_e32 v42, 0x7f800000
	s_mov_b32 s31, 0xc0e00000
	v_mov_b32_e32 v43, 0x40e00000
	s_mov_b32 s33, 0x7060302
	s_mov_b32 s14, s6
	;; [unrolled: 1-line block ×3, first 2 shown]
.LBB320_8:                              ; =>This Inner Loop Header: Depth=1
	buffer_load_dwordx4 v[20:23], v41, s[12:15], 0 offen
	buffer_load_dwordx4 v[28:31], v40, s[8:11], 0 offen
	;; [unrolled: 1-line block ×8, first 2 shown]
	s_mov_b32 s2, s10
	s_mov_b32 s3, s11
	v_lshl_add_u64 v[32:33], s[22:23], 0, v[32:33]
	s_waitcnt vmcnt(7)
	v_and_b32_e32 v35, 0xffff0000, v20
	v_lshlrev_b32_e32 v34, 16, v20
	v_and_b32_e32 v37, 0xffff0000, v21
	v_lshlrev_b32_e32 v36, 16, v21
	;; [unrolled: 2-line block ×3, first 2 shown]
	s_waitcnt vmcnt(6)
	v_pk_add_f32 v[28:29], v[28:29], v[34:35]
	v_pk_add_f32 v[30:31], v[30:31], v[36:37]
	s_waitcnt vmcnt(5)
	v_pk_add_f32 v[36:37], v[24:25], v[20:21]
	v_min_f32_e32 v20, 0x40e00000, v28
	v_min_f32_e32 v21, 0x40e00000, v29
	v_mul_f32_e32 v22, 0xbfd9db23, v20
	v_min_f32_e32 v24, 0x40e00000, v30
	v_mul_f32_e32 v29, 0xbfd9db23, v21
	v_mul_f32_e32 v34, 0x3fb8aa3b, v22
	v_min_f32_e32 v25, 0x40e00000, v31
	v_mul_f32_e32 v30, 0xbfd9db23, v24
	v_mul_f32_e32 v35, 0x3fb8aa3b, v29
	v_fma_f32 v45, v22, s28, -v34
	v_rndne_f32_e32 v46, v34
	v_mul_f32_e32 v31, 0xbfd9db23, v25
	v_mul_f32_e32 v38, 0x3fb8aa3b, v30
	v_fma_f32 v47, v29, s28, -v35
	v_rndne_f32_e32 v48, v35
	v_fmac_f32_e32 v45, 0x32a5705f, v22
	v_sub_f32_e32 v34, v34, v46
	v_mul_f32_e32 v39, 0x3fb8aa3b, v31
	v_fma_f32 v49, v30, s28, -v38
	v_rndne_f32_e32 v50, v38
	v_add_f32_e32 v34, v34, v45
	v_fmac_f32_e32 v47, 0x32a5705f, v29
	v_sub_f32_e32 v35, v35, v48
	v_fma_f32 v51, v31, s28, -v39
	v_rndne_f32_e32 v52, v39
	v_add_f32_e32 v35, v35, v47
	v_cvt_i32_f32_e32 v46, v46
	v_fmac_f32_e32 v49, 0x32a5705f, v30
	v_sub_f32_e32 v38, v38, v50
	v_exp_f32_e32 v34, v34
	v_cvt_i32_f32_e32 v48, v48
	v_fmac_f32_e32 v51, 0x32a5705f, v31
	v_sub_f32_e32 v39, v39, v52
	v_add_f32_e32 v38, v38, v49
	v_exp_f32_e32 v35, v35
	v_cvt_i32_f32_e32 v50, v50
	v_add_f32_e32 v39, v39, v51
	v_exp_f32_e32 v38, v38
	v_cvt_i32_f32_e32 v52, v52
	v_exp_f32_e32 v39, v39
	v_ldexp_f32 v34, v34, v46
	v_cmp_ngt_f32_e32 vcc, s29, v22
	v_ldexp_f32 v35, v35, v48
	v_min_f32_e32 v28, 0x40e00000, v36
	v_cndmask_b32_e32 v34, 0, v34, vcc
	v_cmp_ngt_f32_e32 vcc, s29, v29
	v_ldexp_f32 v38, v38, v50
	v_mul_f32_e32 v36, 0xbfd9db23, v28
	v_cndmask_b32_e32 v35, 0, v35, vcc
	v_cmp_ngt_f32_e32 vcc, s29, v30
	v_ldexp_f32 v39, v39, v52
	v_mul_f32_e32 v44, 0x3fb8aa3b, v36
	v_cndmask_b32_e32 v38, 0, v38, vcc
	v_cmp_ngt_f32_e32 vcc, s29, v31
	v_fma_f32 v45, v36, s28, -v44
	v_rndne_f32_e32 v47, v44
	v_cndmask_b32_e32 v39, 0, v39, vcc
	v_cmp_nlt_f32_e32 vcc, s30, v22
	v_fmac_f32_e32 v45, 0x32a5705f, v36
	v_sub_f32_e32 v44, v44, v47
	v_cndmask_b32_e32 v22, v42, v34, vcc
	v_cmp_nlt_f32_e32 vcc, s30, v29
	v_add_f32_e32 v44, v44, v45
	v_cvt_i32_f32_e32 v47, v47
	v_cndmask_b32_e32 v29, v42, v35, vcc
	v_cmp_nlt_f32_e32 vcc, s30, v30
	v_exp_f32_e32 v44, v44
	v_add_f32_e32 v29, 1.0, v29
	v_cndmask_b32_e32 v30, v42, v38, vcc
	v_cmp_nlt_f32_e32 vcc, s30, v31
	v_add_f32_e32 v22, 1.0, v22
	v_add_f32_e32 v34, 1.0, v30
	v_cndmask_b32_e32 v31, v42, v39, vcc
	v_add_f32_e32 v35, 1.0, v31
	v_rcp_f32_e32 v31, v29
	v_min_f32_e32 v29, 0x40e00000, v37
	v_mul_f32_e32 v37, 0xbfd9db23, v29
	v_mul_f32_e32 v38, 0x3fb8aa3b, v37
	v_rcp_f32_e32 v30, v22
	v_ldexp_f32 v22, v44, v47
	v_fma_f32 v39, v37, s28, -v38
	v_rndne_f32_e32 v44, v38
	v_fmac_f32_e32 v39, 0x32a5705f, v37
	v_sub_f32_e32 v38, v38, v44
	v_add_f32_e32 v38, v38, v39
	v_exp_f32_e32 v38, v38
	v_cvt_i32_f32_e32 v39, v44
	v_cmp_ngt_f32_e32 vcc, s29, v36
	s_waitcnt vmcnt(3)
	v_and_b32_e32 v49, 0xffff0000, v6
	v_and_b32_e32 v51, 0xffff0000, v4
	v_cndmask_b32_e32 v22, 0, v22, vcc
	v_cmp_nlt_f32_e32 vcc, s30, v36
	v_ldexp_f32 v36, v38, v39
	v_lshlrev_b32_e32 v50, 16, v4
	v_cndmask_b32_e32 v22, v42, v22, vcc
	v_cmp_ngt_f32_e32 vcc, s29, v37
	v_and_b32_e32 v53, 0xffff0000, v7
	v_lshlrev_b32_e32 v52, 16, v7
	v_cndmask_b32_e32 v36, 0, v36, vcc
	v_cmp_nlt_f32_e32 vcc, s30, v37
	v_and_b32_e32 v37, 0xffff0000, v23
	v_and_b32_e32 v55, 0xffff0000, v5
	v_cndmask_b32_e32 v38, v42, v36, vcc
	v_lshlrev_b32_e32 v36, 16, v23
	v_pk_add_f32 v[26:27], v[26:27], v[36:37]
	v_lshlrev_b32_e32 v54, 16, v5
	v_min_f32_e32 v26, 0x40e00000, v26
	v_mul_f32_e32 v36, 0xbfd9db23, v26
	v_mul_f32_e32 v23, 0x3fb8aa3b, v36
	v_fma_f32 v37, v36, s28, -v23
	v_rndne_f32_e32 v39, v23
	v_fmac_f32_e32 v37, 0x32a5705f, v36
	v_sub_f32_e32 v23, v23, v39
	v_add_f32_e32 v23, v23, v37
	v_exp_f32_e32 v37, v23
	v_cvt_i32_f32_e32 v39, v39
	v_min_f32_e32 v27, 0x40e00000, v27
	v_add_f32_e32 v23, 1.0, v38
	v_mul_f32_e32 v38, 0xbfd9db23, v27
	v_ldexp_f32 v37, v37, v39
	v_mul_f32_e32 v39, 0x3fb8aa3b, v38
	v_fma_f32 v44, v38, s28, -v39
	v_rndne_f32_e32 v45, v39
	v_fmac_f32_e32 v44, 0x32a5705f, v38
	v_sub_f32_e32 v39, v39, v45
	v_add_f32_e32 v39, v39, v44
	v_exp_f32_e32 v39, v39
	v_cvt_i32_f32_e32 v44, v45
	v_cmp_ngt_f32_e32 vcc, s29, v36
	v_add_f32_e32 v22, 1.0, v22
	v_rcp_f32_e32 v34, v34
	v_cndmask_b32_e32 v37, 0, v37, vcc
	v_cmp_nlt_f32_e32 vcc, s30, v36
	v_rcp_f32_e32 v35, v35
	v_rcp_f32_e32 v22, v22
	v_cndmask_b32_e32 v36, v42, v37, vcc
	v_ldexp_f32 v37, v39, v44
	v_cmp_ngt_f32_e32 vcc, s29, v38
	v_and_b32_e32 v39, 0xffff0000, v8
	v_add_f32_e32 v36, 1.0, v36
	v_cndmask_b32_e32 v37, 0, v37, vcc
	v_cmp_nlt_f32_e32 vcc, s30, v38
	v_lshlrev_b32_e32 v38, 16, v8
	s_waitcnt vmcnt(1)
	v_pk_add_f32 v[16:17], v[16:17], v[38:39]
	v_cndmask_b32_e32 v37, v42, v37, vcc
	v_min_f32_e32 v16, 0x40e00000, v16
	v_mul_f32_e32 v8, 0xbfd9db23, v16
	v_mul_f32_e32 v38, 0x3fb8aa3b, v8
	v_fma_f32 v39, v8, s28, -v38
	v_rndne_f32_e32 v44, v38
	v_fmac_f32_e32 v39, 0x32a5705f, v8
	v_sub_f32_e32 v38, v38, v44
	v_add_f32_e32 v38, v38, v39
	v_exp_f32_e32 v38, v38
	v_cvt_i32_f32_e32 v39, v44
	v_min_f32_e32 v17, 0x40e00000, v17
	v_cmp_ngt_f32_e32 vcc, s29, v8
	v_add_f32_e32 v37, 1.0, v37
	v_ldexp_f32 v38, v38, v39
	v_mul_f32_e32 v39, 0xbfd9db23, v17
	v_mul_f32_e32 v44, 0x3fb8aa3b, v39
	v_fma_f32 v45, v39, s28, -v44
	v_rndne_f32_e32 v46, v44
	v_fmac_f32_e32 v45, 0x32a5705f, v39
	v_sub_f32_e32 v44, v44, v46
	v_add_f32_e32 v44, v44, v45
	v_exp_f32_e32 v44, v44
	v_cvt_i32_f32_e32 v45, v46
	v_cndmask_b32_e32 v38, 0, v38, vcc
	v_cmp_nlt_f32_e32 vcc, s30, v8
	v_rcp_f32_e32 v23, v23
	v_rcp_f32_e32 v36, v36
	v_cndmask_b32_e32 v8, v42, v38, vcc
	v_ldexp_f32 v38, v44, v45
	v_cmp_ngt_f32_e32 vcc, s29, v39
	v_rcp_f32_e32 v37, v37
	v_pk_mul_f32 v[20:21], v[20:21], v[30:31]
	v_cndmask_b32_e32 v38, 0, v38, vcc
	v_cmp_nlt_f32_e32 vcc, s30, v39
	v_and_b32_e32 v39, 0xffff0000, v9
	v_pk_mul_f32 v[24:25], v[24:25], v[34:35]
	v_cndmask_b32_e32 v44, v42, v38, vcc
	v_lshlrev_b32_e32 v38, 16, v9
	v_pk_add_f32 v[18:19], v[18:19], v[38:39]
	v_pk_mul_f32 v[22:23], v[28:29], v[22:23]
	v_min_f32_e32 v18, 0x40e00000, v18
	v_mul_f32_e32 v38, 0xbfd9db23, v18
	v_mul_f32_e32 v9, 0x3fb8aa3b, v38
	v_fma_f32 v39, v38, s28, -v9
	v_rndne_f32_e32 v45, v9
	v_fmac_f32_e32 v39, 0x32a5705f, v38
	v_sub_f32_e32 v9, v9, v45
	v_add_f32_e32 v9, v9, v39
	v_exp_f32_e32 v39, v9
	v_cvt_i32_f32_e32 v45, v45
	v_min_f32_e32 v19, 0x40e00000, v19
	v_add_f32_e32 v9, 1.0, v44
	v_mul_f32_e32 v44, 0xbfd9db23, v19
	v_ldexp_f32 v39, v39, v45
	v_mul_f32_e32 v45, 0x3fb8aa3b, v44
	v_fma_f32 v46, v44, s28, -v45
	v_rndne_f32_e32 v47, v45
	v_fmac_f32_e32 v46, 0x32a5705f, v44
	v_sub_f32_e32 v45, v45, v47
	v_add_f32_e32 v45, v45, v46
	v_exp_f32_e32 v45, v45
	v_cvt_i32_f32_e32 v46, v47
	v_cmp_ngt_f32_e32 vcc, s29, v38
	v_pk_mul_f32 v[26:27], v[26:27], v[36:37]
	v_add_f32_e32 v8, 1.0, v8
	v_cndmask_b32_e32 v39, 0, v39, vcc
	v_cmp_nlt_f32_e32 vcc, s30, v38
	v_rcp_f32_e32 v8, v8
	v_rcp_f32_e32 v9, v9
	v_cndmask_b32_e32 v38, v42, v39, vcc
	v_ldexp_f32 v39, v45, v46
	v_cmp_ngt_f32_e32 vcc, s29, v44
	v_and_b32_e32 v45, 0xffff0000, v10
	v_add_f32_e32 v38, 1.0, v38
	v_cndmask_b32_e32 v39, 0, v39, vcc
	v_cmp_nlt_f32_e32 vcc, s30, v44
	v_lshlrev_b32_e32 v44, 16, v10
	s_waitcnt vmcnt(0)
	v_pk_add_f32 v[12:13], v[12:13], v[44:45]
	v_cndmask_b32_e32 v39, v42, v39, vcc
	v_min_f32_e32 v12, 0x40e00000, v12
	v_mul_f32_e32 v10, 0xbfd9db23, v12
	v_mul_f32_e32 v44, 0x3fb8aa3b, v10
	v_fma_f32 v45, v10, s28, -v44
	v_rndne_f32_e32 v46, v44
	v_fmac_f32_e32 v45, 0x32a5705f, v10
	v_sub_f32_e32 v44, v44, v46
	v_add_f32_e32 v44, v44, v45
	v_exp_f32_e32 v44, v44
	v_cvt_i32_f32_e32 v45, v46
	v_min_f32_e32 v13, 0x40e00000, v13
	v_cmp_ngt_f32_e32 vcc, s29, v10
	v_add_f32_e32 v39, 1.0, v39
	v_ldexp_f32 v44, v44, v45
	v_mul_f32_e32 v45, 0xbfd9db23, v13
	v_mul_f32_e32 v46, 0x3fb8aa3b, v45
	v_fma_f32 v47, v45, s28, -v46
	v_rndne_f32_e32 v48, v46
	v_fmac_f32_e32 v47, 0x32a5705f, v45
	v_sub_f32_e32 v46, v46, v48
	v_add_f32_e32 v46, v46, v47
	v_exp_f32_e32 v46, v46
	v_cvt_i32_f32_e32 v47, v48
	v_cndmask_b32_e32 v44, 0, v44, vcc
	v_cmp_nlt_f32_e32 vcc, s30, v10
	v_lshlrev_b32_e32 v48, 16, v6
	v_rcp_f32_e32 v38, v38
	v_cndmask_b32_e32 v10, v42, v44, vcc
	v_ldexp_f32 v44, v46, v47
	v_cmp_ngt_f32_e32 vcc, s29, v45
	v_add_f32_e32 v10, 1.0, v10
	v_rcp_f32_e32 v39, v39
	v_cndmask_b32_e32 v44, 0, v44, vcc
	v_cmp_nlt_f32_e32 vcc, s30, v45
	v_and_b32_e32 v45, 0xffff0000, v11
	v_rcp_f32_e32 v10, v10
	v_cndmask_b32_e32 v46, v42, v44, vcc
	v_lshlrev_b32_e32 v44, 16, v11
	v_pk_add_f32 v[14:15], v[14:15], v[44:45]
	v_pk_mul_f32 v[8:9], v[16:17], v[8:9]
	v_min_f32_e32 v14, 0x40e00000, v14
	v_mul_f32_e32 v44, 0xbfd9db23, v14
	v_mul_f32_e32 v11, 0x3fb8aa3b, v44
	v_fma_f32 v45, v44, s28, -v11
	v_rndne_f32_e32 v47, v11
	v_fmac_f32_e32 v45, 0x32a5705f, v44
	v_sub_f32_e32 v11, v11, v47
	v_add_f32_e32 v11, v11, v45
	v_exp_f32_e32 v45, v11
	v_cvt_i32_f32_e32 v47, v47
	v_min_f32_e32 v15, 0x40e00000, v15
	v_cmp_ngt_f32_e32 vcc, s29, v44
	v_mul_f32_e32 v57, 0xbfd9db23, v15
	v_ldexp_f32 v45, v45, v47
	v_cndmask_b32_e32 v56, 0, v45, vcc
	v_cmp_nlt_f32_e32 vcc, s30, v44
	v_mul_f32_e32 v44, 0x3fb8aa3b, v57
	v_fma_f32 v45, v57, s28, -v44
	v_rndne_f32_e32 v58, v44
	v_fmac_f32_e32 v45, 0x32a5705f, v57
	v_sub_f32_e32 v44, v44, v58
	v_add_f32_e32 v11, 1.0, v46
	v_add_f32_e32 v59, v44, v45
	buffer_load_dwordx4 v[4:7], v40, s[0:3], 0 offen
	buffer_load_dwordx4 v[44:47], v40, s[0:3], 16 offen
	v_exp_f32_e32 v59, v59
	v_cvt_i32_f32_e32 v58, v58
	v_cndmask_b32_e32 v56, v42, v56, vcc
	v_cmp_ngt_f32_e32 vcc, s29, v57
	v_add_f32_e32 v56, 1.0, v56
	v_ldexp_f32 v58, v59, v58
	v_cndmask_b32_e32 v58, 0, v58, vcc
	v_cmp_nlt_f32_e32 vcc, s30, v57
	v_rcp_f32_e32 v11, v11
	v_rcp_f32_e32 v56, v56
	v_cndmask_b32_e32 v57, v42, v58, vcc
	v_add_f32_e32 v57, 1.0, v57
	v_rcp_f32_e32 v57, v57
	v_pk_mul_f32 v[16:17], v[18:19], v[38:39]
	v_pk_mul_f32 v[10:11], v[12:13], v[10:11]
	v_cmp_le_i64_e32 vcc, s[20:21], v[32:33]
	v_pk_mul_f32 v[12:13], v[14:15], v[56:57]
	s_or_b64 s[24:25], vcc, s[24:25]
	s_waitcnt vmcnt(1)
	v_pk_add_f32 v[54:55], v[6:7], v[54:55]
	s_waitcnt vmcnt(0)
	v_pk_add_f32 v[52:53], v[46:47], v[52:53]
	v_pk_add_f32 v[50:51], v[4:5], v[50:51]
	;; [unrolled: 1-line block ×3, first 2 shown]
	buffer_load_dwordx4 v[4:7], v40, s[0:3], 32 offen
	buffer_load_dwordx4 v[44:47], v40, s[0:3], 48 offen
	v_med3_f32 v55, v55, s31, v43
	v_med3_f32 v54, v54, s31, v43
	;; [unrolled: 1-line block ×8, first 2 shown]
	v_pk_add_f32 v[52:53], v[52:53], 1.0 op_sel_hi:[1,0]
	v_pk_add_f32 v[54:55], v[54:55], 1.0 op_sel_hi:[1,0]
	;; [unrolled: 1-line block ×4, first 2 shown]
	v_pk_mul_f32 v[24:25], v[54:55], v[24:25]
	v_pk_mul_f32 v[26:27], v[52:53], v[26:27]
	;; [unrolled: 1-line block ×4, first 2 shown]
	v_perm_b32 v23, v27, v26, s33
	v_perm_b32 v21, v25, v24, s33
	v_perm_b32 v22, v31, v30, s33
	v_perm_b32 v20, v29, v28, s33
	buffer_store_dwordx4 v[20:23], v41, s[4:7], 0 offen
	v_and_b32_e32 v25, 0xffff0000, v3
	v_lshlrev_b32_e32 v24, 16, v3
	v_and_b32_e32 v21, 0xffff0000, v2
	v_lshlrev_b32_e32 v20, 16, v2
	;; [unrolled: 2-line block ×4, first 2 shown]
	v_add_u32_e32 v40, s26, v40
	s_waitcnt vmcnt(2)
	v_pk_add_f32 v[0:1], v[6:7], v[2:3]
	s_waitcnt vmcnt(1)
	v_pk_add_f32 v[2:3], v[46:47], v[24:25]
	v_pk_add_f32 v[4:5], v[4:5], v[22:23]
	;; [unrolled: 1-line block ×3, first 2 shown]
	v_med3_f32 v1, v1, s31, v43
	v_med3_f32 v0, v0, s31, v43
	v_med3_f32 v3, v3, s31, v43
	v_med3_f32 v2, v2, s31, v43
	v_med3_f32 v5, v5, s31, v43
	v_med3_f32 v4, v4, s31, v43
	v_med3_f32 v7, v7, s31, v43
	v_med3_f32 v6, v6, s31, v43
	v_pk_add_f32 v[2:3], v[2:3], 1.0 op_sel_hi:[1,0]
	v_pk_add_f32 v[0:1], v[0:1], 1.0 op_sel_hi:[1,0]
	;; [unrolled: 1-line block ×4, first 2 shown]
	v_pk_mul_f32 v[0:1], v[0:1], v[16:17]
	v_pk_mul_f32 v[2:3], v[2:3], v[12:13]
	;; [unrolled: 1-line block ×4, first 2 shown]
	v_perm_b32 v3, v3, v2, s33
	v_perm_b32 v1, v1, v0, s33
	;; [unrolled: 1-line block ×4, first 2 shown]
	buffer_store_dwordx4 v[0:3], v41, s[4:7], 16 offen
	v_add_u32_e32 v41, s27, v41
	s_andn2_b64 exec, exec, s[24:25]
	s_cbranch_execnz .LBB320_8
.LBB320_9:
	s_endpgm
	.section	.rodata,"a",@progbits
	.p2align	6, 0x0
	.amdhsa_kernel _ZN5aiter30swiglu_act_and_mul_bias_kernelIttifLi16EEEvPT0_PKT_PKT1_PKT2_il
		.amdhsa_group_segment_fixed_size 0
		.amdhsa_private_segment_fixed_size 0
		.amdhsa_kernarg_size 304
		.amdhsa_user_sgpr_count 2
		.amdhsa_user_sgpr_dispatch_ptr 0
		.amdhsa_user_sgpr_queue_ptr 0
		.amdhsa_user_sgpr_kernarg_segment_ptr 1
		.amdhsa_user_sgpr_dispatch_id 0
		.amdhsa_user_sgpr_kernarg_preload_length 0
		.amdhsa_user_sgpr_kernarg_preload_offset 0
		.amdhsa_user_sgpr_private_segment_size 0
		.amdhsa_uses_dynamic_stack 0
		.amdhsa_enable_private_segment 0
		.amdhsa_system_sgpr_workgroup_id_x 1
		.amdhsa_system_sgpr_workgroup_id_y 0
		.amdhsa_system_sgpr_workgroup_id_z 0
		.amdhsa_system_sgpr_workgroup_info 0
		.amdhsa_system_vgpr_workitem_id 0
		.amdhsa_next_free_vgpr 60
		.amdhsa_next_free_sgpr 34
		.amdhsa_accum_offset 60
		.amdhsa_reserve_vcc 1
		.amdhsa_float_round_mode_32 0
		.amdhsa_float_round_mode_16_64 0
		.amdhsa_float_denorm_mode_32 3
		.amdhsa_float_denorm_mode_16_64 3
		.amdhsa_dx10_clamp 1
		.amdhsa_ieee_mode 1
		.amdhsa_fp16_overflow 0
		.amdhsa_tg_split 0
		.amdhsa_exception_fp_ieee_invalid_op 0
		.amdhsa_exception_fp_denorm_src 0
		.amdhsa_exception_fp_ieee_div_zero 0
		.amdhsa_exception_fp_ieee_overflow 0
		.amdhsa_exception_fp_ieee_underflow 0
		.amdhsa_exception_fp_ieee_inexact 0
		.amdhsa_exception_int_div_zero 0
	.end_amdhsa_kernel
	.section	.text._ZN5aiter30swiglu_act_and_mul_bias_kernelIttifLi16EEEvPT0_PKT_PKT1_PKT2_il,"axG",@progbits,_ZN5aiter30swiglu_act_and_mul_bias_kernelIttifLi16EEEvPT0_PKT_PKT1_PKT2_il,comdat
.Lfunc_end320:
	.size	_ZN5aiter30swiglu_act_and_mul_bias_kernelIttifLi16EEEvPT0_PKT_PKT1_PKT2_il, .Lfunc_end320-_ZN5aiter30swiglu_act_and_mul_bias_kernelIttifLi16EEEvPT0_PKT_PKT1_PKT2_il
                                        ; -- End function
	.section	.AMDGPU.csdata,"",@progbits
; Kernel info:
; codeLenInByte = 2960
; NumSgprs: 40
; NumVgprs: 60
; NumAgprs: 0
; TotalNumVgprs: 60
; ScratchSize: 0
; MemoryBound: 0
; FloatMode: 240
; IeeeMode: 1
; LDSByteSize: 0 bytes/workgroup (compile time only)
; SGPRBlocks: 4
; VGPRBlocks: 7
; NumSGPRsForWavesPerEU: 40
; NumVGPRsForWavesPerEU: 60
; AccumOffset: 60
; Occupancy: 8
; WaveLimiterHint : 0
; COMPUTE_PGM_RSRC2:SCRATCH_EN: 0
; COMPUTE_PGM_RSRC2:USER_SGPR: 2
; COMPUTE_PGM_RSRC2:TRAP_HANDLER: 0
; COMPUTE_PGM_RSRC2:TGID_X_EN: 1
; COMPUTE_PGM_RSRC2:TGID_Y_EN: 0
; COMPUTE_PGM_RSRC2:TGID_Z_EN: 0
; COMPUTE_PGM_RSRC2:TIDIG_COMP_CNT: 0
; COMPUTE_PGM_RSRC3_GFX90A:ACCUM_OFFSET: 14
; COMPUTE_PGM_RSRC3_GFX90A:TG_SPLIT: 0
	.section	.text._ZN5aiter30swiglu_act_and_mul_bias_kernelIttifLi8EEEvPT0_PKT_PKT1_PKT2_il,"axG",@progbits,_ZN5aiter30swiglu_act_and_mul_bias_kernelIttifLi8EEEvPT0_PKT_PKT1_PKT2_il,comdat
	.protected	_ZN5aiter30swiglu_act_and_mul_bias_kernelIttifLi8EEEvPT0_PKT_PKT1_PKT2_il ; -- Begin function _ZN5aiter30swiglu_act_and_mul_bias_kernelIttifLi8EEEvPT0_PKT_PKT1_PKT2_il
	.globl	_ZN5aiter30swiglu_act_and_mul_bias_kernelIttifLi8EEEvPT0_PKT_PKT1_PKT2_il
	.p2align	8
	.type	_ZN5aiter30swiglu_act_and_mul_bias_kernelIttifLi8EEEvPT0_PKT_PKT1_PKT2_il,@function
_ZN5aiter30swiglu_act_and_mul_bias_kernelIttifLi8EEEvPT0_PKT_PKT1_PKT2_il: ; @_ZN5aiter30swiglu_act_and_mul_bias_kernelIttifLi8EEEvPT0_PKT_PKT1_PKT2_il
; %bb.0:
	s_load_dword s20, s[0:1], 0x20
	s_load_dwordx2 s[4:5], s[0:1], 0x10
	s_load_dwordx2 s[12:13], s[0:1], 0x28
	s_mov_b32 s3, 0
	s_lshl_b64 s[6:7], s[2:3], 2
	s_waitcnt lgkmcnt(0)
	s_ashr_i32 s21, s20, 31
	s_add_u32 s4, s4, s6
	s_addc_u32 s5, s5, s7
	s_add_i32 s3, s20, 1
	s_load_dword s8, s[4:5], 0x0
	s_load_dwordx2 s[14:15], s[0:1], 0x0
	s_lshr_b32 s4, s3, 31
	s_add_i32 s3, s3, s4
	s_lshl_b32 s3, s3, 1
	s_and_b32 s6, s3, -4
	s_mul_hi_u32 s3, s20, s2
	s_mul_i32 s4, s21, s2
	s_add_i32 s5, s3, s4
	s_mul_i32 s4, s20, s2
	s_waitcnt lgkmcnt(0)
	s_ashr_i32 s9, s8, 31
	s_lshl_b64 s[4:5], s[4:5], 1
	v_mov_b64_e32 v[2:3], s[12:13]
	v_cmp_gt_i64_e64 s[16:17], s[8:9], -1
	s_add_u32 s4, s14, s4
	v_cmp_lt_i64_e32 vcc, s[8:9], v[2:3]
	s_addc_u32 s3, s15, s5
	s_and_b64 s[12:13], s[16:17], vcc
	s_mov_b64 s[10:11], -1
	s_and_b32 s5, s3, 0xffff
	s_and_b64 vcc, exec, s[12:13]
	v_lshlrev_b32_e32 v20, 3, v0
	s_cbranch_vccnz .LBB321_5
; %bb.1:
	v_cmp_gt_i32_e32 vcc, s20, v20
	s_and_saveexec_b64 s[10:11], vcc
	s_cbranch_execz .LBB321_4
; %bb.2:
	s_load_dword s3, s[0:1], 0x3c
	v_mov_b32_e32 v21, 0
	s_mov_b32 s13, 0
	v_lshlrev_b32_e32 v1, 4, v0
	s_mov_b64 s[14:15], 0
	s_waitcnt lgkmcnt(0)
	s_and_b32 s3, s3, 0xffff
	s_lshl_b32 s12, s3, 3
	s_lshl_b32 s3, s3, 4
	s_mov_b32 s7, 0x20000
	v_mov_b32_e32 v2, v21
	v_mov_b32_e32 v3, v21
	;; [unrolled: 1-line block ×4, first 2 shown]
	v_mov_b64_e32 v[6:7], v[20:21]
.LBB321_3:                              ; =>This Inner Loop Header: Depth=1
	v_lshl_add_u64 v[6:7], s[12:13], 0, v[6:7]
	v_cmp_le_i64_e32 vcc, s[20:21], v[6:7]
	buffer_store_dwordx4 v[2:5], v1, s[4:7], 0 offen
	s_or_b64 s[14:15], vcc, s[14:15]
	v_add_u32_e32 v1, s3, v1
	s_andn2_b64 exec, exec, s[14:15]
	s_cbranch_execnz .LBB321_3
.LBB321_4:
	s_or_b64 exec, exec, s[10:11]
	s_mov_b64 s[10:11], 0
.LBB321_5:
	s_andn2_b64 vcc, exec, s[10:11]
	s_cbranch_vccnz .LBB321_9
; %bb.6:
	v_cmp_gt_i32_e32 vcc, s20, v20
	s_and_saveexec_b64 s[10:11], vcc
	s_cbranch_execz .LBB321_9
; %bb.7:
	s_load_dwordx2 s[12:13], s[0:1], 0x8
	s_load_dwordx2 s[10:11], s[0:1], 0x18
	s_mul_hi_i32 s9, s20, s8
	s_mul_i32 s8, s20, s8
	s_lshl_b64 s[8:9], s[8:9], 3
	s_load_dword s14, s[0:1], 0x3c
	s_waitcnt lgkmcnt(0)
	s_add_u32 s8, s10, s8
	s_addc_u32 s3, s11, s9
	s_lshl_b64 s[0:1], s[20:21], 2
	s_add_u32 s0, s8, s0
	s_addc_u32 s1, s3, s1
	s_and_b32 s9, s3, 0xffff
	s_mul_i32 s3, s2, s21
	s_mul_hi_u32 s15, s2, s20
	s_add_i32 s3, s15, s3
	s_mul_i32 s2, s2, s20
	s_lshl_b32 s10, s20, 2
	s_and_b32 s1, s1, 0xffff
	s_lshl_b64 s[2:3], s[2:3], 2
	s_add_u32 s12, s12, s2
	s_addc_u32 s13, s13, s3
	s_lshl_b64 s[2:3], s[20:21], 1
	s_add_u32 s16, s12, s2
	s_addc_u32 s2, s13, s3
	s_mov_b32 s7, 0x20000
	s_and_b32 s17, s2, 0xffff
	s_and_b32 s2, s14, 0xffff
	s_mov_b32 s11, s7
	s_and_b32 s13, s13, 0xffff
	s_mov_b32 s23, 0
	v_mov_b32_e32 v21, 0
	s_lshl_b32 s22, s2, 3
	v_lshlrev_b32_e32 v28, 5, v0
	s_lshl_b32 s26, s2, 5
	v_lshlrev_b32_e32 v29, 4, v0
	s_lshl_b32 s27, s2, 4
	s_mov_b64 s[24:25], 0
	s_mov_b32 s19, s7
	s_mov_b32 s18, s6
	;; [unrolled: 1-line block ×5, first 2 shown]
	v_mov_b32_e32 v30, 0x7f800000
	s_mov_b32 s31, 0xc0e00000
	v_mov_b32_e32 v31, 0x40e00000
	s_mov_b32 s33, 0x7060302
	s_mov_b32 s14, s6
	;; [unrolled: 1-line block ×3, first 2 shown]
.LBB321_8:                              ; =>This Inner Loop Header: Depth=1
	buffer_load_dwordx4 v[12:15], v29, s[12:15], 0 offen
	buffer_load_dwordx4 v[22:25], v28, s[8:11], 0 offen
	;; [unrolled: 1-line block ×4, first 2 shown]
	s_mov_b32 s2, s10
	s_mov_b32 s3, s11
	buffer_load_dwordx4 v[0:3], v28, s[0:3], 0 offen
	buffer_load_dwordx4 v[4:7], v28, s[0:3], 16 offen
	v_lshl_add_u64 v[20:21], s[22:23], 0, v[20:21]
	v_add_u32_e32 v28, s26, v28
	s_waitcnt vmcnt(5)
	v_and_b32_e32 v27, 0xffff0000, v12
	v_lshlrev_b32_e32 v26, 16, v12
	v_and_b32_e32 v33, 0xffff0000, v13
	v_lshlrev_b32_e32 v32, 16, v13
	;; [unrolled: 2-line block ×3, first 2 shown]
	s_waitcnt vmcnt(4)
	v_pk_add_f32 v[22:23], v[22:23], v[26:27]
	s_waitcnt vmcnt(3)
	v_pk_add_f32 v[26:27], v[16:17], v[12:13]
	v_min_f32_e32 v12, 0x40e00000, v22
	v_pk_add_f32 v[24:25], v[24:25], v[32:33]
	v_min_f32_e32 v13, 0x40e00000, v23
	v_mul_f32_e32 v14, 0xbfd9db23, v12
	v_min_f32_e32 v16, 0x40e00000, v24
	v_min_f32_e32 v23, 0x40e00000, v27
	v_mul_f32_e32 v24, 0xbfd9db23, v13
	v_mul_f32_e32 v27, 0x3fb8aa3b, v14
	v_min_f32_e32 v17, 0x40e00000, v25
	v_mul_f32_e32 v25, 0xbfd9db23, v16
	v_mul_f32_e32 v33, 0x3fb8aa3b, v24
	v_fma_f32 v37, v14, s28, -v27
	v_rndne_f32_e32 v38, v27
	v_min_f32_e32 v22, 0x40e00000, v26
	v_mul_f32_e32 v26, 0xbfd9db23, v17
	v_mul_f32_e32 v34, 0x3fb8aa3b, v25
	v_fma_f32 v39, v24, s28, -v33
	v_rndne_f32_e32 v40, v33
	v_fmac_f32_e32 v37, 0x32a5705f, v14
	v_sub_f32_e32 v27, v27, v38
	v_mul_f32_e32 v35, 0x3fb8aa3b, v26
	v_fma_f32 v41, v25, s28, -v34
	v_rndne_f32_e32 v42, v34
	v_fmac_f32_e32 v39, 0x32a5705f, v24
	v_sub_f32_e32 v33, v33, v40
	v_add_f32_e32 v27, v27, v37
	v_fma_f32 v43, v26, s28, -v35
	v_rndne_f32_e32 v44, v35
	v_cvt_i32_f32_e32 v38, v38
	v_fmac_f32_e32 v41, 0x32a5705f, v25
	v_sub_f32_e32 v34, v34, v42
	v_add_f32_e32 v33, v33, v39
	v_exp_f32_e32 v27, v27
	v_cvt_i32_f32_e32 v40, v40
	v_fmac_f32_e32 v43, 0x32a5705f, v26
	v_sub_f32_e32 v35, v35, v44
	v_add_f32_e32 v34, v34, v41
	v_exp_f32_e32 v33, v33
	v_cvt_i32_f32_e32 v42, v42
	v_add_f32_e32 v35, v35, v43
	v_exp_f32_e32 v34, v34
	v_cvt_i32_f32_e32 v44, v44
	v_exp_f32_e32 v35, v35
	v_ldexp_f32 v27, v27, v38
	v_cmp_ngt_f32_e32 vcc, s29, v14
	v_mul_f32_e32 v32, 0xbfd9db23, v22
	v_ldexp_f32 v33, v33, v40
	v_cndmask_b32_e32 v27, 0, v27, vcc
	v_cmp_ngt_f32_e32 vcc, s29, v24
	v_mul_f32_e32 v36, 0x3fb8aa3b, v32
	v_ldexp_f32 v34, v34, v42
	v_cndmask_b32_e32 v33, 0, v33, vcc
	v_cmp_ngt_f32_e32 vcc, s29, v25
	v_fma_f32 v45, v32, s28, -v36
	v_rndne_f32_e32 v46, v36
	v_ldexp_f32 v35, v35, v44
	v_cndmask_b32_e32 v34, 0, v34, vcc
	v_cmp_ngt_f32_e32 vcc, s29, v26
	v_fmac_f32_e32 v45, 0x32a5705f, v32
	v_sub_f32_e32 v36, v36, v46
	v_cndmask_b32_e32 v35, 0, v35, vcc
	v_cmp_nlt_f32_e32 vcc, s30, v14
	v_add_f32_e32 v36, v36, v45
	v_cvt_i32_f32_e32 v46, v46
	v_cndmask_b32_e32 v14, v30, v27, vcc
	v_cmp_nlt_f32_e32 vcc, s30, v24
	v_exp_f32_e32 v36, v36
	v_add_f32_e32 v14, 1.0, v14
	v_cndmask_b32_e32 v24, v30, v33, vcc
	v_cmp_nlt_f32_e32 vcc, s30, v25
	v_add_f32_e32 v27, 1.0, v24
	v_ldexp_f32 v36, v36, v46
	v_cndmask_b32_e32 v25, v30, v34, vcc
	v_cmp_nlt_f32_e32 vcc, s30, v26
	v_add_f32_e32 v33, 1.0, v25
	v_rcp_f32_e32 v25, v27
	v_cndmask_b32_e32 v26, v30, v35, vcc
	v_add_f32_e32 v34, 1.0, v26
	v_rcp_f32_e32 v26, v33
	v_mul_f32_e32 v33, 0xbfd9db23, v23
	v_rcp_f32_e32 v27, v34
	v_cmp_ngt_f32_e32 vcc, s29, v32
	v_mul_f32_e32 v34, 0x3fb8aa3b, v33
	v_rcp_f32_e32 v24, v14
	v_cndmask_b32_e32 v14, 0, v36, vcc
	v_fma_f32 v35, v33, s28, -v34
	v_rndne_f32_e32 v36, v34
	v_fmac_f32_e32 v35, 0x32a5705f, v33
	v_sub_f32_e32 v34, v34, v36
	v_add_f32_e32 v34, v34, v35
	v_exp_f32_e32 v34, v34
	v_cvt_i32_f32_e32 v35, v36
	v_cmp_nlt_f32_e32 vcc, s30, v32
	s_waitcnt vmcnt(2)
	v_and_b32_e32 v39, 0xffff0000, v11
	v_lshlrev_b32_e32 v38, 16, v11
	v_cndmask_b32_e32 v14, v30, v14, vcc
	v_ldexp_f32 v32, v34, v35
	v_cmp_ngt_f32_e32 vcc, s29, v33
	v_add_f32_e32 v14, 1.0, v14
	v_rcp_f32_e32 v14, v14
	v_cndmask_b32_e32 v32, 0, v32, vcc
	v_cmp_nlt_f32_e32 vcc, s30, v33
	v_and_b32_e32 v33, 0xffff0000, v15
	v_and_b32_e32 v11, 0xffff0000, v9
	v_cndmask_b32_e32 v34, v30, v32, vcc
	v_lshlrev_b32_e32 v32, 16, v15
	v_pk_add_f32 v[18:19], v[18:19], v[32:33]
	s_waitcnt vmcnt(0)
	v_pk_add_f32 v[6:7], v[6:7], v[38:39]
	v_min_f32_e32 v18, 0x40e00000, v18
	v_mul_f32_e32 v32, 0xbfd9db23, v18
	v_mul_f32_e32 v15, 0x3fb8aa3b, v32
	v_fma_f32 v33, v32, s28, -v15
	v_rndne_f32_e32 v35, v15
	v_fmac_f32_e32 v33, 0x32a5705f, v32
	v_sub_f32_e32 v15, v15, v35
	v_add_f32_e32 v15, v15, v33
	v_exp_f32_e32 v33, v15
	v_cvt_i32_f32_e32 v35, v35
	v_min_f32_e32 v19, 0x40e00000, v19
	v_add_f32_e32 v15, 1.0, v34
	v_mul_f32_e32 v34, 0xbfd9db23, v19
	v_ldexp_f32 v33, v33, v35
	v_mul_f32_e32 v35, 0x3fb8aa3b, v34
	v_fma_f32 v36, v34, s28, -v35
	v_rndne_f32_e32 v37, v35
	v_fmac_f32_e32 v36, 0x32a5705f, v34
	v_sub_f32_e32 v35, v35, v37
	v_add_f32_e32 v35, v35, v36
	v_exp_f32_e32 v35, v35
	v_cvt_i32_f32_e32 v36, v37
	v_cmp_ngt_f32_e32 vcc, s29, v32
	v_rcp_f32_e32 v15, v15
	v_and_b32_e32 v37, 0xffff0000, v8
	v_cndmask_b32_e32 v33, 0, v33, vcc
	v_cmp_nlt_f32_e32 vcc, s30, v32
	v_med3_f32 v7, v7, s31, v31
	v_med3_f32 v6, v6, s31, v31
	v_cndmask_b32_e32 v32, v30, v33, vcc
	v_ldexp_f32 v33, v35, v36
	v_cmp_ngt_f32_e32 vcc, s29, v34
	v_add_f32_e32 v32, 1.0, v32
	v_rcp_f32_e32 v32, v32
	v_cndmask_b32_e32 v33, 0, v33, vcc
	v_cmp_nlt_f32_e32 vcc, s30, v34
	v_and_b32_e32 v35, 0xffff0000, v10
	v_lshlrev_b32_e32 v34, 16, v10
	v_cndmask_b32_e32 v33, v30, v33, vcc
	v_add_f32_e32 v33, 1.0, v33
	v_rcp_f32_e32 v33, v33
	v_lshlrev_b32_e32 v36, 16, v8
	v_lshlrev_b32_e32 v10, 16, v9
	v_pk_add_f32 v[2:3], v[2:3], v[10:11]
	v_pk_add_f32 v[0:1], v[0:1], v[36:37]
	;; [unrolled: 1-line block ×3, first 2 shown]
	v_med3_f32 v3, v3, s31, v31
	v_med3_f32 v2, v2, s31, v31
	;; [unrolled: 1-line block ×6, first 2 shown]
	v_pk_add_f32 v[6:7], v[6:7], 1.0 op_sel_hi:[1,0]
	v_pk_add_f32 v[2:3], v[2:3], 1.0 op_sel_hi:[1,0]
	v_pk_add_f32 v[4:5], v[4:5], 1.0 op_sel_hi:[1,0]
	v_pk_add_f32 v[0:1], v[0:1], 1.0 op_sel_hi:[1,0]
	v_pk_mul_f32 v[8:9], v[12:13], v[24:25]
	v_pk_mul_f32 v[10:11], v[16:17], v[26:27]
	v_pk_mul_f32 v[12:13], v[22:23], v[14:15]
	v_pk_mul_f32 v[14:15], v[18:19], v[32:33]
	v_pk_mul_f32 v[10:11], v[2:3], v[10:11]
	v_pk_mul_f32 v[2:3], v[6:7], v[14:15]
	v_pk_mul_f32 v[6:7], v[0:1], v[8:9]
	v_pk_mul_f32 v[4:5], v[4:5], v[12:13]
	v_perm_b32 v3, v3, v2, s33
	v_perm_b32 v1, v11, v10, s33
	;; [unrolled: 1-line block ×4, first 2 shown]
	v_cmp_le_i64_e32 vcc, s[20:21], v[20:21]
	buffer_store_dwordx4 v[0:3], v29, s[4:7], 0 offen
	s_or_b64 s[24:25], vcc, s[24:25]
	v_add_u32_e32 v29, s27, v29
	s_andn2_b64 exec, exec, s[24:25]
	s_cbranch_execnz .LBB321_8
.LBB321_9:
	s_endpgm
	.section	.rodata,"a",@progbits
	.p2align	6, 0x0
	.amdhsa_kernel _ZN5aiter30swiglu_act_and_mul_bias_kernelIttifLi8EEEvPT0_PKT_PKT1_PKT2_il
		.amdhsa_group_segment_fixed_size 0
		.amdhsa_private_segment_fixed_size 0
		.amdhsa_kernarg_size 304
		.amdhsa_user_sgpr_count 2
		.amdhsa_user_sgpr_dispatch_ptr 0
		.amdhsa_user_sgpr_queue_ptr 0
		.amdhsa_user_sgpr_kernarg_segment_ptr 1
		.amdhsa_user_sgpr_dispatch_id 0
		.amdhsa_user_sgpr_kernarg_preload_length 0
		.amdhsa_user_sgpr_kernarg_preload_offset 0
		.amdhsa_user_sgpr_private_segment_size 0
		.amdhsa_uses_dynamic_stack 0
		.amdhsa_enable_private_segment 0
		.amdhsa_system_sgpr_workgroup_id_x 1
		.amdhsa_system_sgpr_workgroup_id_y 0
		.amdhsa_system_sgpr_workgroup_id_z 0
		.amdhsa_system_sgpr_workgroup_info 0
		.amdhsa_system_vgpr_workitem_id 0
		.amdhsa_next_free_vgpr 47
		.amdhsa_next_free_sgpr 34
		.amdhsa_accum_offset 48
		.amdhsa_reserve_vcc 1
		.amdhsa_float_round_mode_32 0
		.amdhsa_float_round_mode_16_64 0
		.amdhsa_float_denorm_mode_32 3
		.amdhsa_float_denorm_mode_16_64 3
		.amdhsa_dx10_clamp 1
		.amdhsa_ieee_mode 1
		.amdhsa_fp16_overflow 0
		.amdhsa_tg_split 0
		.amdhsa_exception_fp_ieee_invalid_op 0
		.amdhsa_exception_fp_denorm_src 0
		.amdhsa_exception_fp_ieee_div_zero 0
		.amdhsa_exception_fp_ieee_overflow 0
		.amdhsa_exception_fp_ieee_underflow 0
		.amdhsa_exception_fp_ieee_inexact 0
		.amdhsa_exception_int_div_zero 0
	.end_amdhsa_kernel
	.section	.text._ZN5aiter30swiglu_act_and_mul_bias_kernelIttifLi8EEEvPT0_PKT_PKT1_PKT2_il,"axG",@progbits,_ZN5aiter30swiglu_act_and_mul_bias_kernelIttifLi8EEEvPT0_PKT_PKT1_PKT2_il,comdat
.Lfunc_end321:
	.size	_ZN5aiter30swiglu_act_and_mul_bias_kernelIttifLi8EEEvPT0_PKT_PKT1_PKT2_il, .Lfunc_end321-_ZN5aiter30swiglu_act_and_mul_bias_kernelIttifLi8EEEvPT0_PKT_PKT1_PKT2_il
                                        ; -- End function
	.section	.AMDGPU.csdata,"",@progbits
; Kernel info:
; codeLenInByte = 1780
; NumSgprs: 40
; NumVgprs: 47
; NumAgprs: 0
; TotalNumVgprs: 47
; ScratchSize: 0
; MemoryBound: 0
; FloatMode: 240
; IeeeMode: 1
; LDSByteSize: 0 bytes/workgroup (compile time only)
; SGPRBlocks: 4
; VGPRBlocks: 5
; NumSGPRsForWavesPerEU: 40
; NumVGPRsForWavesPerEU: 47
; AccumOffset: 48
; Occupancy: 8
; WaveLimiterHint : 0
; COMPUTE_PGM_RSRC2:SCRATCH_EN: 0
; COMPUTE_PGM_RSRC2:USER_SGPR: 2
; COMPUTE_PGM_RSRC2:TRAP_HANDLER: 0
; COMPUTE_PGM_RSRC2:TGID_X_EN: 1
; COMPUTE_PGM_RSRC2:TGID_Y_EN: 0
; COMPUTE_PGM_RSRC2:TGID_Z_EN: 0
; COMPUTE_PGM_RSRC2:TIDIG_COMP_CNT: 0
; COMPUTE_PGM_RSRC3_GFX90A:ACCUM_OFFSET: 11
; COMPUTE_PGM_RSRC3_GFX90A:TG_SPLIT: 0
	.section	.text._ZN5aiter30swiglu_act_and_mul_bias_kernelIttifLi4EEEvPT0_PKT_PKT1_PKT2_il,"axG",@progbits,_ZN5aiter30swiglu_act_and_mul_bias_kernelIttifLi4EEEvPT0_PKT_PKT1_PKT2_il,comdat
	.protected	_ZN5aiter30swiglu_act_and_mul_bias_kernelIttifLi4EEEvPT0_PKT_PKT1_PKT2_il ; -- Begin function _ZN5aiter30swiglu_act_and_mul_bias_kernelIttifLi4EEEvPT0_PKT_PKT1_PKT2_il
	.globl	_ZN5aiter30swiglu_act_and_mul_bias_kernelIttifLi4EEEvPT0_PKT_PKT1_PKT2_il
	.p2align	8
	.type	_ZN5aiter30swiglu_act_and_mul_bias_kernelIttifLi4EEEvPT0_PKT_PKT1_PKT2_il,@function
_ZN5aiter30swiglu_act_and_mul_bias_kernelIttifLi4EEEvPT0_PKT_PKT1_PKT2_il: ; @_ZN5aiter30swiglu_act_and_mul_bias_kernelIttifLi4EEEvPT0_PKT_PKT1_PKT2_il
; %bb.0:
	s_load_dword s20, s[0:1], 0x20
	s_load_dwordx2 s[4:5], s[0:1], 0x10
	s_load_dwordx2 s[12:13], s[0:1], 0x28
	s_mov_b32 s3, 0
	s_lshl_b64 s[6:7], s[2:3], 2
	s_waitcnt lgkmcnt(0)
	s_ashr_i32 s21, s20, 31
	s_add_u32 s4, s4, s6
	s_addc_u32 s5, s5, s7
	s_add_i32 s3, s20, 1
	s_load_dword s8, s[4:5], 0x0
	s_load_dwordx2 s[14:15], s[0:1], 0x0
	s_lshr_b32 s4, s3, 31
	s_add_i32 s3, s3, s4
	s_lshl_b32 s3, s3, 1
	s_and_b32 s6, s3, -4
	s_mul_hi_u32 s3, s20, s2
	s_mul_i32 s4, s21, s2
	s_add_i32 s5, s3, s4
	s_mul_i32 s4, s20, s2
	s_waitcnt lgkmcnt(0)
	s_ashr_i32 s9, s8, 31
	s_lshl_b64 s[4:5], s[4:5], 1
	v_mov_b64_e32 v[2:3], s[12:13]
	v_cmp_gt_i64_e64 s[16:17], s[8:9], -1
	s_add_u32 s4, s14, s4
	v_cmp_lt_i64_e32 vcc, s[8:9], v[2:3]
	s_addc_u32 s3, s15, s5
	s_and_b64 s[12:13], s[16:17], vcc
	s_mov_b64 s[10:11], -1
	s_and_b32 s5, s3, 0xffff
	s_and_b64 vcc, exec, s[12:13]
	v_lshlrev_b32_e32 v8, 2, v0
	s_cbranch_vccnz .LBB322_5
; %bb.1:
	v_cmp_gt_i32_e32 vcc, s20, v8
	s_and_saveexec_b64 s[10:11], vcc
	s_cbranch_execz .LBB322_4
; %bb.2:
	s_load_dword s3, s[0:1], 0x3c
	v_mov_b32_e32 v9, 0
	s_mov_b32 s13, 0
	v_lshlrev_b32_e32 v1, 3, v0
	s_mov_b64 s[14:15], 0
	s_waitcnt lgkmcnt(0)
	s_and_b32 s3, s3, 0xffff
	s_lshl_b32 s12, s3, 2
	s_lshl_b32 s3, s3, 3
	s_mov_b32 s7, 0x20000
	v_mov_b32_e32 v2, v9
	v_mov_b32_e32 v3, v9
	v_mov_b64_e32 v[4:5], v[8:9]
.LBB322_3:                              ; =>This Inner Loop Header: Depth=1
	v_lshl_add_u64 v[4:5], s[12:13], 0, v[4:5]
	v_cmp_le_i64_e32 vcc, s[20:21], v[4:5]
	buffer_store_dwordx2 v[2:3], v1, s[4:7], 0 offen
	s_or_b64 s[14:15], vcc, s[14:15]
	v_add_u32_e32 v1, s3, v1
	s_andn2_b64 exec, exec, s[14:15]
	s_cbranch_execnz .LBB322_3
.LBB322_4:
	s_or_b64 exec, exec, s[10:11]
	s_mov_b64 s[10:11], 0
.LBB322_5:
	s_andn2_b64 vcc, exec, s[10:11]
	s_cbranch_vccnz .LBB322_9
; %bb.6:
	v_cmp_gt_i32_e32 vcc, s20, v8
	s_and_saveexec_b64 s[10:11], vcc
	s_cbranch_execz .LBB322_9
; %bb.7:
	s_load_dwordx2 s[12:13], s[0:1], 0x8
	s_load_dwordx2 s[10:11], s[0:1], 0x18
	s_mul_hi_i32 s9, s20, s8
	s_mul_i32 s8, s20, s8
	s_lshl_b64 s[8:9], s[8:9], 3
	s_load_dword s14, s[0:1], 0x3c
	s_waitcnt lgkmcnt(0)
	s_add_u32 s8, s10, s8
	s_addc_u32 s3, s11, s9
	s_lshl_b64 s[0:1], s[20:21], 2
	s_add_u32 s0, s8, s0
	s_addc_u32 s1, s3, s1
	s_and_b32 s9, s3, 0xffff
	s_mul_i32 s3, s2, s21
	s_mul_hi_u32 s15, s2, s20
	s_add_i32 s3, s15, s3
	s_mul_i32 s2, s2, s20
	s_lshl_b32 s10, s20, 2
	s_and_b32 s1, s1, 0xffff
	s_lshl_b64 s[2:3], s[2:3], 2
	s_add_u32 s12, s12, s2
	s_addc_u32 s13, s13, s3
	s_lshl_b64 s[2:3], s[20:21], 1
	s_add_u32 s16, s12, s2
	s_addc_u32 s2, s13, s3
	s_mov_b32 s7, 0x20000
	s_and_b32 s17, s2, 0xffff
	s_and_b32 s2, s14, 0xffff
	s_mov_b32 s11, s7
	s_and_b32 s13, s13, 0xffff
	s_mov_b32 s23, 0
	v_mov_b32_e32 v9, 0
	s_lshl_b32 s22, s2, 2
	v_lshlrev_b32_e32 v14, 4, v0
	s_lshl_b32 s26, s2, 4
	v_lshlrev_b32_e32 v15, 3, v0
	s_lshl_b32 s27, s2, 3
	s_mov_b64 s[24:25], 0
	s_mov_b32 s19, s7
	s_mov_b32 s18, s6
	;; [unrolled: 1-line block ×5, first 2 shown]
	v_mov_b32_e32 v16, 0x7f800000
	s_mov_b32 s31, 0xc0e00000
	v_mov_b32_e32 v17, 0x40e00000
	s_mov_b32 s33, 0x7060302
	s_mov_b32 s14, s6
	;; [unrolled: 1-line block ×3, first 2 shown]
.LBB322_8:                              ; =>This Inner Loop Header: Depth=1
	buffer_load_dwordx2 v[10:11], v15, s[12:15], 0 offen
	buffer_load_dwordx2 v[12:13], v15, s[16:19], 0 offen
	buffer_load_dwordx4 v[0:3], v14, s[8:11], 0 offen
	s_mov_b32 s2, s10
	s_mov_b32 s3, s11
	buffer_load_dwordx4 v[4:7], v14, s[0:3], 0 offen
	v_lshl_add_u64 v[8:9], s[22:23], 0, v[8:9]
	v_cmp_le_i64_e32 vcc, s[20:21], v[8:9]
	s_or_b64 s[24:25], vcc, s[24:25]
	v_add_u32_e32 v14, s26, v14
	s_waitcnt vmcnt(3)
	v_and_b32_e32 v19, 0xffff0000, v10
	v_lshlrev_b32_e32 v18, 16, v10
	s_waitcnt vmcnt(1)
	v_pk_add_f32 v[0:1], v[0:1], v[18:19]
	v_and_b32_e32 v21, 0xffff0000, v11
	v_lshlrev_b32_e32 v20, 16, v11
	v_and_b32_e32 v11, 0xffff0000, v12
	v_lshlrev_b32_e32 v10, 16, v12
	v_min_f32_e32 v0, 0x40e00000, v0
	v_pk_add_f32 v[2:3], v[2:3], v[20:21]
	s_waitcnt vmcnt(0)
	v_pk_add_f32 v[4:5], v[4:5], v[10:11]
	v_min_f32_e32 v1, 0x40e00000, v1
	v_mul_f32_e32 v10, 0xbfd9db23, v0
	v_and_b32_e32 v23, 0xffff0000, v13
	v_lshlrev_b32_e32 v22, 16, v13
	v_min_f32_e32 v2, 0x40e00000, v2
	v_mul_f32_e32 v11, 0xbfd9db23, v1
	v_mul_f32_e32 v18, 0x3fb8aa3b, v10
	v_pk_add_f32 v[6:7], v[6:7], v[22:23]
	v_min_f32_e32 v3, 0x40e00000, v3
	v_mul_f32_e32 v12, 0xbfd9db23, v2
	v_mul_f32_e32 v19, 0x3fb8aa3b, v11
	v_fma_f32 v22, v10, s28, -v18
	v_rndne_f32_e32 v23, v18
	v_mul_f32_e32 v13, 0xbfd9db23, v3
	v_mul_f32_e32 v20, 0x3fb8aa3b, v12
	v_fma_f32 v24, v11, s28, -v19
	v_rndne_f32_e32 v25, v19
	v_fmac_f32_e32 v22, 0x32a5705f, v10
	v_sub_f32_e32 v18, v18, v23
	v_mul_f32_e32 v21, 0x3fb8aa3b, v13
	v_fma_f32 v26, v12, s28, -v20
	v_rndne_f32_e32 v27, v20
	v_fmac_f32_e32 v24, 0x32a5705f, v11
	v_sub_f32_e32 v19, v19, v25
	v_add_f32_e32 v18, v18, v22
	v_fma_f32 v28, v13, s28, -v21
	v_rndne_f32_e32 v29, v21
	v_cvt_i32_f32_e32 v23, v23
	v_fmac_f32_e32 v26, 0x32a5705f, v12
	v_sub_f32_e32 v20, v20, v27
	v_add_f32_e32 v19, v19, v24
	v_exp_f32_e32 v18, v18
	v_cvt_i32_f32_e32 v25, v25
	v_fmac_f32_e32 v28, 0x32a5705f, v13
	v_sub_f32_e32 v21, v21, v29
	v_add_f32_e32 v20, v20, v26
	v_exp_f32_e32 v19, v19
	v_cvt_i32_f32_e32 v27, v27
	v_add_f32_e32 v21, v21, v28
	v_exp_f32_e32 v20, v20
	v_cvt_i32_f32_e32 v29, v29
	v_exp_f32_e32 v21, v21
	v_ldexp_f32 v18, v18, v23
	v_cmp_ngt_f32_e32 vcc, s29, v10
	v_ldexp_f32 v19, v19, v25
	v_ldexp_f32 v20, v20, v27
	v_cndmask_b32_e32 v18, 0, v18, vcc
	v_cmp_ngt_f32_e32 vcc, s29, v11
	v_ldexp_f32 v21, v21, v29
	v_med3_f32 v7, v7, s31, v17
	v_cndmask_b32_e32 v19, 0, v19, vcc
	v_cmp_ngt_f32_e32 vcc, s29, v12
	v_med3_f32 v6, v6, s31, v17
	v_med3_f32 v5, v5, s31, v17
	v_cndmask_b32_e32 v20, 0, v20, vcc
	v_cmp_ngt_f32_e32 vcc, s29, v13
	v_med3_f32 v4, v4, s31, v17
	v_pk_add_f32 v[6:7], v[6:7], 1.0 op_sel_hi:[1,0]
	v_cndmask_b32_e32 v21, 0, v21, vcc
	v_cmp_nlt_f32_e32 vcc, s30, v10
	v_pk_add_f32 v[4:5], v[4:5], 1.0 op_sel_hi:[1,0]
	s_nop 0
	v_cndmask_b32_e32 v10, v16, v18, vcc
	v_cmp_nlt_f32_e32 vcc, s30, v11
	v_add_f32_e32 v10, 1.0, v10
	v_rcp_f32_e32 v10, v10
	v_cndmask_b32_e32 v11, v16, v19, vcc
	v_cmp_nlt_f32_e32 vcc, s30, v12
	v_add_f32_e32 v11, 1.0, v11
	v_rcp_f32_e32 v11, v11
	;; [unrolled: 4-line block ×3, first 2 shown]
	v_cndmask_b32_e32 v13, v16, v21, vcc
	v_add_f32_e32 v13, 1.0, v13
	v_rcp_f32_e32 v13, v13
	v_pk_mul_f32 v[0:1], v[0:1], v[10:11]
	v_pk_mul_f32 v[2:3], v[2:3], v[12:13]
	s_nop 0
	v_pk_mul_f32 v[2:3], v[6:7], v[2:3]
	v_pk_mul_f32 v[0:1], v[4:5], v[0:1]
	v_perm_b32 v3, v3, v2, s33
	v_perm_b32 v2, v1, v0, s33
	buffer_store_dwordx2 v[2:3], v15, s[4:7], 0 offen
	v_add_u32_e32 v15, s27, v15
	s_andn2_b64 exec, exec, s[24:25]
	s_cbranch_execnz .LBB322_8
.LBB322_9:
	s_endpgm
	.section	.rodata,"a",@progbits
	.p2align	6, 0x0
	.amdhsa_kernel _ZN5aiter30swiglu_act_and_mul_bias_kernelIttifLi4EEEvPT0_PKT_PKT1_PKT2_il
		.amdhsa_group_segment_fixed_size 0
		.amdhsa_private_segment_fixed_size 0
		.amdhsa_kernarg_size 304
		.amdhsa_user_sgpr_count 2
		.amdhsa_user_sgpr_dispatch_ptr 0
		.amdhsa_user_sgpr_queue_ptr 0
		.amdhsa_user_sgpr_kernarg_segment_ptr 1
		.amdhsa_user_sgpr_dispatch_id 0
		.amdhsa_user_sgpr_kernarg_preload_length 0
		.amdhsa_user_sgpr_kernarg_preload_offset 0
		.amdhsa_user_sgpr_private_segment_size 0
		.amdhsa_uses_dynamic_stack 0
		.amdhsa_enable_private_segment 0
		.amdhsa_system_sgpr_workgroup_id_x 1
		.amdhsa_system_sgpr_workgroup_id_y 0
		.amdhsa_system_sgpr_workgroup_id_z 0
		.amdhsa_system_sgpr_workgroup_info 0
		.amdhsa_system_vgpr_workitem_id 0
		.amdhsa_next_free_vgpr 30
		.amdhsa_next_free_sgpr 34
		.amdhsa_accum_offset 32
		.amdhsa_reserve_vcc 1
		.amdhsa_float_round_mode_32 0
		.amdhsa_float_round_mode_16_64 0
		.amdhsa_float_denorm_mode_32 3
		.amdhsa_float_denorm_mode_16_64 3
		.amdhsa_dx10_clamp 1
		.amdhsa_ieee_mode 1
		.amdhsa_fp16_overflow 0
		.amdhsa_tg_split 0
		.amdhsa_exception_fp_ieee_invalid_op 0
		.amdhsa_exception_fp_denorm_src 0
		.amdhsa_exception_fp_ieee_div_zero 0
		.amdhsa_exception_fp_ieee_overflow 0
		.amdhsa_exception_fp_ieee_underflow 0
		.amdhsa_exception_fp_ieee_inexact 0
		.amdhsa_exception_int_div_zero 0
	.end_amdhsa_kernel
	.section	.text._ZN5aiter30swiglu_act_and_mul_bias_kernelIttifLi4EEEvPT0_PKT_PKT1_PKT2_il,"axG",@progbits,_ZN5aiter30swiglu_act_and_mul_bias_kernelIttifLi4EEEvPT0_PKT_PKT1_PKT2_il,comdat
.Lfunc_end322:
	.size	_ZN5aiter30swiglu_act_and_mul_bias_kernelIttifLi4EEEvPT0_PKT_PKT1_PKT2_il, .Lfunc_end322-_ZN5aiter30swiglu_act_and_mul_bias_kernelIttifLi4EEEvPT0_PKT_PKT1_PKT2_il
                                        ; -- End function
	.section	.AMDGPU.csdata,"",@progbits
; Kernel info:
; codeLenInByte = 1212
; NumSgprs: 40
; NumVgprs: 30
; NumAgprs: 0
; TotalNumVgprs: 30
; ScratchSize: 0
; MemoryBound: 0
; FloatMode: 240
; IeeeMode: 1
; LDSByteSize: 0 bytes/workgroup (compile time only)
; SGPRBlocks: 4
; VGPRBlocks: 3
; NumSGPRsForWavesPerEU: 40
; NumVGPRsForWavesPerEU: 30
; AccumOffset: 32
; Occupancy: 8
; WaveLimiterHint : 0
; COMPUTE_PGM_RSRC2:SCRATCH_EN: 0
; COMPUTE_PGM_RSRC2:USER_SGPR: 2
; COMPUTE_PGM_RSRC2:TRAP_HANDLER: 0
; COMPUTE_PGM_RSRC2:TGID_X_EN: 1
; COMPUTE_PGM_RSRC2:TGID_Y_EN: 0
; COMPUTE_PGM_RSRC2:TGID_Z_EN: 0
; COMPUTE_PGM_RSRC2:TIDIG_COMP_CNT: 0
; COMPUTE_PGM_RSRC3_GFX90A:ACCUM_OFFSET: 7
; COMPUTE_PGM_RSRC3_GFX90A:TG_SPLIT: 0
	.section	.text._ZN5aiter30swiglu_act_and_mul_bias_kernelIttifLi2EEEvPT0_PKT_PKT1_PKT2_il,"axG",@progbits,_ZN5aiter30swiglu_act_and_mul_bias_kernelIttifLi2EEEvPT0_PKT_PKT1_PKT2_il,comdat
	.protected	_ZN5aiter30swiglu_act_and_mul_bias_kernelIttifLi2EEEvPT0_PKT_PKT1_PKT2_il ; -- Begin function _ZN5aiter30swiglu_act_and_mul_bias_kernelIttifLi2EEEvPT0_PKT_PKT1_PKT2_il
	.globl	_ZN5aiter30swiglu_act_and_mul_bias_kernelIttifLi2EEEvPT0_PKT_PKT1_PKT2_il
	.p2align	8
	.type	_ZN5aiter30swiglu_act_and_mul_bias_kernelIttifLi2EEEvPT0_PKT_PKT1_PKT2_il,@function
_ZN5aiter30swiglu_act_and_mul_bias_kernelIttifLi2EEEvPT0_PKT_PKT1_PKT2_il: ; @_ZN5aiter30swiglu_act_and_mul_bias_kernelIttifLi2EEEvPT0_PKT_PKT1_PKT2_il
; %bb.0:
	s_load_dword s20, s[0:1], 0x20
	s_load_dwordx2 s[4:5], s[0:1], 0x10
	s_load_dwordx2 s[12:13], s[0:1], 0x28
	s_mov_b32 s3, 0
	s_lshl_b64 s[6:7], s[2:3], 2
	s_waitcnt lgkmcnt(0)
	s_ashr_i32 s21, s20, 31
	s_add_u32 s4, s4, s6
	s_addc_u32 s5, s5, s7
	s_add_i32 s3, s20, 1
	s_load_dword s8, s[4:5], 0x0
	s_load_dwordx2 s[14:15], s[0:1], 0x0
	s_lshr_b32 s4, s3, 31
	s_add_i32 s3, s3, s4
	s_lshl_b32 s3, s3, 1
	s_and_b32 s6, s3, -4
	s_mul_hi_u32 s3, s20, s2
	s_mul_i32 s4, s21, s2
	s_add_i32 s5, s3, s4
	s_mul_i32 s4, s20, s2
	s_waitcnt lgkmcnt(0)
	s_ashr_i32 s9, s8, 31
	s_lshl_b64 s[4:5], s[4:5], 1
	v_mov_b64_e32 v[2:3], s[12:13]
	v_cmp_gt_i64_e64 s[16:17], s[8:9], -1
	s_add_u32 s4, s14, s4
	v_cmp_lt_i64_e32 vcc, s[8:9], v[2:3]
	s_addc_u32 s3, s15, s5
	s_and_b64 s[12:13], s[16:17], vcc
	s_mov_b64 s[10:11], -1
	s_and_b32 s5, s3, 0xffff
	s_and_b64 vcc, exec, s[12:13]
	v_lshlrev_b32_e32 v2, 1, v0
	s_cbranch_vccnz .LBB323_5
; %bb.1:
	v_cmp_gt_i32_e32 vcc, s20, v2
	s_and_saveexec_b64 s[10:11], vcc
	s_cbranch_execz .LBB323_4
; %bb.2:
	s_load_dword s3, s[0:1], 0x3c
	v_mov_b32_e32 v3, 0
	s_mov_b32 s13, 0
	v_lshlrev_b32_e32 v1, 2, v0
	s_mov_b64 s[14:15], 0
	s_waitcnt lgkmcnt(0)
	s_and_b32 s3, s3, 0xffff
	s_lshl_b32 s12, s3, 1
	s_lshl_b32 s3, s3, 2
	s_mov_b32 s7, 0x20000
	v_mov_b64_e32 v[4:5], v[2:3]
.LBB323_3:                              ; =>This Inner Loop Header: Depth=1
	v_lshl_add_u64 v[4:5], s[12:13], 0, v[4:5]
	v_cmp_le_i64_e32 vcc, s[20:21], v[4:5]
	buffer_store_dword v3, v1, s[4:7], 0 offen
	s_or_b64 s[14:15], vcc, s[14:15]
	v_add_u32_e32 v1, s3, v1
	s_andn2_b64 exec, exec, s[14:15]
	s_cbranch_execnz .LBB323_3
.LBB323_4:
	s_or_b64 exec, exec, s[10:11]
	s_mov_b64 s[10:11], 0
.LBB323_5:
	s_andn2_b64 vcc, exec, s[10:11]
	s_cbranch_vccnz .LBB323_9
; %bb.6:
	v_cmp_gt_i32_e32 vcc, s20, v2
	s_and_saveexec_b64 s[10:11], vcc
	s_cbranch_execz .LBB323_9
; %bb.7:
	s_load_dwordx2 s[12:13], s[0:1], 0x8
	s_load_dwordx2 s[10:11], s[0:1], 0x18
	s_mul_hi_i32 s9, s20, s8
	s_mul_i32 s8, s20, s8
	s_lshl_b64 s[8:9], s[8:9], 3
	s_load_dword s14, s[0:1], 0x3c
	s_waitcnt lgkmcnt(0)
	s_add_u32 s8, s10, s8
	s_addc_u32 s3, s11, s9
	s_lshl_b64 s[0:1], s[20:21], 2
	s_add_u32 s0, s8, s0
	s_addc_u32 s1, s3, s1
	s_and_b32 s9, s3, 0xffff
	s_mul_i32 s3, s2, s21
	s_mul_hi_u32 s15, s2, s20
	s_add_i32 s3, s15, s3
	s_mul_i32 s2, s2, s20
	s_lshl_b32 s10, s20, 2
	s_and_b32 s1, s1, 0xffff
	s_lshl_b64 s[2:3], s[2:3], 2
	s_add_u32 s12, s12, s2
	s_addc_u32 s13, s13, s3
	s_lshl_b64 s[2:3], s[20:21], 1
	s_add_u32 s16, s12, s2
	s_addc_u32 s2, s13, s3
	s_mov_b32 s7, 0x20000
	s_and_b32 s17, s2, 0xffff
	s_and_b32 s2, s14, 0xffff
	s_mov_b32 s11, s7
	s_and_b32 s13, s13, 0xffff
	s_mov_b32 s23, 0
	v_mov_b32_e32 v3, 0
	s_lshl_b32 s22, s2, 1
	v_lshlrev_b32_e32 v1, 3, v0
	s_lshl_b32 s26, s2, 3
	v_lshlrev_b32_e32 v0, 2, v0
	s_lshl_b32 s27, s2, 2
	s_mov_b64 s[24:25], 0
	s_mov_b32 s19, s7
	s_mov_b32 s18, s6
	;; [unrolled: 1-line block ×5, first 2 shown]
	v_mov_b32_e32 v4, 0x7f800000
	s_mov_b32 s31, 0xc0e00000
	v_mov_b32_e32 v5, 0x40e00000
	s_mov_b32 s33, 0x7060302
	s_mov_b32 s14, s6
	;; [unrolled: 1-line block ×3, first 2 shown]
.LBB323_8:                              ; =>This Inner Loop Header: Depth=1
	buffer_load_dword v11, v0, s[12:15], 0 offen
	buffer_load_dword v13, v0, s[16:19], 0 offen
	buffer_load_dwordx2 v[6:7], v1, s[8:11], 0 offen
	s_mov_b32 s2, s10
	s_mov_b32 s3, s11
	buffer_load_dwordx2 v[8:9], v1, s[0:3], 0 offen
	v_lshl_add_u64 v[2:3], s[22:23], 0, v[2:3]
	v_cmp_le_i64_e32 vcc, s[20:21], v[2:3]
	s_or_b64 s[24:25], vcc, s[24:25]
	v_add_u32_e32 v1, s26, v1
	s_waitcnt vmcnt(3)
	v_lshlrev_b32_e32 v10, 16, v11
	v_and_b32_e32 v11, 0xffff0000, v11
	s_waitcnt vmcnt(1)
	v_pk_add_f32 v[6:7], v[6:7], v[10:11]
	v_lshlrev_b32_e32 v12, 16, v13
	v_min_f32_e32 v6, 0x40e00000, v6
	v_min_f32_e32 v7, 0x40e00000, v7
	v_mul_f32_e32 v10, 0xbfd9db23, v6
	v_mul_f32_e32 v11, 0xbfd9db23, v7
	;; [unrolled: 1-line block ×4, first 2 shown]
	v_fma_f32 v16, v10, s28, -v14
	v_rndne_f32_e32 v17, v14
	v_fma_f32 v18, v11, s28, -v15
	v_rndne_f32_e32 v19, v15
	v_fmac_f32_e32 v16, 0x32a5705f, v10
	v_sub_f32_e32 v14, v14, v17
	v_fmac_f32_e32 v18, 0x32a5705f, v11
	v_sub_f32_e32 v15, v15, v19
	v_add_f32_e32 v14, v14, v16
	v_cvt_i32_f32_e32 v17, v17
	v_add_f32_e32 v15, v15, v18
	v_exp_f32_e32 v14, v14
	v_cvt_i32_f32_e32 v19, v19
	v_exp_f32_e32 v15, v15
	v_and_b32_e32 v13, 0xffff0000, v13
	s_waitcnt vmcnt(0)
	v_pk_add_f32 v[8:9], v[8:9], v[12:13]
	v_ldexp_f32 v12, v14, v17
	v_cmp_ngt_f32_e32 vcc, s29, v10
	v_ldexp_f32 v13, v15, v19
	v_med3_f32 v9, v9, s31, v5
	v_cndmask_b32_e32 v12, 0, v12, vcc
	v_cmp_ngt_f32_e32 vcc, s29, v11
	v_med3_f32 v8, v8, s31, v5
	v_pk_add_f32 v[8:9], v[8:9], 1.0 op_sel_hi:[1,0]
	v_cndmask_b32_e32 v13, 0, v13, vcc
	v_cmp_nlt_f32_e32 vcc, s30, v10
	s_nop 1
	v_cndmask_b32_e32 v10, v4, v12, vcc
	v_cmp_nlt_f32_e32 vcc, s30, v11
	v_add_f32_e32 v10, 1.0, v10
	v_rcp_f32_e32 v10, v10
	v_cndmask_b32_e32 v11, v4, v13, vcc
	v_add_f32_e32 v11, 1.0, v11
	v_rcp_f32_e32 v11, v11
	s_nop 0
	v_pk_mul_f32 v[6:7], v[6:7], v[10:11]
	s_nop 0
	v_pk_mul_f32 v[6:7], v[8:9], v[6:7]
	s_nop 0
	v_perm_b32 v6, v7, v6, s33
	buffer_store_dword v6, v0, s[4:7], 0 offen
	v_add_u32_e32 v0, s27, v0
	s_andn2_b64 exec, exec, s[24:25]
	s_cbranch_execnz .LBB323_8
.LBB323_9:
	s_endpgm
	.section	.rodata,"a",@progbits
	.p2align	6, 0x0
	.amdhsa_kernel _ZN5aiter30swiglu_act_and_mul_bias_kernelIttifLi2EEEvPT0_PKT_PKT1_PKT2_il
		.amdhsa_group_segment_fixed_size 0
		.amdhsa_private_segment_fixed_size 0
		.amdhsa_kernarg_size 304
		.amdhsa_user_sgpr_count 2
		.amdhsa_user_sgpr_dispatch_ptr 0
		.amdhsa_user_sgpr_queue_ptr 0
		.amdhsa_user_sgpr_kernarg_segment_ptr 1
		.amdhsa_user_sgpr_dispatch_id 0
		.amdhsa_user_sgpr_kernarg_preload_length 0
		.amdhsa_user_sgpr_kernarg_preload_offset 0
		.amdhsa_user_sgpr_private_segment_size 0
		.amdhsa_uses_dynamic_stack 0
		.amdhsa_enable_private_segment 0
		.amdhsa_system_sgpr_workgroup_id_x 1
		.amdhsa_system_sgpr_workgroup_id_y 0
		.amdhsa_system_sgpr_workgroup_id_z 0
		.amdhsa_system_sgpr_workgroup_info 0
		.amdhsa_system_vgpr_workitem_id 0
		.amdhsa_next_free_vgpr 20
		.amdhsa_next_free_sgpr 34
		.amdhsa_accum_offset 20
		.amdhsa_reserve_vcc 1
		.amdhsa_float_round_mode_32 0
		.amdhsa_float_round_mode_16_64 0
		.amdhsa_float_denorm_mode_32 3
		.amdhsa_float_denorm_mode_16_64 3
		.amdhsa_dx10_clamp 1
		.amdhsa_ieee_mode 1
		.amdhsa_fp16_overflow 0
		.amdhsa_tg_split 0
		.amdhsa_exception_fp_ieee_invalid_op 0
		.amdhsa_exception_fp_denorm_src 0
		.amdhsa_exception_fp_ieee_div_zero 0
		.amdhsa_exception_fp_ieee_overflow 0
		.amdhsa_exception_fp_ieee_underflow 0
		.amdhsa_exception_fp_ieee_inexact 0
		.amdhsa_exception_int_div_zero 0
	.end_amdhsa_kernel
	.section	.text._ZN5aiter30swiglu_act_and_mul_bias_kernelIttifLi2EEEvPT0_PKT_PKT1_PKT2_il,"axG",@progbits,_ZN5aiter30swiglu_act_and_mul_bias_kernelIttifLi2EEEvPT0_PKT_PKT1_PKT2_il,comdat
.Lfunc_end323:
	.size	_ZN5aiter30swiglu_act_and_mul_bias_kernelIttifLi2EEEvPT0_PKT_PKT1_PKT2_il, .Lfunc_end323-_ZN5aiter30swiglu_act_and_mul_bias_kernelIttifLi2EEEvPT0_PKT_PKT1_PKT2_il
                                        ; -- End function
	.section	.AMDGPU.csdata,"",@progbits
; Kernel info:
; codeLenInByte = 940
; NumSgprs: 40
; NumVgprs: 20
; NumAgprs: 0
; TotalNumVgprs: 20
; ScratchSize: 0
; MemoryBound: 0
; FloatMode: 240
; IeeeMode: 1
; LDSByteSize: 0 bytes/workgroup (compile time only)
; SGPRBlocks: 4
; VGPRBlocks: 2
; NumSGPRsForWavesPerEU: 40
; NumVGPRsForWavesPerEU: 20
; AccumOffset: 20
; Occupancy: 8
; WaveLimiterHint : 0
; COMPUTE_PGM_RSRC2:SCRATCH_EN: 0
; COMPUTE_PGM_RSRC2:USER_SGPR: 2
; COMPUTE_PGM_RSRC2:TRAP_HANDLER: 0
; COMPUTE_PGM_RSRC2:TGID_X_EN: 1
; COMPUTE_PGM_RSRC2:TGID_Y_EN: 0
; COMPUTE_PGM_RSRC2:TGID_Z_EN: 0
; COMPUTE_PGM_RSRC2:TIDIG_COMP_CNT: 0
; COMPUTE_PGM_RSRC3_GFX90A:ACCUM_OFFSET: 4
; COMPUTE_PGM_RSRC3_GFX90A:TG_SPLIT: 0
	.section	.text._ZN5aiter30swiglu_act_and_mul_bias_kernelIttifLi1EEEvPT0_PKT_PKT1_PKT2_il,"axG",@progbits,_ZN5aiter30swiglu_act_and_mul_bias_kernelIttifLi1EEEvPT0_PKT_PKT1_PKT2_il,comdat
	.protected	_ZN5aiter30swiglu_act_and_mul_bias_kernelIttifLi1EEEvPT0_PKT_PKT1_PKT2_il ; -- Begin function _ZN5aiter30swiglu_act_and_mul_bias_kernelIttifLi1EEEvPT0_PKT_PKT1_PKT2_il
	.globl	_ZN5aiter30swiglu_act_and_mul_bias_kernelIttifLi1EEEvPT0_PKT_PKT1_PKT2_il
	.p2align	8
	.type	_ZN5aiter30swiglu_act_and_mul_bias_kernelIttifLi1EEEvPT0_PKT_PKT1_PKT2_il,@function
_ZN5aiter30swiglu_act_and_mul_bias_kernelIttifLi1EEEvPT0_PKT_PKT1_PKT2_il: ; @_ZN5aiter30swiglu_act_and_mul_bias_kernelIttifLi1EEEvPT0_PKT_PKT1_PKT2_il
; %bb.0:
	s_load_dword s20, s[0:1], 0x20
	s_load_dwordx2 s[4:5], s[0:1], 0x10
	s_load_dwordx2 s[14:15], s[0:1], 0x28
	s_mov_b32 s3, 0
	s_lshl_b64 s[6:7], s[2:3], 2
	s_waitcnt lgkmcnt(0)
	s_ashr_i32 s21, s20, 31
	s_add_u32 s4, s4, s6
	s_addc_u32 s5, s5, s7
	s_add_i32 s3, s20, 1
	s_lshr_b32 s10, s3, 31
	s_load_dword s6, s[4:5], 0x0
	s_load_dwordx2 s[8:9], s[0:1], 0x0
	s_add_i32 s3, s3, s10
	s_lshl_b32 s3, s3, 1
	s_and_b32 s10, s3, -4
	s_mul_hi_u32 s3, s20, s2
	s_mul_i32 s11, s21, s2
	s_add_i32 s17, s3, s11
	s_mul_i32 s16, s20, s2
	s_waitcnt lgkmcnt(0)
	s_ashr_i32 s7, s6, 31
	s_lshl_b64 s[16:17], s[16:17], 1
	v_mov_b64_e32 v[2:3], s[14:15]
	v_cmp_gt_i64_e64 s[4:5], s[6:7], -1
	s_add_u32 s8, s8, s16
	v_cmp_lt_i64_e32 vcc, s[6:7], v[2:3]
	s_addc_u32 s3, s9, s17
	s_and_b64 s[4:5], s[4:5], vcc
	s_mov_b64 s[12:13], -1
	s_and_b32 s9, s3, 0xffff
	s_and_b64 vcc, exec, s[4:5]
	v_cmp_gt_i32_e64 s[4:5], s20, v0
	s_cbranch_vccnz .LBB324_5
; %bb.1:
	s_and_saveexec_b64 s[12:13], s[4:5]
	s_cbranch_execz .LBB324_4
; %bb.2:
	s_load_dword s3, s[0:1], 0x3c
	v_mov_b32_e32 v1, 0
	s_mov_b32 s5, 0
	v_lshlrev_b32_e32 v4, 1, v0
	s_mov_b64 s[14:15], 0
	s_waitcnt lgkmcnt(0)
	s_and_b32 s4, s3, 0xffff
	s_lshl_b32 s3, s4, 1
	s_mov_b32 s11, 0x20000
	v_mov_b64_e32 v[2:3], v[0:1]
.LBB324_3:                              ; =>This Inner Loop Header: Depth=1
	v_lshl_add_u64 v[2:3], v[2:3], 0, s[4:5]
	v_cmp_le_i64_e32 vcc, s[20:21], v[2:3]
	buffer_store_short v1, v4, s[8:11], 0 offen
	s_or_b64 s[14:15], vcc, s[14:15]
	v_add_u32_e32 v4, s3, v4
	s_andn2_b64 exec, exec, s[14:15]
	s_cbranch_execnz .LBB324_3
.LBB324_4:
	s_or_b64 exec, exec, s[12:13]
	s_mov_b64 s[12:13], 0
.LBB324_5:
	s_andn2_b64 vcc, exec, s[12:13]
	s_cbranch_vccnz .LBB324_9
; %bb.6:
	v_cmp_gt_i32_e32 vcc, s20, v0
	s_and_saveexec_b64 s[4:5], vcc
	s_cbranch_execz .LBB324_9
; %bb.7:
	s_load_dwordx2 s[12:13], s[0:1], 0x8
	s_load_dwordx2 s[4:5], s[0:1], 0x18
	s_mul_hi_i32 s7, s20, s6
	s_mul_i32 s6, s20, s6
	s_lshl_b64 s[6:7], s[6:7], 3
	s_load_dword s14, s[0:1], 0x3c
	s_waitcnt lgkmcnt(0)
	s_add_u32 s4, s4, s6
	s_addc_u32 s3, s5, s7
	s_lshl_b64 s[0:1], s[20:21], 2
	s_add_u32 s0, s4, s0
	s_addc_u32 s1, s3, s1
	s_and_b32 s5, s3, 0xffff
	s_mul_i32 s3, s2, s21
	s_mul_hi_u32 s15, s2, s20
	s_add_i32 s3, s15, s3
	s_mul_i32 s2, s2, s20
	s_lshl_b32 s6, s20, 2
	s_and_b32 s1, s1, 0xffff
	s_lshl_b64 s[2:3], s[2:3], 2
	s_add_u32 s12, s12, s2
	s_addc_u32 s13, s13, s3
	s_lshl_b64 s[2:3], s[20:21], 1
	s_add_u32 s16, s12, s2
	s_mov_b32 s11, 0x20000
	s_addc_u32 s2, s13, s3
	s_and_b32 s22, s14, 0xffff
	s_mov_b32 s7, s11
	s_and_b32 s13, s13, 0xffff
	s_and_b32 s17, s2, 0xffff
	s_mov_b32 s23, 0
	v_mov_b32_e32 v1, 0
	v_lshlrev_b32_e32 v2, 2, v0
	s_lshl_b32 s26, s22, 2
	v_lshlrev_b32_e32 v3, 1, v0
	s_lshl_b32 s27, s22, 1
	s_mov_b64 s[24:25], 0
	s_mov_b32 s14, s10
	s_mov_b32 s15, s11
	;; [unrolled: 1-line block ×5, first 2 shown]
	v_mov_b32_e32 v4, 0x7f800000
	s_mov_b32 s18, s10
	s_mov_b32 s19, s11
.LBB324_8:                              ; =>This Inner Loop Header: Depth=1
	buffer_load_ushort v5, v3, s[12:15], 0 offen
	buffer_load_dword v6, v2, s[4:7], 0 offen
	buffer_load_ushort v7, v3, s[16:19], 0 offen
	s_mov_b32 s2, s6
	s_mov_b32 s3, s7
	buffer_load_dword v8, v2, s[0:3], 0 offen
	v_lshl_add_u64 v[0:1], v[0:1], 0, s[22:23]
	v_cmp_le_i64_e32 vcc, s[20:21], v[0:1]
	s_or_b64 s[24:25], vcc, s[24:25]
	v_add_u32_e32 v2, s26, v2
	s_waitcnt vmcnt(3)
	v_lshlrev_b32_e32 v5, 16, v5
	s_waitcnt vmcnt(2)
	v_add_f32_e32 v5, v5, v6
	v_min_f32_e32 v5, 0x40e00000, v5
	v_mul_f32_e32 v6, 0xbfd9db23, v5
	v_mul_f32_e32 v9, 0x3fb8aa3b, v6
	v_fma_f32 v10, v6, s28, -v9
	v_rndne_f32_e32 v11, v9
	v_fmac_f32_e32 v10, 0x32a5705f, v6
	v_sub_f32_e32 v9, v9, v11
	v_add_f32_e32 v9, v9, v10
	v_cvt_i32_f32_e32 v11, v11
	v_exp_f32_e32 v9, v9
	s_waitcnt vmcnt(1)
	v_lshlrev_b32_e32 v7, 16, v7
	s_waitcnt vmcnt(0)
	v_add_f32_e32 v7, v7, v8
	v_cmp_ngt_f32_e32 vcc, s29, v6
	v_ldexp_f32 v8, v9, v11
	v_max_f32_e32 v7, 0xc0e00000, v7
	v_cndmask_b32_e32 v8, 0, v8, vcc
	v_cmp_nlt_f32_e32 vcc, s30, v6
	v_min_f32_e32 v7, 0x40e00000, v7
	v_add_f32_e32 v7, 1.0, v7
	v_cndmask_b32_e32 v6, v4, v8, vcc
	v_add_f32_e32 v6, 1.0, v6
	v_rcp_f32_e32 v6, v6
	s_nop 0
	v_mul_f32_e32 v5, v5, v6
	v_mul_f32_e32 v5, v7, v5
	v_lshrrev_b32_e32 v5, 16, v5
	buffer_store_short v5, v3, s[8:11], 0 offen
	v_add_u32_e32 v3, s27, v3
	s_andn2_b64 exec, exec, s[24:25]
	s_cbranch_execnz .LBB324_8
.LBB324_9:
	s_endpgm
	.section	.rodata,"a",@progbits
	.p2align	6, 0x0
	.amdhsa_kernel _ZN5aiter30swiglu_act_and_mul_bias_kernelIttifLi1EEEvPT0_PKT_PKT1_PKT2_il
		.amdhsa_group_segment_fixed_size 0
		.amdhsa_private_segment_fixed_size 0
		.amdhsa_kernarg_size 304
		.amdhsa_user_sgpr_count 2
		.amdhsa_user_sgpr_dispatch_ptr 0
		.amdhsa_user_sgpr_queue_ptr 0
		.amdhsa_user_sgpr_kernarg_segment_ptr 1
		.amdhsa_user_sgpr_dispatch_id 0
		.amdhsa_user_sgpr_kernarg_preload_length 0
		.amdhsa_user_sgpr_kernarg_preload_offset 0
		.amdhsa_user_sgpr_private_segment_size 0
		.amdhsa_uses_dynamic_stack 0
		.amdhsa_enable_private_segment 0
		.amdhsa_system_sgpr_workgroup_id_x 1
		.amdhsa_system_sgpr_workgroup_id_y 0
		.amdhsa_system_sgpr_workgroup_id_z 0
		.amdhsa_system_sgpr_workgroup_info 0
		.amdhsa_system_vgpr_workitem_id 0
		.amdhsa_next_free_vgpr 12
		.amdhsa_next_free_sgpr 31
		.amdhsa_accum_offset 12
		.amdhsa_reserve_vcc 1
		.amdhsa_float_round_mode_32 0
		.amdhsa_float_round_mode_16_64 0
		.amdhsa_float_denorm_mode_32 3
		.amdhsa_float_denorm_mode_16_64 3
		.amdhsa_dx10_clamp 1
		.amdhsa_ieee_mode 1
		.amdhsa_fp16_overflow 0
		.amdhsa_tg_split 0
		.amdhsa_exception_fp_ieee_invalid_op 0
		.amdhsa_exception_fp_denorm_src 0
		.amdhsa_exception_fp_ieee_div_zero 0
		.amdhsa_exception_fp_ieee_overflow 0
		.amdhsa_exception_fp_ieee_underflow 0
		.amdhsa_exception_fp_ieee_inexact 0
		.amdhsa_exception_int_div_zero 0
	.end_amdhsa_kernel
	.section	.text._ZN5aiter30swiglu_act_and_mul_bias_kernelIttifLi1EEEvPT0_PKT_PKT1_PKT2_il,"axG",@progbits,_ZN5aiter30swiglu_act_and_mul_bias_kernelIttifLi1EEEvPT0_PKT_PKT1_PKT2_il,comdat
.Lfunc_end324:
	.size	_ZN5aiter30swiglu_act_and_mul_bias_kernelIttifLi1EEEvPT0_PKT_PKT1_PKT2_il, .Lfunc_end324-_ZN5aiter30swiglu_act_and_mul_bias_kernelIttifLi1EEEvPT0_PKT_PKT1_PKT2_il
                                        ; -- End function
	.section	.AMDGPU.csdata,"",@progbits
; Kernel info:
; codeLenInByte = 768
; NumSgprs: 37
; NumVgprs: 12
; NumAgprs: 0
; TotalNumVgprs: 12
; ScratchSize: 0
; MemoryBound: 0
; FloatMode: 240
; IeeeMode: 1
; LDSByteSize: 0 bytes/workgroup (compile time only)
; SGPRBlocks: 4
; VGPRBlocks: 1
; NumSGPRsForWavesPerEU: 37
; NumVGPRsForWavesPerEU: 12
; AccumOffset: 12
; Occupancy: 8
; WaveLimiterHint : 0
; COMPUTE_PGM_RSRC2:SCRATCH_EN: 0
; COMPUTE_PGM_RSRC2:USER_SGPR: 2
; COMPUTE_PGM_RSRC2:TRAP_HANDLER: 0
; COMPUTE_PGM_RSRC2:TGID_X_EN: 1
; COMPUTE_PGM_RSRC2:TGID_Y_EN: 0
; COMPUTE_PGM_RSRC2:TGID_Z_EN: 0
; COMPUTE_PGM_RSRC2:TIDIG_COMP_CNT: 0
; COMPUTE_PGM_RSRC3_GFX90A:ACCUM_OFFSET: 2
; COMPUTE_PGM_RSRC3_GFX90A:TG_SPLIT: 0
	.section	.text._ZN5aiter30swiglu_act_and_mul_bias_kernelIftlfLi16EEEvPT0_PKT_PKT1_PKT2_il,"axG",@progbits,_ZN5aiter30swiglu_act_and_mul_bias_kernelIftlfLi16EEEvPT0_PKT_PKT1_PKT2_il,comdat
	.protected	_ZN5aiter30swiglu_act_and_mul_bias_kernelIftlfLi16EEEvPT0_PKT_PKT1_PKT2_il ; -- Begin function _ZN5aiter30swiglu_act_and_mul_bias_kernelIftlfLi16EEEvPT0_PKT_PKT1_PKT2_il
	.globl	_ZN5aiter30swiglu_act_and_mul_bias_kernelIftlfLi16EEEvPT0_PKT_PKT1_PKT2_il
	.p2align	8
	.type	_ZN5aiter30swiglu_act_and_mul_bias_kernelIftlfLi16EEEvPT0_PKT_PKT1_PKT2_il,@function
_ZN5aiter30swiglu_act_and_mul_bias_kernelIftlfLi16EEEvPT0_PKT_PKT1_PKT2_il: ; @_ZN5aiter30swiglu_act_and_mul_bias_kernelIftlfLi16EEEvPT0_PKT_PKT1_PKT2_il
; %bb.0:
	s_load_dwordx2 s[6:7], s[0:1], 0x0
	s_load_dwordx2 s[4:5], s[0:1], 0x10
	s_load_dword s58, s[0:1], 0x20
	s_load_dwordx2 s[8:9], s[0:1], 0x28
	s_mov_b32 s3, 0
	s_lshl_b64 s[10:11], s[2:3], 3
	s_waitcnt lgkmcnt(0)
	s_add_u32 s4, s4, s10
	s_addc_u32 s5, s5, s11
	s_ashr_i32 s59, s58, 31
	s_mul_hi_u32 s3, s58, s2
	s_mul_i32 s10, s59, s2
	s_load_dwordx2 s[4:5], s[4:5], 0x0
	s_add_i32 s11, s3, s10
	s_mul_i32 s10, s58, s2
	s_lshl_b64 s[10:11], s[10:11], 1
	s_add_u32 s60, s6, s10
	s_addc_u32 s3, s7, s11
	s_add_i32 s6, s58, 1
	s_lshr_b32 s7, s6, 31
	v_mov_b64_e32 v[2:3], s[8:9]
	s_add_i32 s6, s6, s7
	s_waitcnt lgkmcnt(0)
	v_cmp_gt_i64_e64 s[10:11], s[4:5], -1
	v_cmp_lt_i64_e32 vcc, s[4:5], v[2:3]
	s_lshl_b32 s6, s6, 1
	s_and_b64 s[8:9], s[10:11], vcc
	s_and_b32 s62, s6, -4
	s_and_b32 s61, s3, 0xffff
	s_mov_b64 s[6:7], -1
	s_and_b64 vcc, exec, s[8:9]
	v_lshlrev_b32_e32 v44, 4, v0
	s_cbranch_vccnz .LBB325_5
; %bb.1:
	v_cmp_gt_i32_e32 vcc, s58, v44
	s_and_saveexec_b64 s[6:7], vcc
	s_cbranch_execz .LBB325_4
; %bb.2:
	s_load_dword s3, s[0:1], 0x3c
	s_mov_b32 s9, 0
	s_mov_b32 s12, s9
	;; [unrolled: 1-line block ×3, first 2 shown]
	v_mov_b32_e32 v45, 0
	s_waitcnt lgkmcnt(0)
	s_and_b32 s3, s3, 0xffff
	s_mov_b32 s14, s9
	s_mov_b32 s15, s9
	v_mov_b64_e32 v[2:3], s[12:13]
	v_lshlrev_b32_e32 v1, 5, v0
	s_lshl_b32 s8, s3, 4
	s_lshl_b32 s3, s3, 5
	s_mov_b64 s[10:11], 0
	s_mov_b32 s63, 0x20000
	v_mov_b64_e32 v[4:5], s[14:15]
	v_mov_b64_e32 v[6:7], v[44:45]
.LBB325_3:                              ; =>This Inner Loop Header: Depth=1
	v_lshl_add_u64 v[6:7], s[8:9], 0, v[6:7]
	v_cmp_le_i64_e32 vcc, s[58:59], v[6:7]
	buffer_store_dwordx4 v[2:5], v1, s[60:63], 0 offen
	buffer_store_dwordx4 v[2:5], v1, s[60:63], 16 offen
	s_or_b64 s[10:11], vcc, s[10:11]
	v_add_u32_e32 v1, s3, v1
	s_andn2_b64 exec, exec, s[10:11]
	s_cbranch_execnz .LBB325_3
.LBB325_4:
	s_or_b64 exec, exec, s[6:7]
	s_mov_b64 s[6:7], 0
.LBB325_5:
	s_andn2_b64 vcc, exec, s[6:7]
	s_cbranch_vccnz .LBB325_9
; %bb.6:
	v_cmp_gt_i32_e32 vcc, s58, v44
	s_and_saveexec_b64 s[6:7], vcc
	s_cbranch_execz .LBB325_9
; %bb.7:
	s_load_dwordx2 s[6:7], s[0:1], 0x8
	s_load_dwordx2 s[8:9], s[0:1], 0x18
	s_mul_i32 s3, s58, s5
	s_mul_hi_u32 s5, s58, s4
	s_add_i32 s3, s5, s3
	s_mul_i32 s5, s59, s4
	s_add_i32 s5, s3, s5
	s_mul_i32 s4, s58, s4
	s_lshl_b32 s66, s58, 2
	s_lshl_b64 s[4:5], s[4:5], 3
	s_waitcnt lgkmcnt(0)
	s_add_u32 s64, s8, s4
	s_load_dword s10, s[0:1], 0x3c
	s_addc_u32 s3, s9, s5
	s_lshl_b64 s[0:1], s[58:59], 2
	s_add_u32 s68, s64, s0
	s_addc_u32 s4, s3, s1
	s_and_b32 s65, s3, 0xffff
	s_and_b32 s69, s4, 0xffff
	s_mul_i32 s3, s2, s59
	s_mul_hi_u32 s4, s2, s58
	s_add_i32 s3, s4, s3
	s_mul_i32 s2, s2, s58
	s_lshl_b64 s[2:3], s[2:3], 3
	s_add_u32 s72, s6, s2
	s_addc_u32 s2, s7, s3
	s_add_u32 s76, s72, s0
	s_addc_u32 s0, s2, s1
	s_mov_b32 s63, 0x20000
	s_and_b32 s77, s0, 0xffff
	s_waitcnt lgkmcnt(0)
	s_and_b32 s0, s10, 0xffff
	s_mov_b32 s67, s63
	s_and_b32 s73, s2, 0xffff
	s_mov_b32 s81, 0
	v_mov_b32_e32 v45, 0
	s_lshl_b32 s80, s0, 4
	v_lshlrev_b32_e32 v54, 5, v0
	s_lshl_b32 s33, s0, 5
	v_lshlrev_b32_e32 v55, 6, v0
	s_lshl_b32 s84, s0, 6
	s_mov_b64 s[82:83], 0
	s_mov_b32 s74, s66
	s_mov_b32 s75, s63
	;; [unrolled: 1-line block ×5, first 2 shown]
	v_mov_b32_e32 v56, 0x7f800000
	s_mov_b32 s88, 0xc0e00000
	v_mov_b32_e32 v57, 0x40e00000
	s_mov_b32 s89, 0x7060302
	s_mov_b32 s78, s66
	;; [unrolled: 1-line block ×3, first 2 shown]
.LBB325_8:                              ; =>This Inner Loop Header: Depth=1
	buffer_load_dwordx4 v[20:23], v55, s[72:75], 0 offen
	buffer_load_dwordx4 v[24:27], v55, s[64:67], 0 offen
	;; [unrolled: 1-line block ×12, first 2 shown]
	s_mov_b32 s70, s66
	s_mov_b32 s71, s67
	buffer_load_dwordx4 v[16:19], v55, s[68:71], 0 offen
	v_lshl_add_u64 v[44:45], s[80:81], 0, v[44:45]
	v_cmp_le_i64_e64 s[52:53], s[58:59], v[44:45]
	s_or_b64 s[82:83], s[52:53], s[82:83]
	s_waitcnt vmcnt(11)
	v_pk_add_f32 v[46:47], v[22:23], v[26:27]
	v_pk_add_f32 v[48:49], v[20:21], v[24:25]
	buffer_load_dwordx4 v[20:23], v55, s[68:71], 16 offen
	buffer_load_dwordx4 v[24:27], v55, s[68:71], 32 offen
	s_waitcnt vmcnt(9)
	v_pk_add_f32 v[42:43], v[38:39], v[42:43]
	v_pk_add_f32 v[40:41], v[36:37], v[40:41]
	buffer_load_dwordx4 v[36:39], v55, s[68:71], 48 offen
	v_pk_add_f32 v[50:51], v[60:61], v[64:65]
	s_waitcnt vmcnt(8)
	v_pk_add_f32 v[60:61], v[28:29], v[32:33]
	v_min_f32_e32 v28, 0x40e00000, v48
	v_min_f32_e32 v29, 0x40e00000, v49
	v_pk_add_f32 v[52:53], v[58:59], v[62:63]
	v_pk_add_f32 v[58:59], v[30:31], v[34:35]
	s_waitcnt vmcnt(3)
	v_pk_add_f32 v[8:9], v[8:9], v[16:17]
	v_min_f32_e32 v30, 0x40e00000, v46
	v_min_f32_e32 v31, 0x40e00000, v47
	;; [unrolled: 1-line block ×3, first 2 shown]
	v_pk_add_f32 v[10:11], v[10:11], v[18:19]
	v_min_f32_e32 v32, 0x40e00000, v52
	v_min_f32_e32 v33, 0x40e00000, v53
	;; [unrolled: 1-line block ×6, first 2 shown]
	v_mul_f32_e32 v50, 0xbfd9db23, v40
	v_min_f32_e32 v42, 0x40e00000, v42
	v_mul_f32_e32 v51, 0xbfd9db23, v41
	v_mul_f32_e32 v53, 0x3fb8aa3b, v50
	v_min_f32_e32 v46, 0x40e00000, v60
	v_mul_f32_e32 v52, 0xbfd9db23, v42
	v_mul_f32_e32 v60, 0x3fb8aa3b, v51
	v_min_f32_e32 v43, 0x40e00000, v43
	v_min_f32_e32 v47, 0x40e00000, v61
	v_cmp_ngt_f32_e64 s[24:25], s86, v50
	v_cmp_nlt_f32_e64 s[14:15], s87, v50
	v_mul_f32_e32 v61, 0x3fb8aa3b, v52
	v_cmp_ngt_f32_e64 s[26:27], s86, v51
	v_cmp_nlt_f32_e64 s[16:17], s87, v51
	v_fma_f32 v62, v52, s85, -v61
	v_cmp_ngt_f32_e64 s[28:29], s86, v52
	v_cmp_nlt_f32_e64 s[18:19], s87, v52
	v_fmac_f32_e32 v62, 0x32a5705f, v52
	v_min_f32_e32 v49, 0x40e00000, v59
	v_add_u32_e32 v55, s84, v55
	s_waitcnt vmcnt(2)
	v_pk_add_f32 v[12:13], v[12:13], v[20:21]
	s_waitcnt vmcnt(1)
	v_pk_add_f32 v[16:17], v[2:3], v[26:27]
	v_pk_add_f32 v[20:21], v[0:1], v[24:25]
	v_mul_f32_e32 v24, 0xbfd9db23, v28
	v_mul_f32_e32 v25, 0xbfd9db23, v29
	v_med3_f32 v2, v8, s88, v57
	v_med3_f32 v8, v16, s88, v57
	v_mul_f32_e32 v16, 0x3fb8aa3b, v24
	s_waitcnt vmcnt(0)
	v_pk_add_f32 v[18:19], v[6:7], v[38:39]
	v_mul_f32_e32 v26, 0xbfd9db23, v30
	v_med3_f32 v3, v9, s88, v57
	v_med3_f32 v9, v17, s88, v57
	v_mul_f32_e32 v17, 0x3fb8aa3b, v25
	v_fma_f32 v58, v24, s85, -v16
	v_mul_f32_e32 v27, 0xbfd9db23, v31
	v_med3_f32 v6, v12, s88, v57
	v_med3_f32 v12, v18, s88, v57
	v_cmp_ngt_f32_e64 s[42:43], s86, v24
	v_cmp_nlt_f32_e32 vcc, s87, v24
	v_mul_f32_e32 v18, 0x3fb8aa3b, v26
	v_fmac_f32_e32 v58, 0x32a5705f, v24
	v_fma_f32 v24, v25, s85, -v17
	v_pk_add_f32 v[14:15], v[14:15], v[22:23]
	v_pk_add_f32 v[22:23], v[4:5], v[36:37]
	v_mul_f32_e32 v36, 0xbfd9db23, v32
	v_med3_f32 v7, v13, s88, v57
	v_med3_f32 v13, v19, s88, v57
	v_cmp_ngt_f32_e64 s[44:45], s86, v25
	v_cmp_nlt_f32_e64 s[0:1], s87, v25
	v_mul_f32_e32 v19, 0x3fb8aa3b, v27
	v_fmac_f32_e32 v24, 0x32a5705f, v25
	v_fma_f32 v25, v26, s85, -v18
	v_mul_f32_e32 v37, 0xbfd9db23, v33
	v_med3_f32 v0, v10, s88, v57
	v_med3_f32 v10, v20, s88, v57
	v_cmp_ngt_f32_e64 s[46:47], s86, v26
	v_cmp_nlt_f32_e64 s[2:3], s87, v26
	v_mul_f32_e32 v20, 0x3fb8aa3b, v36
	v_fmac_f32_e32 v25, 0x32a5705f, v26
	v_fma_f32 v26, v27, s85, -v19
	;; [unrolled: 8-line block ×4, first 2 shown]
	v_med3_f32 v5, v15, s88, v57
	v_med3_f32 v15, v23, s88, v57
	v_cmp_ngt_f32_e64 s[40:41], s86, v37
	v_cmp_nlt_f32_e64 s[8:9], s87, v37
	v_mul_f32_e32 v23, 0x3fb8aa3b, v39
	v_fmac_f32_e32 v36, 0x32a5705f, v37
	v_fma_f32 v37, v38, s85, -v22
	v_rndne_f32_e32 v66, v16
	v_cmp_ngt_f32_e64 s[20:21], s86, v38
	v_cmp_nlt_f32_e64 s[10:11], s87, v38
	v_fmac_f32_e32 v37, 0x32a5705f, v38
	v_fma_f32 v38, v39, s85, -v23
	v_sub_f32_e32 v16, v16, v66
	v_rndne_f32_e32 v68, v17
	v_cmp_ngt_f32_e64 s[22:23], s86, v39
	v_cmp_nlt_f32_e64 s[12:13], s87, v39
	v_fmac_f32_e32 v38, 0x32a5705f, v39
	v_fma_f32 v39, v50, s85, -v53
	v_add_f32_e32 v67, v16, v58
	v_sub_f32_e32 v16, v17, v68
	v_rndne_f32_e32 v70, v18
	v_fmac_f32_e32 v39, 0x32a5705f, v50
	v_fma_f32 v50, v51, s85, -v60
	v_add_f32_e32 v69, v16, v24
	v_sub_f32_e32 v16, v18, v70
	v_rndne_f32_e32 v72, v19
	v_fmac_f32_e32 v50, 0x32a5705f, v51
	v_mul_f32_e32 v51, 0xbfd9db23, v43
	v_add_f32_e32 v71, v16, v25
	v_sub_f32_e32 v16, v19, v72
	v_rndne_f32_e32 v74, v20
	v_mul_f32_e32 v52, 0x3fb8aa3b, v51
	v_add_f32_e32 v73, v16, v26
	v_sub_f32_e32 v16, v20, v74
	v_rndne_f32_e32 v58, v21
	v_fma_f32 v63, v51, s85, -v52
	v_add_f32_e32 v75, v16, v27
	v_sub_f32_e32 v16, v21, v58
	v_cmp_ngt_f32_e64 s[36:37], s86, v51
	v_cmp_nlt_f32_e64 s[30:31], s87, v51
	v_fmac_f32_e32 v63, 0x32a5705f, v51
	v_mul_f32_e32 v51, 0xbfd9db23, v46
	v_add_f32_e32 v59, v16, v36
	v_rndne_f32_e32 v16, v22
	v_mul_f32_e32 v64, 0x3fb8aa3b, v51
	v_sub_f32_e32 v17, v22, v16
	v_rndne_f32_e32 v18, v23
	v_fma_f32 v65, v51, s85, -v64
	v_add_f32_e32 v19, v17, v37
	v_sub_f32_e32 v17, v23, v18
	v_cmp_ngt_f32_e64 s[38:39], s86, v51
	v_cmp_nlt_f32_e64 s[34:35], s87, v51
	v_fmac_f32_e32 v65, 0x32a5705f, v51
	v_add_f32_e32 v51, v17, v38
	v_rndne_f32_e32 v17, v53
	v_sub_f32_e32 v20, v53, v17
	v_rndne_f32_e32 v23, v60
	v_add_f32_e32 v39, v20, v39
	v_sub_f32_e32 v20, v60, v23
	v_mul_f32_e32 v60, 0xbfd9db23, v47
	v_mul_f32_e32 v27, 0x3fb8aa3b, v60
	v_rndne_f32_e32 v25, v61
	v_fma_f32 v37, v60, s85, -v27
	v_rndne_f32_e32 v38, v27
	v_sub_f32_e32 v21, v61, v25
	v_fmac_f32_e32 v37, 0x32a5705f, v60
	v_sub_f32_e32 v27, v27, v38
	v_mul_f32_e32 v61, 0xbfd9db23, v48
	v_rndne_f32_e32 v26, v52
	v_add_f32_e32 v27, v27, v37
	v_mul_f32_e32 v37, 0x3fb8aa3b, v61
	v_add_f32_e32 v20, v20, v50
	v_sub_f32_e32 v22, v52, v26
	v_fma_f32 v50, v61, s85, -v37
	v_rndne_f32_e32 v52, v37
	v_add_f32_e32 v21, v21, v62
	v_fmac_f32_e32 v50, 0x32a5705f, v61
	v_sub_f32_e32 v37, v37, v52
	v_mul_f32_e32 v62, 0xbfd9db23, v49
	v_add_f32_e32 v37, v37, v50
	v_mul_f32_e32 v50, 0x3fb8aa3b, v62
	v_add_f32_e32 v22, v22, v63
	v_fma_f32 v63, v62, s85, -v50
	v_rndne_f32_e32 v53, v50
	v_rndne_f32_e32 v36, v64
	v_fmac_f32_e32 v63, 0x32a5705f, v62
	v_sub_f32_e32 v50, v50, v53
	v_sub_f32_e32 v24, v64, v36
	v_add_f32_e32 v50, v50, v63
	v_cvt_i32_f32_e32 v63, v66
	v_exp_f32_e32 v64, v67
	v_add_f32_e32 v24, v24, v65
	v_exp_f32_e32 v65, v69
	v_cvt_i32_f32_e32 v58, v58
	v_ldexp_f32 v63, v64, v63
	v_cvt_i32_f32_e32 v64, v68
	v_exp_f32_e32 v59, v59
	v_cvt_i32_f32_e32 v16, v16
	v_exp_f32_e32 v19, v19
	v_ldexp_f32 v64, v65, v64
	v_cvt_i32_f32_e32 v65, v70
	v_exp_f32_e32 v66, v71
	v_ldexp_f32 v58, v59, v58
	v_ldexp_f32 v59, v19, v16
	v_cvt_i32_f32_e32 v16, v18
	v_exp_f32_e32 v18, v51
	v_ldexp_f32 v65, v66, v65
	v_cvt_i32_f32_e32 v66, v72
	v_exp_f32_e32 v67, v73
	v_cndmask_b32_e64 v51, 0, v58, s[40:41]
	v_ldexp_f32 v58, v18, v16
	v_cvt_i32_f32_e32 v16, v17
	v_exp_f32_e32 v17, v39
	v_ldexp_f32 v66, v67, v66
	v_cvt_i32_f32_e32 v67, v74
	v_exp_f32_e32 v68, v75
	v_ldexp_f32 v39, v17, v16
	v_pk_add_f32 v[16:17], v[0:1], 1.0 op_sel_hi:[1,0]
	v_pk_add_f32 v[0:1], v[6:7], 1.0 op_sel_hi:[1,0]
	;; [unrolled: 1-line block ×5, first 2 shown]
	v_cvt_i32_f32_e32 v12, v23
	v_cvt_i32_f32_e32 v13, v25
	;; [unrolled: 1-line block ×7, first 2 shown]
	v_exp_f32_e32 v20, v20
	v_exp_f32_e32 v21, v21
	v_exp_f32_e32 v22, v22
	v_exp_f32_e32 v24, v24
	v_exp_f32_e32 v27, v27
	v_exp_f32_e32 v36, v37
	v_exp_f32_e32 v37, v50
	v_ldexp_f32 v67, v68, v67
	v_cmp_ngt_f32_e64 s[52:53], s86, v60
	v_cmp_nlt_f32_e64 s[54:55], s87, v60
	v_cndmask_b32_e64 v60, 0, v63, s[42:43]
	v_cmp_ngt_f32_e64 s[56:57], s86, v61
	v_cndmask_b32_e64 v63, 0, v64, s[44:45]
	v_cmp_nlt_f32_e64 s[42:43], s87, v61
	v_cndmask_b32_e64 v61, 0, v65, s[46:47]
	v_cmp_ngt_f32_e64 s[46:47], s86, v62
	v_cndmask_b32_e64 v64, 0, v66, s[48:49]
	v_cmp_nlt_f32_e64 s[44:45], s87, v62
	v_cndmask_b32_e64 v62, 0, v67, s[50:51]
	v_ldexp_f32 v12, v20, v12
	v_ldexp_f32 v13, v21, v13
	;; [unrolled: 1-line block ×7, first 2 shown]
	v_cndmask_b32_e64 v23, 0, v59, s[20:21]
	v_cndmask_b32_e64 v24, 0, v58, s[22:23]
	;; [unrolled: 1-line block ×10, first 2 shown]
	v_cndmask_b32_e32 v26, v56, v60, vcc
	v_cndmask_b32_e64 v27, v56, v63, s[0:1]
	v_cndmask_b32_e64 v36, v56, v61, s[2:3]
	v_cndmask_b32_e64 v37, v56, v64, s[4:5]
	v_cndmask_b32_e64 v38, v56, v62, s[6:7]
	v_cndmask_b32_e64 v39, v56, v51, s[8:9]
	v_cndmask_b32_e64 v23, v56, v23, s[10:11]
	v_cndmask_b32_e64 v24, v56, v24, s[12:13]
	v_cndmask_b32_e64 v25, v56, v25, s[14:15]
	v_cndmask_b32_e64 v12, v56, v12, s[16:17]
	v_cndmask_b32_e64 v13, v56, v13, s[18:19]
	v_cndmask_b32_e64 v14, v56, v14, s[30:31]
	v_cndmask_b32_e64 v15, v56, v15, s[34:35]
	v_cndmask_b32_e64 v20, v56, v20, s[54:55]
	v_cndmask_b32_e64 v21, v56, v21, s[42:43]
	v_cndmask_b32_e64 v22, v56, v22, s[44:45]
	v_add_f32_e32 v26, 1.0, v26
	v_add_f32_e32 v27, 1.0, v27
	;; [unrolled: 1-line block ×16, first 2 shown]
	v_rcp_f32_e32 v12, v26
	v_rcp_f32_e32 v13, v27
	;; [unrolled: 1-line block ×16, first 2 shown]
	v_pk_add_f32 v[4:5], v[4:5], 1.0 op_sel_hi:[1,0]
	v_pk_mul_f32 v[12:13], v[28:29], v[12:13]
	v_pk_mul_f32 v[14:15], v[30:31], v[14:15]
	;; [unrolled: 1-line block ×4, first 2 shown]
	v_pk_add_f32 v[8:9], v[8:9], 1.0 op_sel_hi:[1,0]
	v_pk_add_f32 v[10:11], v[10:11], 1.0 op_sel_hi:[1,0]
	v_pk_mul_f32 v[24:25], v[40:41], v[24:25]
	v_pk_mul_f32 v[26:27], v[42:43], v[26:27]
	;; [unrolled: 1-line block ×12, first 2 shown]
	v_perm_b32 v3, v5, v4, s89
	v_perm_b32 v1, v15, v14, s89
	;; [unrolled: 1-line block ×8, first 2 shown]
	buffer_store_dwordx4 v[0:3], v54, s[60:63], 0 offen
	buffer_store_dwordx4 v[4:7], v54, s[60:63], 16 offen
	v_add_u32_e32 v54, s33, v54
	s_andn2_b64 exec, exec, s[82:83]
	s_cbranch_execnz .LBB325_8
.LBB325_9:
	s_endpgm
	.section	.rodata,"a",@progbits
	.p2align	6, 0x0
	.amdhsa_kernel _ZN5aiter30swiglu_act_and_mul_bias_kernelIftlfLi16EEEvPT0_PKT_PKT1_PKT2_il
		.amdhsa_group_segment_fixed_size 0
		.amdhsa_private_segment_fixed_size 0
		.amdhsa_kernarg_size 304
		.amdhsa_user_sgpr_count 2
		.amdhsa_user_sgpr_dispatch_ptr 0
		.amdhsa_user_sgpr_queue_ptr 0
		.amdhsa_user_sgpr_kernarg_segment_ptr 1
		.amdhsa_user_sgpr_dispatch_id 0
		.amdhsa_user_sgpr_kernarg_preload_length 0
		.amdhsa_user_sgpr_kernarg_preload_offset 0
		.amdhsa_user_sgpr_private_segment_size 0
		.amdhsa_uses_dynamic_stack 0
		.amdhsa_enable_private_segment 0
		.amdhsa_system_sgpr_workgroup_id_x 1
		.amdhsa_system_sgpr_workgroup_id_y 0
		.amdhsa_system_sgpr_workgroup_id_z 0
		.amdhsa_system_sgpr_workgroup_info 0
		.amdhsa_system_vgpr_workitem_id 0
		.amdhsa_next_free_vgpr 76
		.amdhsa_next_free_sgpr 90
		.amdhsa_accum_offset 76
		.amdhsa_reserve_vcc 1
		.amdhsa_float_round_mode_32 0
		.amdhsa_float_round_mode_16_64 0
		.amdhsa_float_denorm_mode_32 3
		.amdhsa_float_denorm_mode_16_64 3
		.amdhsa_dx10_clamp 1
		.amdhsa_ieee_mode 1
		.amdhsa_fp16_overflow 0
		.amdhsa_tg_split 0
		.amdhsa_exception_fp_ieee_invalid_op 0
		.amdhsa_exception_fp_denorm_src 0
		.amdhsa_exception_fp_ieee_div_zero 0
		.amdhsa_exception_fp_ieee_overflow 0
		.amdhsa_exception_fp_ieee_underflow 0
		.amdhsa_exception_fp_ieee_inexact 0
		.amdhsa_exception_int_div_zero 0
	.end_amdhsa_kernel
	.section	.text._ZN5aiter30swiglu_act_and_mul_bias_kernelIftlfLi16EEEvPT0_PKT_PKT1_PKT2_il,"axG",@progbits,_ZN5aiter30swiglu_act_and_mul_bias_kernelIftlfLi16EEEvPT0_PKT_PKT1_PKT2_il,comdat
.Lfunc_end325:
	.size	_ZN5aiter30swiglu_act_and_mul_bias_kernelIftlfLi16EEEvPT0_PKT_PKT1_PKT2_il, .Lfunc_end325-_ZN5aiter30swiglu_act_and_mul_bias_kernelIftlfLi16EEEvPT0_PKT_PKT1_PKT2_il
                                        ; -- End function
	.section	.AMDGPU.csdata,"",@progbits
; Kernel info:
; codeLenInByte = 3052
; NumSgprs: 96
; NumVgprs: 76
; NumAgprs: 0
; TotalNumVgprs: 76
; ScratchSize: 0
; MemoryBound: 0
; FloatMode: 240
; IeeeMode: 1
; LDSByteSize: 0 bytes/workgroup (compile time only)
; SGPRBlocks: 11
; VGPRBlocks: 9
; NumSGPRsForWavesPerEU: 96
; NumVGPRsForWavesPerEU: 76
; AccumOffset: 76
; Occupancy: 6
; WaveLimiterHint : 0
; COMPUTE_PGM_RSRC2:SCRATCH_EN: 0
; COMPUTE_PGM_RSRC2:USER_SGPR: 2
; COMPUTE_PGM_RSRC2:TRAP_HANDLER: 0
; COMPUTE_PGM_RSRC2:TGID_X_EN: 1
; COMPUTE_PGM_RSRC2:TGID_Y_EN: 0
; COMPUTE_PGM_RSRC2:TGID_Z_EN: 0
; COMPUTE_PGM_RSRC2:TIDIG_COMP_CNT: 0
; COMPUTE_PGM_RSRC3_GFX90A:ACCUM_OFFSET: 18
; COMPUTE_PGM_RSRC3_GFX90A:TG_SPLIT: 0
	.section	.text._ZN5aiter30swiglu_act_and_mul_bias_kernelIftlfLi8EEEvPT0_PKT_PKT1_PKT2_il,"axG",@progbits,_ZN5aiter30swiglu_act_and_mul_bias_kernelIftlfLi8EEEvPT0_PKT_PKT1_PKT2_il,comdat
	.protected	_ZN5aiter30swiglu_act_and_mul_bias_kernelIftlfLi8EEEvPT0_PKT_PKT1_PKT2_il ; -- Begin function _ZN5aiter30swiglu_act_and_mul_bias_kernelIftlfLi8EEEvPT0_PKT_PKT1_PKT2_il
	.globl	_ZN5aiter30swiglu_act_and_mul_bias_kernelIftlfLi8EEEvPT0_PKT_PKT1_PKT2_il
	.p2align	8
	.type	_ZN5aiter30swiglu_act_and_mul_bias_kernelIftlfLi8EEEvPT0_PKT_PKT1_PKT2_il,@function
_ZN5aiter30swiglu_act_and_mul_bias_kernelIftlfLi8EEEvPT0_PKT_PKT1_PKT2_il: ; @_ZN5aiter30swiglu_act_and_mul_bias_kernelIftlfLi8EEEvPT0_PKT_PKT1_PKT2_il
; %bb.0:
	s_load_dwordx2 s[6:7], s[0:1], 0x0
	s_load_dwordx2 s[4:5], s[0:1], 0x10
	s_load_dword s14, s[0:1], 0x20
	s_load_dwordx2 s[8:9], s[0:1], 0x28
	s_mov_b32 s3, 0
	s_lshl_b64 s[10:11], s[2:3], 3
	s_waitcnt lgkmcnt(0)
	s_add_u32 s4, s4, s10
	s_addc_u32 s5, s5, s11
	s_ashr_i32 s15, s14, 31
	s_mul_hi_u32 s3, s14, s2
	s_mul_i32 s10, s15, s2
	s_load_dwordx2 s[4:5], s[4:5], 0x0
	s_add_i32 s11, s3, s10
	s_mul_i32 s10, s14, s2
	s_lshl_b64 s[10:11], s[10:11], 1
	s_add_u32 s16, s6, s10
	s_addc_u32 s3, s7, s11
	s_add_i32 s6, s14, 1
	s_lshr_b32 s7, s6, 31
	v_mov_b64_e32 v[2:3], s[8:9]
	s_add_i32 s6, s6, s7
	s_waitcnt lgkmcnt(0)
	v_cmp_gt_i64_e64 s[10:11], s[4:5], -1
	v_cmp_lt_i64_e32 vcc, s[4:5], v[2:3]
	s_lshl_b32 s6, s6, 1
	s_and_b64 s[8:9], s[10:11], vcc
	s_and_b32 s18, s6, -4
	s_and_b32 s17, s3, 0xffff
	s_mov_b64 s[6:7], -1
	s_and_b64 vcc, exec, s[8:9]
	v_lshlrev_b32_e32 v24, 3, v0
	s_cbranch_vccnz .LBB326_5
; %bb.1:
	v_cmp_gt_i32_e32 vcc, s14, v24
	s_and_saveexec_b64 s[6:7], vcc
	s_cbranch_execz .LBB326_4
; %bb.2:
	s_load_dword s3, s[0:1], 0x3c
	v_mov_b32_e32 v25, 0
	s_mov_b32 s9, 0
	v_lshlrev_b32_e32 v1, 4, v0
	s_mov_b64 s[10:11], 0
	s_waitcnt lgkmcnt(0)
	s_and_b32 s3, s3, 0xffff
	s_lshl_b32 s8, s3, 3
	s_lshl_b32 s3, s3, 4
	s_mov_b32 s19, 0x20000
	v_mov_b32_e32 v2, v25
	v_mov_b32_e32 v3, v25
	;; [unrolled: 1-line block ×4, first 2 shown]
	v_mov_b64_e32 v[6:7], v[24:25]
.LBB326_3:                              ; =>This Inner Loop Header: Depth=1
	v_lshl_add_u64 v[6:7], s[8:9], 0, v[6:7]
	v_cmp_le_i64_e32 vcc, s[14:15], v[6:7]
	buffer_store_dwordx4 v[2:5], v1, s[16:19], 0 offen
	s_or_b64 s[10:11], vcc, s[10:11]
	v_add_u32_e32 v1, s3, v1
	s_andn2_b64 exec, exec, s[10:11]
	s_cbranch_execnz .LBB326_3
.LBB326_4:
	s_or_b64 exec, exec, s[6:7]
	s_mov_b64 s[6:7], 0
.LBB326_5:
	s_andn2_b64 vcc, exec, s[6:7]
	s_cbranch_vccnz .LBB326_9
; %bb.6:
	v_cmp_gt_i32_e32 vcc, s14, v24
	s_and_saveexec_b64 s[6:7], vcc
	s_cbranch_execz .LBB326_9
; %bb.7:
	s_load_dwordx2 s[6:7], s[0:1], 0x8
	s_load_dwordx2 s[8:9], s[0:1], 0x18
	s_mul_i32 s3, s14, s5
	s_mul_hi_u32 s5, s14, s4
	s_add_i32 s3, s5, s3
	s_mul_i32 s5, s15, s4
	s_add_i32 s5, s3, s5
	s_mul_i32 s4, s14, s4
	s_lshl_b32 s22, s14, 2
	s_lshl_b64 s[4:5], s[4:5], 3
	s_waitcnt lgkmcnt(0)
	s_add_u32 s20, s8, s4
	s_load_dword s10, s[0:1], 0x3c
	s_addc_u32 s3, s9, s5
	s_lshl_b64 s[0:1], s[14:15], 2
	s_add_u32 s24, s20, s0
	s_addc_u32 s4, s3, s1
	s_and_b32 s21, s3, 0xffff
	s_and_b32 s25, s4, 0xffff
	s_mul_i32 s3, s2, s15
	s_mul_hi_u32 s4, s2, s14
	s_add_i32 s3, s4, s3
	s_mul_i32 s2, s2, s14
	s_lshl_b64 s[2:3], s[2:3], 3
	s_add_u32 s28, s6, s2
	s_addc_u32 s2, s7, s3
	s_add_u32 s36, s28, s0
	s_addc_u32 s0, s2, s1
	s_mov_b32 s19, 0x20000
	s_and_b32 s37, s0, 0xffff
	s_waitcnt lgkmcnt(0)
	s_and_b32 s0, s10, 0xffff
	s_mov_b32 s23, s19
	s_and_b32 s29, s2, 0xffff
	s_mov_b32 s35, 0
	v_mov_b32_e32 v25, 0
	s_lshl_b32 s34, s0, 3
	v_lshlrev_b32_e32 v26, 4, v0
	s_lshl_b32 s33, s0, 4
	v_lshlrev_b32_e32 v27, 5, v0
	s_lshl_b32 s42, s0, 5
	s_mov_b64 s[40:41], 0
	s_mov_b32 s30, s22
	s_mov_b32 s31, s19
	s_mov_b32 s43, 0x3fb8aa3b
	s_mov_b32 s44, 0xc2ce8ed0
	s_mov_b32 s45, 0x42b17218
	v_mov_b32_e32 v28, 0x7f800000
	s_mov_b32 s46, 0xc0e00000
	v_mov_b32_e32 v29, 0x40e00000
	s_mov_b32 s47, 0x7060302
	s_mov_b32 s38, s22
	;; [unrolled: 1-line block ×3, first 2 shown]
.LBB326_8:                              ; =>This Inner Loop Header: Depth=1
	buffer_load_dwordx4 v[12:15], v27, s[20:23], 0 offen
	buffer_load_dwordx4 v[16:19], v27, s[28:31], 0 offen
	;; [unrolled: 1-line block ×6, first 2 shown]
	s_mov_b32 s26, s22
	s_mov_b32 s27, s23
	buffer_load_dwordx4 v[30:33], v27, s[24:27], 0 offen
	buffer_load_dwordx4 v[34:37], v27, s[24:27], 16 offen
	v_lshl_add_u64 v[24:25], s[34:35], 0, v[24:25]
	v_cmp_le_i64_e32 vcc, s[14:15], v[24:25]
	s_or_b64 s[40:41], vcc, s[40:41]
	v_add_u32_e32 v27, s42, v27
	s_waitcnt vmcnt(6)
	v_pk_add_f32 v[14:15], v[18:19], v[14:15]
	v_pk_add_f32 v[12:13], v[16:17], v[12:13]
	s_waitcnt vmcnt(4)
	v_pk_add_f32 v[16:17], v[10:11], v[22:23]
	v_pk_add_f32 v[18:19], v[8:9], v[20:21]
	v_min_f32_e32 v9, 0x40e00000, v13
	v_min_f32_e32 v8, 0x40e00000, v12
	;; [unrolled: 1-line block ×8, first 2 shown]
	v_mul_f32_e32 v16, 0xbfd9db23, v8
	v_mul_f32_e32 v17, 0xbfd9db23, v9
	;; [unrolled: 1-line block ×8, first 2 shown]
	s_waitcnt vmcnt(1)
	v_pk_add_f32 v[2:3], v[2:3], v[32:33]
	s_waitcnt vmcnt(0)
	v_pk_add_f32 v[6:7], v[6:7], v[36:37]
	v_pk_add_f32 v[0:1], v[0:1], v[30:31]
	;; [unrolled: 1-line block ×3, first 2 shown]
	v_mul_f32_e32 v30, 0x3fb8aa3b, v16
	v_mul_f32_e32 v31, 0x3fb8aa3b, v17
	;; [unrolled: 1-line block ×8, first 2 shown]
	v_fma_f32 v38, v16, s43, -v30
	v_rndne_f32_e32 v39, v30
	v_fma_f32 v40, v17, s43, -v31
	v_rndne_f32_e32 v41, v31
	v_fma_f32 v42, v18, s43, -v32
	v_rndne_f32_e32 v43, v32
	v_fma_f32 v44, v19, s43, -v33
	v_rndne_f32_e32 v45, v33
	v_fma_f32 v46, v20, s43, -v34
	v_rndne_f32_e32 v47, v34
	v_fma_f32 v48, v21, s43, -v35
	v_rndne_f32_e32 v49, v35
	v_fma_f32 v50, v22, s43, -v36
	v_rndne_f32_e32 v51, v36
	v_fma_f32 v52, v23, s43, -v37
	v_rndne_f32_e32 v53, v37
	v_fmac_f32_e32 v38, 0x32a5705f, v16
	v_sub_f32_e32 v30, v30, v39
	v_fmac_f32_e32 v40, 0x32a5705f, v17
	v_sub_f32_e32 v31, v31, v41
	;; [unrolled: 2-line block ×8, first 2 shown]
	v_add_f32_e32 v30, v30, v38
	v_add_f32_e32 v31, v31, v40
	;; [unrolled: 1-line block ×8, first 2 shown]
	v_cvt_i32_f32_e32 v39, v39
	v_cvt_i32_f32_e32 v41, v41
	;; [unrolled: 1-line block ×8, first 2 shown]
	v_exp_f32_e32 v30, v30
	v_exp_f32_e32 v31, v31
	;; [unrolled: 1-line block ×8, first 2 shown]
	v_ldexp_f32 v30, v30, v39
	v_ldexp_f32 v31, v31, v41
	v_cmp_ngt_f32_e32 vcc, s44, v17
	v_ldexp_f32 v32, v32, v43
	v_cmp_ngt_f32_e64 s[0:1], s44, v18
	v_ldexp_f32 v33, v33, v45
	v_cmp_ngt_f32_e64 s[2:3], s44, v19
	v_ldexp_f32 v34, v34, v47
	v_cmp_ngt_f32_e64 s[4:5], s44, v20
	v_ldexp_f32 v35, v35, v49
	v_cmp_ngt_f32_e64 s[6:7], s44, v21
	v_ldexp_f32 v36, v36, v51
	v_cmp_ngt_f32_e64 s[8:9], s44, v22
	v_ldexp_f32 v37, v37, v53
	v_cmp_ngt_f32_e64 s[10:11], s44, v23
	v_cmp_ngt_f32_e64 s[12:13], s44, v16
	v_cndmask_b32_e32 v31, 0, v31, vcc
	v_cmp_nlt_f32_e32 vcc, s45, v17
	v_cndmask_b32_e64 v30, 0, v30, s[12:13]
	v_cndmask_b32_e64 v17, 0, v32, s[0:1]
	v_cmp_nlt_f32_e64 s[0:1], s45, v18
	v_cndmask_b32_e64 v18, 0, v33, s[2:3]
	v_cmp_nlt_f32_e64 s[2:3], s45, v19
	;; [unrolled: 2-line block ×6, first 2 shown]
	v_cmp_nlt_f32_e64 s[12:13], s45, v16
	v_cndmask_b32_e32 v23, v28, v31, vcc
	v_cndmask_b32_e64 v17, v28, v17, s[0:1]
	v_cndmask_b32_e64 v16, v28, v30, s[12:13]
	;; [unrolled: 1-line block ×7, first 2 shown]
	v_add_f32_e32 v16, 1.0, v16
	v_add_f32_e32 v23, 1.0, v23
	;; [unrolled: 1-line block ×8, first 2 shown]
	v_rcp_f32_e32 v16, v16
	v_rcp_f32_e32 v17, v23
	;; [unrolled: 1-line block ×8, first 2 shown]
	v_med3_f32 v3, v3, s46, v29
	v_med3_f32 v2, v2, s46, v29
	;; [unrolled: 1-line block ×8, first 2 shown]
	v_pk_add_f32 v[6:7], v[6:7], 1.0 op_sel_hi:[1,0]
	v_pk_add_f32 v[2:3], v[2:3], 1.0 op_sel_hi:[1,0]
	;; [unrolled: 1-line block ×4, first 2 shown]
	v_pk_mul_f32 v[8:9], v[8:9], v[16:17]
	v_pk_mul_f32 v[10:11], v[10:11], v[18:19]
	;; [unrolled: 1-line block ×8, first 2 shown]
	v_perm_b32 v3, v3, v2, s47
	v_perm_b32 v1, v11, v10, s47
	;; [unrolled: 1-line block ×4, first 2 shown]
	buffer_store_dwordx4 v[0:3], v26, s[16:19], 0 offen
	v_add_u32_e32 v26, s33, v26
	s_andn2_b64 exec, exec, s[40:41]
	s_cbranch_execnz .LBB326_8
.LBB326_9:
	s_endpgm
	.section	.rodata,"a",@progbits
	.p2align	6, 0x0
	.amdhsa_kernel _ZN5aiter30swiglu_act_and_mul_bias_kernelIftlfLi8EEEvPT0_PKT_PKT1_PKT2_il
		.amdhsa_group_segment_fixed_size 0
		.amdhsa_private_segment_fixed_size 0
		.amdhsa_kernarg_size 304
		.amdhsa_user_sgpr_count 2
		.amdhsa_user_sgpr_dispatch_ptr 0
		.amdhsa_user_sgpr_queue_ptr 0
		.amdhsa_user_sgpr_kernarg_segment_ptr 1
		.amdhsa_user_sgpr_dispatch_id 0
		.amdhsa_user_sgpr_kernarg_preload_length 0
		.amdhsa_user_sgpr_kernarg_preload_offset 0
		.amdhsa_user_sgpr_private_segment_size 0
		.amdhsa_uses_dynamic_stack 0
		.amdhsa_enable_private_segment 0
		.amdhsa_system_sgpr_workgroup_id_x 1
		.amdhsa_system_sgpr_workgroup_id_y 0
		.amdhsa_system_sgpr_workgroup_id_z 0
		.amdhsa_system_sgpr_workgroup_info 0
		.amdhsa_system_vgpr_workitem_id 0
		.amdhsa_next_free_vgpr 54
		.amdhsa_next_free_sgpr 48
		.amdhsa_accum_offset 56
		.amdhsa_reserve_vcc 1
		.amdhsa_float_round_mode_32 0
		.amdhsa_float_round_mode_16_64 0
		.amdhsa_float_denorm_mode_32 3
		.amdhsa_float_denorm_mode_16_64 3
		.amdhsa_dx10_clamp 1
		.amdhsa_ieee_mode 1
		.amdhsa_fp16_overflow 0
		.amdhsa_tg_split 0
		.amdhsa_exception_fp_ieee_invalid_op 0
		.amdhsa_exception_fp_denorm_src 0
		.amdhsa_exception_fp_ieee_div_zero 0
		.amdhsa_exception_fp_ieee_overflow 0
		.amdhsa_exception_fp_ieee_underflow 0
		.amdhsa_exception_fp_ieee_inexact 0
		.amdhsa_exception_int_div_zero 0
	.end_amdhsa_kernel
	.section	.text._ZN5aiter30swiglu_act_and_mul_bias_kernelIftlfLi8EEEvPT0_PKT_PKT1_PKT2_il,"axG",@progbits,_ZN5aiter30swiglu_act_and_mul_bias_kernelIftlfLi8EEEvPT0_PKT_PKT1_PKT2_il,comdat
.Lfunc_end326:
	.size	_ZN5aiter30swiglu_act_and_mul_bias_kernelIftlfLi8EEEvPT0_PKT_PKT1_PKT2_il, .Lfunc_end326-_ZN5aiter30swiglu_act_and_mul_bias_kernelIftlfLi8EEEvPT0_PKT_PKT1_PKT2_il
                                        ; -- End function
	.section	.AMDGPU.csdata,"",@progbits
; Kernel info:
; codeLenInByte = 1820
; NumSgprs: 54
; NumVgprs: 54
; NumAgprs: 0
; TotalNumVgprs: 54
; ScratchSize: 0
; MemoryBound: 0
; FloatMode: 240
; IeeeMode: 1
; LDSByteSize: 0 bytes/workgroup (compile time only)
; SGPRBlocks: 6
; VGPRBlocks: 6
; NumSGPRsForWavesPerEU: 54
; NumVGPRsForWavesPerEU: 54
; AccumOffset: 56
; Occupancy: 8
; WaveLimiterHint : 0
; COMPUTE_PGM_RSRC2:SCRATCH_EN: 0
; COMPUTE_PGM_RSRC2:USER_SGPR: 2
; COMPUTE_PGM_RSRC2:TRAP_HANDLER: 0
; COMPUTE_PGM_RSRC2:TGID_X_EN: 1
; COMPUTE_PGM_RSRC2:TGID_Y_EN: 0
; COMPUTE_PGM_RSRC2:TGID_Z_EN: 0
; COMPUTE_PGM_RSRC2:TIDIG_COMP_CNT: 0
; COMPUTE_PGM_RSRC3_GFX90A:ACCUM_OFFSET: 13
; COMPUTE_PGM_RSRC3_GFX90A:TG_SPLIT: 0
	.section	.text._ZN5aiter30swiglu_act_and_mul_bias_kernelIftlfLi4EEEvPT0_PKT_PKT1_PKT2_il,"axG",@progbits,_ZN5aiter30swiglu_act_and_mul_bias_kernelIftlfLi4EEEvPT0_PKT_PKT1_PKT2_il,comdat
	.protected	_ZN5aiter30swiglu_act_and_mul_bias_kernelIftlfLi4EEEvPT0_PKT_PKT1_PKT2_il ; -- Begin function _ZN5aiter30swiglu_act_and_mul_bias_kernelIftlfLi4EEEvPT0_PKT_PKT1_PKT2_il
	.globl	_ZN5aiter30swiglu_act_and_mul_bias_kernelIftlfLi4EEEvPT0_PKT_PKT1_PKT2_il
	.p2align	8
	.type	_ZN5aiter30swiglu_act_and_mul_bias_kernelIftlfLi4EEEvPT0_PKT_PKT1_PKT2_il,@function
_ZN5aiter30swiglu_act_and_mul_bias_kernelIftlfLi4EEEvPT0_PKT_PKT1_PKT2_il: ; @_ZN5aiter30swiglu_act_and_mul_bias_kernelIftlfLi4EEEvPT0_PKT_PKT1_PKT2_il
; %bb.0:
	s_load_dwordx2 s[8:9], s[0:1], 0x0
	s_load_dwordx2 s[4:5], s[0:1], 0x10
	s_load_dword s6, s[0:1], 0x20
	s_load_dwordx2 s[14:15], s[0:1], 0x28
	s_mov_b32 s3, 0
	s_lshl_b64 s[10:11], s[2:3], 3
	s_waitcnt lgkmcnt(0)
	s_add_u32 s4, s4, s10
	s_addc_u32 s5, s5, s11
	s_ashr_i32 s7, s6, 31
	s_mul_hi_u32 s3, s6, s2
	s_mul_i32 s10, s7, s2
	s_load_dwordx2 s[4:5], s[4:5], 0x0
	s_add_i32 s11, s3, s10
	s_mul_i32 s10, s6, s2
	s_lshl_b64 s[10:11], s[10:11], 1
	s_add_u32 s8, s8, s10
	s_addc_u32 s3, s9, s11
	s_add_i32 s9, s6, 1
	s_lshr_b32 s10, s9, 31
	v_mov_b64_e32 v[2:3], s[14:15]
	s_add_i32 s9, s9, s10
	s_waitcnt lgkmcnt(0)
	v_cmp_gt_i64_e64 s[16:17], s[4:5], -1
	v_cmp_lt_i64_e32 vcc, s[4:5], v[2:3]
	s_lshl_b32 s9, s9, 1
	s_and_b64 s[14:15], s[16:17], vcc
	s_and_b32 s10, s9, -4
	s_and_b32 s9, s3, 0xffff
	s_mov_b64 s[12:13], -1
	s_and_b64 vcc, exec, s[14:15]
	v_lshlrev_b32_e32 v12, 2, v0
	s_cbranch_vccnz .LBB327_5
; %bb.1:
	v_cmp_gt_i32_e32 vcc, s6, v12
	s_and_saveexec_b64 s[12:13], vcc
	s_cbranch_execz .LBB327_4
; %bb.2:
	s_load_dword s3, s[0:1], 0x3c
	v_mov_b32_e32 v13, 0
	s_mov_b32 s15, 0
	v_lshlrev_b32_e32 v1, 3, v0
	s_mov_b64 s[16:17], 0
	s_waitcnt lgkmcnt(0)
	s_and_b32 s3, s3, 0xffff
	s_lshl_b32 s14, s3, 2
	s_lshl_b32 s3, s3, 3
	s_mov_b32 s11, 0x20000
	v_mov_b32_e32 v2, v13
	v_mov_b32_e32 v3, v13
	v_mov_b64_e32 v[4:5], v[12:13]
.LBB327_3:                              ; =>This Inner Loop Header: Depth=1
	v_lshl_add_u64 v[4:5], s[14:15], 0, v[4:5]
	v_cmp_le_i64_e32 vcc, s[6:7], v[4:5]
	buffer_store_dwordx2 v[2:3], v1, s[8:11], 0 offen
	s_or_b64 s[16:17], vcc, s[16:17]
	v_add_u32_e32 v1, s3, v1
	s_andn2_b64 exec, exec, s[16:17]
	s_cbranch_execnz .LBB327_3
.LBB327_4:
	s_or_b64 exec, exec, s[12:13]
	s_mov_b64 s[12:13], 0
.LBB327_5:
	s_andn2_b64 vcc, exec, s[12:13]
	s_cbranch_vccnz .LBB327_9
; %bb.6:
	v_cmp_gt_i32_e32 vcc, s6, v12
	s_and_saveexec_b64 s[12:13], vcc
	s_cbranch_execz .LBB327_9
; %bb.7:
	s_load_dwordx2 s[18:19], s[0:1], 0x8
	s_load_dwordx2 s[12:13], s[0:1], 0x18
	s_mul_i32 s3, s6, s5
	s_mul_hi_u32 s5, s6, s4
	s_add_i32 s3, s5, s3
	s_mul_i32 s5, s7, s4
	s_add_i32 s5, s3, s5
	s_mul_i32 s4, s6, s4
	s_lshl_b32 s14, s6, 2
	s_lshl_b64 s[4:5], s[4:5], 3
	s_waitcnt lgkmcnt(0)
	s_add_u32 s12, s12, s4
	s_load_dword s22, s[0:1], 0x3c
	s_addc_u32 s3, s13, s5
	s_lshl_b64 s[0:1], s[6:7], 2
	s_add_u32 s16, s12, s0
	s_addc_u32 s4, s3, s1
	s_and_b32 s13, s3, 0xffff
	s_and_b32 s17, s4, 0xffff
	s_mul_i32 s3, s2, s7
	s_mul_hi_u32 s4, s2, s6
	s_add_i32 s3, s4, s3
	s_mul_i32 s2, s2, s6
	s_lshl_b64 s[2:3], s[2:3], 3
	s_add_u32 s20, s18, s2
	s_addc_u32 s2, s19, s3
	s_add_u32 s24, s20, s0
	s_addc_u32 s0, s2, s1
	s_mov_b32 s11, 0x20000
	s_and_b32 s25, s0, 0xffff
	s_waitcnt lgkmcnt(0)
	s_and_b32 s0, s22, 0xffff
	s_mov_b32 s15, s11
	s_and_b32 s21, s2, 0xffff
	s_mov_b32 s29, 0
	v_mov_b32_e32 v13, 0
	s_lshl_b32 s28, s0, 2
	v_lshlrev_b32_e32 v14, 3, v0
	s_lshl_b32 s33, s0, 3
	v_lshlrev_b32_e32 v15, 4, v0
	s_lshl_b32 s34, s0, 4
	s_mov_b64 s[30:31], 0
	s_mov_b32 s22, s14
	s_mov_b32 s23, s11
	;; [unrolled: 1-line block ×5, first 2 shown]
	v_mov_b32_e32 v16, 0x7f800000
	s_mov_b32 s38, 0xc0e00000
	v_mov_b32_e32 v17, 0x40e00000
	s_mov_b32 s39, 0x7060302
	s_mov_b32 s26, s14
	;; [unrolled: 1-line block ×3, first 2 shown]
.LBB327_8:                              ; =>This Inner Loop Header: Depth=1
	buffer_load_dwordx4 v[4:7], v15, s[12:15], 0 offen
	buffer_load_dwordx4 v[8:11], v15, s[20:23], 0 offen
	;; [unrolled: 1-line block ×3, first 2 shown]
	s_mov_b32 s18, s14
	s_mov_b32 s19, s15
	buffer_load_dwordx4 v[18:21], v15, s[16:19], 0 offen
	v_lshl_add_u64 v[12:13], s[28:29], 0, v[12:13]
	v_cmp_le_i64_e32 vcc, s[6:7], v[12:13]
	s_or_b64 s[30:31], vcc, s[30:31]
	v_add_u32_e32 v15, s34, v15
	s_waitcnt vmcnt(2)
	v_pk_add_f32 v[6:7], v[10:11], v[6:7]
	v_pk_add_f32 v[4:5], v[8:9], v[4:5]
	v_min_f32_e32 v7, 0x40e00000, v7
	v_min_f32_e32 v5, 0x40e00000, v5
	;; [unrolled: 1-line block ×4, first 2 shown]
	v_mul_f32_e32 v8, 0xbfd9db23, v4
	v_mul_f32_e32 v9, 0xbfd9db23, v5
	;; [unrolled: 1-line block ×4, first 2 shown]
	s_waitcnt vmcnt(0)
	v_pk_add_f32 v[2:3], v[2:3], v[20:21]
	v_pk_add_f32 v[0:1], v[0:1], v[18:19]
	v_mul_f32_e32 v18, 0x3fb8aa3b, v8
	v_mul_f32_e32 v19, 0x3fb8aa3b, v9
	;; [unrolled: 1-line block ×4, first 2 shown]
	v_fma_f32 v22, v8, s35, -v18
	v_rndne_f32_e32 v23, v18
	v_fma_f32 v24, v9, s35, -v19
	v_rndne_f32_e32 v25, v19
	;; [unrolled: 2-line block ×4, first 2 shown]
	v_fmac_f32_e32 v22, 0x32a5705f, v8
	v_sub_f32_e32 v18, v18, v23
	v_fmac_f32_e32 v24, 0x32a5705f, v9
	v_sub_f32_e32 v19, v19, v25
	;; [unrolled: 2-line block ×4, first 2 shown]
	v_add_f32_e32 v18, v18, v22
	v_add_f32_e32 v19, v19, v24
	v_add_f32_e32 v20, v20, v26
	v_add_f32_e32 v21, v21, v28
	v_cvt_i32_f32_e32 v23, v23
	v_cvt_i32_f32_e32 v25, v25
	;; [unrolled: 1-line block ×4, first 2 shown]
	v_exp_f32_e32 v18, v18
	v_exp_f32_e32 v19, v19
	;; [unrolled: 1-line block ×4, first 2 shown]
	v_ldexp_f32 v18, v18, v23
	v_ldexp_f32 v19, v19, v25
	v_cmp_ngt_f32_e32 vcc, s36, v9
	v_ldexp_f32 v20, v20, v27
	v_cmp_ngt_f32_e64 s[0:1], s36, v10
	v_ldexp_f32 v21, v21, v29
	v_cmp_ngt_f32_e64 s[2:3], s36, v11
	v_cmp_ngt_f32_e64 s[4:5], s36, v8
	v_cndmask_b32_e32 v19, 0, v19, vcc
	v_cmp_nlt_f32_e32 vcc, s37, v9
	v_cndmask_b32_e64 v18, 0, v18, s[4:5]
	v_cndmask_b32_e64 v9, 0, v20, s[0:1]
	v_cmp_nlt_f32_e64 s[0:1], s37, v10
	v_cndmask_b32_e64 v10, 0, v21, s[2:3]
	v_cmp_nlt_f32_e64 s[2:3], s37, v11
	v_cmp_nlt_f32_e64 s[4:5], s37, v8
	v_cndmask_b32_e32 v11, v16, v19, vcc
	v_cndmask_b32_e64 v9, v16, v9, s[0:1]
	v_cndmask_b32_e64 v8, v16, v18, s[4:5]
	;; [unrolled: 1-line block ×3, first 2 shown]
	v_add_f32_e32 v8, 1.0, v8
	v_add_f32_e32 v11, 1.0, v11
	;; [unrolled: 1-line block ×4, first 2 shown]
	v_rcp_f32_e32 v8, v8
	v_rcp_f32_e32 v9, v11
	;; [unrolled: 1-line block ×4, first 2 shown]
	v_med3_f32 v3, v3, s38, v17
	v_med3_f32 v2, v2, s38, v17
	;; [unrolled: 1-line block ×4, first 2 shown]
	v_pk_add_f32 v[2:3], v[2:3], 1.0 op_sel_hi:[1,0]
	v_pk_add_f32 v[0:1], v[0:1], 1.0 op_sel_hi:[1,0]
	v_pk_mul_f32 v[4:5], v[4:5], v[8:9]
	v_pk_mul_f32 v[6:7], v[6:7], v[10:11]
	;; [unrolled: 1-line block ×4, first 2 shown]
	s_nop 0
	v_perm_b32 v3, v3, v2, s39
	v_perm_b32 v2, v1, v0, s39
	buffer_store_dwordx2 v[2:3], v14, s[8:11], 0 offen
	v_add_u32_e32 v14, s33, v14
	s_andn2_b64 exec, exec, s[30:31]
	s_cbranch_execnz .LBB327_8
.LBB327_9:
	s_endpgm
	.section	.rodata,"a",@progbits
	.p2align	6, 0x0
	.amdhsa_kernel _ZN5aiter30swiglu_act_and_mul_bias_kernelIftlfLi4EEEvPT0_PKT_PKT1_PKT2_il
		.amdhsa_group_segment_fixed_size 0
		.amdhsa_private_segment_fixed_size 0
		.amdhsa_kernarg_size 304
		.amdhsa_user_sgpr_count 2
		.amdhsa_user_sgpr_dispatch_ptr 0
		.amdhsa_user_sgpr_queue_ptr 0
		.amdhsa_user_sgpr_kernarg_segment_ptr 1
		.amdhsa_user_sgpr_dispatch_id 0
		.amdhsa_user_sgpr_kernarg_preload_length 0
		.amdhsa_user_sgpr_kernarg_preload_offset 0
		.amdhsa_user_sgpr_private_segment_size 0
		.amdhsa_uses_dynamic_stack 0
		.amdhsa_enable_private_segment 0
		.amdhsa_system_sgpr_workgroup_id_x 1
		.amdhsa_system_sgpr_workgroup_id_y 0
		.amdhsa_system_sgpr_workgroup_id_z 0
		.amdhsa_system_sgpr_workgroup_info 0
		.amdhsa_system_vgpr_workitem_id 0
		.amdhsa_next_free_vgpr 30
		.amdhsa_next_free_sgpr 40
		.amdhsa_accum_offset 32
		.amdhsa_reserve_vcc 1
		.amdhsa_float_round_mode_32 0
		.amdhsa_float_round_mode_16_64 0
		.amdhsa_float_denorm_mode_32 3
		.amdhsa_float_denorm_mode_16_64 3
		.amdhsa_dx10_clamp 1
		.amdhsa_ieee_mode 1
		.amdhsa_fp16_overflow 0
		.amdhsa_tg_split 0
		.amdhsa_exception_fp_ieee_invalid_op 0
		.amdhsa_exception_fp_denorm_src 0
		.amdhsa_exception_fp_ieee_div_zero 0
		.amdhsa_exception_fp_ieee_overflow 0
		.amdhsa_exception_fp_ieee_underflow 0
		.amdhsa_exception_fp_ieee_inexact 0
		.amdhsa_exception_int_div_zero 0
	.end_amdhsa_kernel
	.section	.text._ZN5aiter30swiglu_act_and_mul_bias_kernelIftlfLi4EEEvPT0_PKT_PKT1_PKT2_il,"axG",@progbits,_ZN5aiter30swiglu_act_and_mul_bias_kernelIftlfLi4EEEvPT0_PKT_PKT1_PKT2_il,comdat
.Lfunc_end327:
	.size	_ZN5aiter30swiglu_act_and_mul_bias_kernelIftlfLi4EEEvPT0_PKT_PKT1_PKT2_il, .Lfunc_end327-_ZN5aiter30swiglu_act_and_mul_bias_kernelIftlfLi4EEEvPT0_PKT_PKT1_PKT2_il
                                        ; -- End function
	.section	.AMDGPU.csdata,"",@progbits
; Kernel info:
; codeLenInByte = 1216
; NumSgprs: 46
; NumVgprs: 30
; NumAgprs: 0
; TotalNumVgprs: 30
; ScratchSize: 0
; MemoryBound: 0
; FloatMode: 240
; IeeeMode: 1
; LDSByteSize: 0 bytes/workgroup (compile time only)
; SGPRBlocks: 5
; VGPRBlocks: 3
; NumSGPRsForWavesPerEU: 46
; NumVGPRsForWavesPerEU: 30
; AccumOffset: 32
; Occupancy: 8
; WaveLimiterHint : 0
; COMPUTE_PGM_RSRC2:SCRATCH_EN: 0
; COMPUTE_PGM_RSRC2:USER_SGPR: 2
; COMPUTE_PGM_RSRC2:TRAP_HANDLER: 0
; COMPUTE_PGM_RSRC2:TGID_X_EN: 1
; COMPUTE_PGM_RSRC2:TGID_Y_EN: 0
; COMPUTE_PGM_RSRC2:TGID_Z_EN: 0
; COMPUTE_PGM_RSRC2:TIDIG_COMP_CNT: 0
; COMPUTE_PGM_RSRC3_GFX90A:ACCUM_OFFSET: 7
; COMPUTE_PGM_RSRC3_GFX90A:TG_SPLIT: 0
	.section	.text._ZN5aiter30swiglu_act_and_mul_bias_kernelIftlfLi2EEEvPT0_PKT_PKT1_PKT2_il,"axG",@progbits,_ZN5aiter30swiglu_act_and_mul_bias_kernelIftlfLi2EEEvPT0_PKT_PKT1_PKT2_il,comdat
	.protected	_ZN5aiter30swiglu_act_and_mul_bias_kernelIftlfLi2EEEvPT0_PKT_PKT1_PKT2_il ; -- Begin function _ZN5aiter30swiglu_act_and_mul_bias_kernelIftlfLi2EEEvPT0_PKT_PKT1_PKT2_il
	.globl	_ZN5aiter30swiglu_act_and_mul_bias_kernelIftlfLi2EEEvPT0_PKT_PKT1_PKT2_il
	.p2align	8
	.type	_ZN5aiter30swiglu_act_and_mul_bias_kernelIftlfLi2EEEvPT0_PKT_PKT1_PKT2_il,@function
_ZN5aiter30swiglu_act_and_mul_bias_kernelIftlfLi2EEEvPT0_PKT_PKT1_PKT2_il: ; @_ZN5aiter30swiglu_act_and_mul_bias_kernelIftlfLi2EEEvPT0_PKT_PKT1_PKT2_il
; %bb.0:
	s_load_dwordx2 s[4:5], s[0:1], 0x0
	s_load_dwordx2 s[6:7], s[0:1], 0x10
	s_load_dword s24, s[0:1], 0x20
	s_load_dwordx2 s[12:13], s[0:1], 0x28
	s_mov_b32 s3, 0
	s_lshl_b64 s[8:9], s[2:3], 3
	s_waitcnt lgkmcnt(0)
	s_add_u32 s6, s6, s8
	s_addc_u32 s7, s7, s9
	s_ashr_i32 s25, s24, 31
	s_load_dwordx2 s[8:9], s[6:7], 0x0
	s_mul_hi_u32 s3, s24, s2
	s_mul_i32 s6, s25, s2
	s_add_i32 s7, s3, s6
	s_mul_i32 s6, s24, s2
	s_lshl_b64 s[6:7], s[6:7], 1
	s_add_u32 s4, s4, s6
	s_addc_u32 s3, s5, s7
	s_add_i32 s5, s24, 1
	s_lshr_b32 s6, s5, 31
	v_mov_b64_e32 v[2:3], s[12:13]
	s_add_i32 s5, s5, s6
	s_waitcnt lgkmcnt(0)
	v_cmp_gt_i64_e64 s[14:15], s[8:9], -1
	v_cmp_lt_i64_e32 vcc, s[8:9], v[2:3]
	s_lshl_b32 s5, s5, 1
	s_and_b64 s[12:13], s[14:15], vcc
	s_and_b32 s6, s5, -4
	s_and_b32 s5, s3, 0xffff
	s_mov_b64 s[10:11], -1
	s_and_b64 vcc, exec, s[12:13]
	v_lshlrev_b32_e32 v2, 1, v0
	s_cbranch_vccnz .LBB328_5
; %bb.1:
	v_cmp_gt_i32_e32 vcc, s24, v2
	s_and_saveexec_b64 s[10:11], vcc
	s_cbranch_execz .LBB328_4
; %bb.2:
	s_load_dword s3, s[0:1], 0x3c
	v_mov_b32_e32 v3, 0
	s_mov_b32 s13, 0
	v_lshlrev_b32_e32 v1, 2, v0
	s_mov_b64 s[14:15], 0
	s_waitcnt lgkmcnt(0)
	s_and_b32 s3, s3, 0xffff
	s_lshl_b32 s12, s3, 1
	s_lshl_b32 s3, s3, 2
	s_mov_b32 s7, 0x20000
	v_mov_b64_e32 v[4:5], v[2:3]
.LBB328_3:                              ; =>This Inner Loop Header: Depth=1
	v_lshl_add_u64 v[4:5], s[12:13], 0, v[4:5]
	v_cmp_le_i64_e32 vcc, s[24:25], v[4:5]
	buffer_store_dword v3, v1, s[4:7], 0 offen
	s_or_b64 s[14:15], vcc, s[14:15]
	v_add_u32_e32 v1, s3, v1
	s_andn2_b64 exec, exec, s[14:15]
	s_cbranch_execnz .LBB328_3
.LBB328_4:
	s_or_b64 exec, exec, s[10:11]
	s_mov_b64 s[10:11], 0
.LBB328_5:
	s_andn2_b64 vcc, exec, s[10:11]
	s_cbranch_vccnz .LBB328_9
; %bb.6:
	v_cmp_gt_i32_e32 vcc, s24, v2
	s_and_saveexec_b64 s[10:11], vcc
	s_cbranch_execz .LBB328_9
; %bb.7:
	s_load_dwordx2 s[14:15], s[0:1], 0x8
	s_load_dwordx2 s[12:13], s[0:1], 0x18
	s_mul_i32 s3, s24, s9
	s_mul_hi_u32 s7, s24, s8
	s_add_i32 s3, s7, s3
	s_mul_i32 s7, s25, s8
	s_add_i32 s9, s3, s7
	s_mul_i32 s8, s24, s8
	s_lshl_b32 s10, s24, 2
	s_lshl_b64 s[8:9], s[8:9], 3
	s_waitcnt lgkmcnt(0)
	s_add_u32 s8, s12, s8
	s_load_dword s18, s[0:1], 0x3c
	s_addc_u32 s3, s13, s9
	s_lshl_b64 s[0:1], s[24:25], 2
	s_add_u32 s12, s8, s0
	s_addc_u32 s13, s3, s1
	s_and_b32 s9, s3, 0xffff
	s_mul_i32 s3, s2, s25
	s_mul_hi_u32 s16, s2, s24
	s_add_i32 s3, s16, s3
	s_mul_i32 s2, s2, s24
	s_and_b32 s13, s13, 0xffff
	s_lshl_b64 s[2:3], s[2:3], 3
	s_add_u32 s16, s14, s2
	s_addc_u32 s2, s15, s3
	s_add_u32 s20, s16, s0
	s_addc_u32 s0, s2, s1
	s_mov_b32 s7, 0x20000
	s_and_b32 s21, s0, 0xffff
	s_waitcnt lgkmcnt(0)
	s_and_b32 s0, s18, 0xffff
	s_mov_b32 s11, s7
	s_and_b32 s17, s2, 0xffff
	s_mov_b32 s3, 0
	v_mov_b32_e32 v3, 0
	s_lshl_b32 s2, s0, 1
	v_lshlrev_b32_e32 v1, 2, v0
	s_lshl_b32 s28, s0, 2
	v_lshlrev_b32_e32 v0, 3, v0
	s_lshl_b32 s29, s0, 3
	s_mov_b64 s[26:27], 0
	s_mov_b32 s18, s10
	s_mov_b32 s19, s7
	;; [unrolled: 1-line block ×5, first 2 shown]
	v_mov_b32_e32 v4, 0x7f800000
	s_mov_b32 s34, 0xc0e00000
	v_mov_b32_e32 v5, 0x40e00000
	s_mov_b32 s35, 0x7060302
	s_mov_b32 s22, s10
	;; [unrolled: 1-line block ×3, first 2 shown]
.LBB328_8:                              ; =>This Inner Loop Header: Depth=1
	buffer_load_dwordx2 v[6:7], v0, s[16:19], 0 offen
	buffer_load_dwordx2 v[8:9], v0, s[20:23], 0 offen
	buffer_load_dwordx2 v[10:11], v0, s[8:11], 0 offen
	s_mov_b32 s14, s10
	s_mov_b32 s15, s11
	buffer_load_dwordx2 v[12:13], v0, s[12:15], 0 offen
	v_lshl_add_u64 v[2:3], s[2:3], 0, v[2:3]
	v_cmp_le_i64_e32 vcc, s[24:25], v[2:3]
	s_or_b64 s[26:27], vcc, s[26:27]
	v_add_u32_e32 v0, s29, v0
	s_waitcnt vmcnt(1)
	v_pk_add_f32 v[6:7], v[6:7], v[10:11]
	s_nop 0
	v_min_f32_e32 v7, 0x40e00000, v7
	v_min_f32_e32 v6, 0x40e00000, v6
	v_mul_f32_e32 v10, 0xbfd9db23, v6
	v_mul_f32_e32 v11, 0xbfd9db23, v7
	s_waitcnt vmcnt(0)
	v_pk_add_f32 v[8:9], v[8:9], v[12:13]
	v_mul_f32_e32 v12, 0x3fb8aa3b, v10
	v_mul_f32_e32 v13, 0x3fb8aa3b, v11
	v_fma_f32 v14, v10, s30, -v12
	v_rndne_f32_e32 v15, v12
	v_fma_f32 v16, v11, s30, -v13
	v_rndne_f32_e32 v17, v13
	v_fmac_f32_e32 v14, 0x32a5705f, v10
	v_sub_f32_e32 v12, v12, v15
	v_fmac_f32_e32 v16, 0x32a5705f, v11
	v_sub_f32_e32 v13, v13, v17
	v_add_f32_e32 v12, v12, v14
	v_add_f32_e32 v13, v13, v16
	v_cvt_i32_f32_e32 v15, v15
	v_cvt_i32_f32_e32 v17, v17
	v_exp_f32_e32 v12, v12
	v_exp_f32_e32 v13, v13
	v_cmp_ngt_f32_e32 vcc, s31, v11
	v_cmp_ngt_f32_e64 s[0:1], s31, v10
	v_ldexp_f32 v12, v12, v15
	v_ldexp_f32 v13, v13, v17
	v_cndmask_b32_e64 v12, 0, v12, s[0:1]
	v_cndmask_b32_e32 v13, 0, v13, vcc
	v_cmp_nlt_f32_e32 vcc, s33, v11
	v_cmp_nlt_f32_e64 s[0:1], s33, v10
	v_med3_f32 v9, v9, s34, v5
	v_cndmask_b32_e32 v11, v4, v13, vcc
	v_cndmask_b32_e64 v10, v4, v12, s[0:1]
	v_add_f32_e32 v10, 1.0, v10
	v_add_f32_e32 v11, 1.0, v11
	v_rcp_f32_e32 v10, v10
	v_rcp_f32_e32 v11, v11
	v_med3_f32 v8, v8, s34, v5
	v_pk_add_f32 v[8:9], v[8:9], 1.0 op_sel_hi:[1,0]
	v_pk_mul_f32 v[6:7], v[6:7], v[10:11]
	s_nop 0
	v_pk_mul_f32 v[6:7], v[8:9], v[6:7]
	s_nop 0
	v_perm_b32 v6, v7, v6, s35
	buffer_store_dword v6, v1, s[4:7], 0 offen
	v_add_u32_e32 v1, s28, v1
	s_andn2_b64 exec, exec, s[26:27]
	s_cbranch_execnz .LBB328_8
.LBB328_9:
	s_endpgm
	.section	.rodata,"a",@progbits
	.p2align	6, 0x0
	.amdhsa_kernel _ZN5aiter30swiglu_act_and_mul_bias_kernelIftlfLi2EEEvPT0_PKT_PKT1_PKT2_il
		.amdhsa_group_segment_fixed_size 0
		.amdhsa_private_segment_fixed_size 0
		.amdhsa_kernarg_size 304
		.amdhsa_user_sgpr_count 2
		.amdhsa_user_sgpr_dispatch_ptr 0
		.amdhsa_user_sgpr_queue_ptr 0
		.amdhsa_user_sgpr_kernarg_segment_ptr 1
		.amdhsa_user_sgpr_dispatch_id 0
		.amdhsa_user_sgpr_kernarg_preload_length 0
		.amdhsa_user_sgpr_kernarg_preload_offset 0
		.amdhsa_user_sgpr_private_segment_size 0
		.amdhsa_uses_dynamic_stack 0
		.amdhsa_enable_private_segment 0
		.amdhsa_system_sgpr_workgroup_id_x 1
		.amdhsa_system_sgpr_workgroup_id_y 0
		.amdhsa_system_sgpr_workgroup_id_z 0
		.amdhsa_system_sgpr_workgroup_info 0
		.amdhsa_system_vgpr_workitem_id 0
		.amdhsa_next_free_vgpr 18
		.amdhsa_next_free_sgpr 36
		.amdhsa_accum_offset 20
		.amdhsa_reserve_vcc 1
		.amdhsa_float_round_mode_32 0
		.amdhsa_float_round_mode_16_64 0
		.amdhsa_float_denorm_mode_32 3
		.amdhsa_float_denorm_mode_16_64 3
		.amdhsa_dx10_clamp 1
		.amdhsa_ieee_mode 1
		.amdhsa_fp16_overflow 0
		.amdhsa_tg_split 0
		.amdhsa_exception_fp_ieee_invalid_op 0
		.amdhsa_exception_fp_denorm_src 0
		.amdhsa_exception_fp_ieee_div_zero 0
		.amdhsa_exception_fp_ieee_overflow 0
		.amdhsa_exception_fp_ieee_underflow 0
		.amdhsa_exception_fp_ieee_inexact 0
		.amdhsa_exception_int_div_zero 0
	.end_amdhsa_kernel
	.section	.text._ZN5aiter30swiglu_act_and_mul_bias_kernelIftlfLi2EEEvPT0_PKT_PKT1_PKT2_il,"axG",@progbits,_ZN5aiter30swiglu_act_and_mul_bias_kernelIftlfLi2EEEvPT0_PKT_PKT1_PKT2_il,comdat
.Lfunc_end328:
	.size	_ZN5aiter30swiglu_act_and_mul_bias_kernelIftlfLi2EEEvPT0_PKT_PKT1_PKT2_il, .Lfunc_end328-_ZN5aiter30swiglu_act_and_mul_bias_kernelIftlfLi2EEEvPT0_PKT_PKT1_PKT2_il
                                        ; -- End function
	.section	.AMDGPU.csdata,"",@progbits
; Kernel info:
; codeLenInByte = 936
; NumSgprs: 42
; NumVgprs: 18
; NumAgprs: 0
; TotalNumVgprs: 18
; ScratchSize: 0
; MemoryBound: 0
; FloatMode: 240
; IeeeMode: 1
; LDSByteSize: 0 bytes/workgroup (compile time only)
; SGPRBlocks: 5
; VGPRBlocks: 2
; NumSGPRsForWavesPerEU: 42
; NumVGPRsForWavesPerEU: 18
; AccumOffset: 20
; Occupancy: 8
; WaveLimiterHint : 0
; COMPUTE_PGM_RSRC2:SCRATCH_EN: 0
; COMPUTE_PGM_RSRC2:USER_SGPR: 2
; COMPUTE_PGM_RSRC2:TRAP_HANDLER: 0
; COMPUTE_PGM_RSRC2:TGID_X_EN: 1
; COMPUTE_PGM_RSRC2:TGID_Y_EN: 0
; COMPUTE_PGM_RSRC2:TGID_Z_EN: 0
; COMPUTE_PGM_RSRC2:TIDIG_COMP_CNT: 0
; COMPUTE_PGM_RSRC3_GFX90A:ACCUM_OFFSET: 4
; COMPUTE_PGM_RSRC3_GFX90A:TG_SPLIT: 0
	.section	.text._ZN5aiter30swiglu_act_and_mul_bias_kernelIftlfLi1EEEvPT0_PKT_PKT1_PKT2_il,"axG",@progbits,_ZN5aiter30swiglu_act_and_mul_bias_kernelIftlfLi1EEEvPT0_PKT_PKT1_PKT2_il,comdat
	.protected	_ZN5aiter30swiglu_act_and_mul_bias_kernelIftlfLi1EEEvPT0_PKT_PKT1_PKT2_il ; -- Begin function _ZN5aiter30swiglu_act_and_mul_bias_kernelIftlfLi1EEEvPT0_PKT_PKT1_PKT2_il
	.globl	_ZN5aiter30swiglu_act_and_mul_bias_kernelIftlfLi1EEEvPT0_PKT_PKT1_PKT2_il
	.p2align	8
	.type	_ZN5aiter30swiglu_act_and_mul_bias_kernelIftlfLi1EEEvPT0_PKT_PKT1_PKT2_il,@function
_ZN5aiter30swiglu_act_and_mul_bias_kernelIftlfLi1EEEvPT0_PKT_PKT1_PKT2_il: ; @_ZN5aiter30swiglu_act_and_mul_bias_kernelIftlfLi1EEEvPT0_PKT_PKT1_PKT2_il
; %bb.0:
	s_load_dwordx2 s[4:5], s[0:1], 0x0
	s_load_dwordx2 s[6:7], s[0:1], 0x10
	s_load_dword s20, s[0:1], 0x20
	s_load_dwordx2 s[14:15], s[0:1], 0x28
	s_mov_b32 s3, 0
	s_lshl_b64 s[8:9], s[2:3], 3
	s_waitcnt lgkmcnt(0)
	s_add_u32 s6, s6, s8
	s_addc_u32 s7, s7, s9
	s_ashr_i32 s21, s20, 31
	s_load_dwordx2 s[12:13], s[6:7], 0x0
	s_mul_hi_u32 s3, s20, s2
	s_mul_i32 s6, s21, s2
	s_add_i32 s7, s3, s6
	s_mul_i32 s6, s20, s2
	s_lshl_b64 s[6:7], s[6:7], 1
	s_add_u32 s8, s4, s6
	s_addc_u32 s3, s5, s7
	s_add_i32 s4, s20, 1
	s_lshr_b32 s5, s4, 31
	s_add_i32 s4, s4, s5
	s_lshl_b32 s4, s4, 1
	v_mov_b64_e32 v[2:3], s[14:15]
	s_and_b32 s10, s4, -4
	s_waitcnt lgkmcnt(0)
	v_cmp_gt_i64_e64 s[4:5], s[12:13], -1
	v_cmp_lt_i64_e32 vcc, s[12:13], v[2:3]
	s_and_b64 s[4:5], s[4:5], vcc
	s_and_b32 s9, s3, 0xffff
	s_mov_b64 s[6:7], -1
	s_and_b64 vcc, exec, s[4:5]
	v_cmp_gt_i32_e64 s[4:5], s20, v0
	s_cbranch_vccnz .LBB329_5
; %bb.1:
	s_and_saveexec_b64 s[6:7], s[4:5]
	s_cbranch_execz .LBB329_4
; %bb.2:
	s_load_dword s3, s[0:1], 0x3c
	v_mov_b32_e32 v1, 0
	s_mov_b32 s5, 0
	v_lshlrev_b32_e32 v4, 1, v0
	s_mov_b64 s[14:15], 0
	s_waitcnt lgkmcnt(0)
	s_and_b32 s4, s3, 0xffff
	s_lshl_b32 s3, s4, 1
	s_mov_b32 s11, 0x20000
	v_mov_b64_e32 v[2:3], v[0:1]
.LBB329_3:                              ; =>This Inner Loop Header: Depth=1
	v_lshl_add_u64 v[2:3], v[2:3], 0, s[4:5]
	v_cmp_le_i64_e32 vcc, s[20:21], v[2:3]
	buffer_store_short v1, v4, s[8:11], 0 offen
	s_or_b64 s[14:15], vcc, s[14:15]
	v_add_u32_e32 v4, s3, v4
	s_andn2_b64 exec, exec, s[14:15]
	s_cbranch_execnz .LBB329_3
.LBB329_4:
	s_or_b64 exec, exec, s[6:7]
	s_mov_b64 s[6:7], 0
.LBB329_5:
	s_andn2_b64 vcc, exec, s[6:7]
	s_cbranch_vccnz .LBB329_9
; %bb.6:
	v_cmp_gt_i32_e32 vcc, s20, v0
	s_and_saveexec_b64 s[4:5], vcc
	s_cbranch_execz .LBB329_9
; %bb.7:
	s_mul_i32 s3, s20, s13
	s_mul_hi_u32 s4, s20, s12
	s_add_i32 s3, s4, s3
	s_load_dwordx2 s[14:15], s[0:1], 0x8
	s_load_dwordx2 s[4:5], s[0:1], 0x18
	s_mul_i32 s7, s21, s12
	s_add_i32 s13, s3, s7
	s_mul_i32 s12, s20, s12
	s_lshl_b32 s6, s20, 2
	s_lshl_b64 s[12:13], s[12:13], 3
	s_waitcnt lgkmcnt(0)
	s_add_u32 s4, s4, s12
	s_load_dword s18, s[0:1], 0x3c
	s_addc_u32 s1, s5, s13
	s_lshl_b64 s[16:17], s[20:21], 2
	s_add_u32 s0, s4, s16
	s_addc_u32 s3, s1, s17
	s_and_b32 s5, s1, 0xffff
	s_and_b32 s1, s3, 0xffff
	s_mul_i32 s3, s2, s21
	s_mul_hi_u32 s12, s2, s20
	s_add_i32 s3, s12, s3
	s_mul_i32 s2, s2, s20
	s_lshl_b64 s[2:3], s[2:3], 3
	s_add_u32 s12, s14, s2
	s_addc_u32 s2, s15, s3
	s_add_u32 s16, s12, s16
	s_mov_b32 s11, 0x20000
	s_addc_u32 s3, s2, s17
	s_waitcnt lgkmcnt(0)
	s_and_b32 s22, s18, 0xffff
	s_mov_b32 s7, s11
	s_and_b32 s13, s2, 0xffff
	s_and_b32 s17, s3, 0xffff
	s_mov_b32 s23, 0
	v_mov_b32_e32 v1, 0
	v_lshlrev_b32_e32 v2, 1, v0
	s_lshl_b32 s26, s22, 1
	v_lshlrev_b32_e32 v3, 2, v0
	s_lshl_b32 s27, s22, 2
	s_mov_b64 s[24:25], 0
	s_mov_b32 s14, s6
	s_mov_b32 s15, s11
	;; [unrolled: 1-line block ×5, first 2 shown]
	v_mov_b32_e32 v4, 0x7f800000
	s_mov_b32 s18, s6
	s_mov_b32 s19, s11
.LBB329_8:                              ; =>This Inner Loop Header: Depth=1
	buffer_load_dword v5, v3, s[12:15], 0 offen
	buffer_load_dword v6, v3, s[16:19], 0 offen
	s_mov_b32 s2, s6
	s_mov_b32 s3, s7
	buffer_load_dword v7, v3, s[4:7], 0 offen
	buffer_load_dword v8, v3, s[0:3], 0 offen
	v_lshl_add_u64 v[0:1], v[0:1], 0, s[22:23]
	v_cmp_le_i64_e32 vcc, s[20:21], v[0:1]
	s_or_b64 s[24:25], vcc, s[24:25]
	v_add_u32_e32 v3, s27, v3
	s_waitcnt vmcnt(1)
	v_add_f32_e32 v5, v5, v7
	v_min_f32_e32 v5, 0x40e00000, v5
	v_mul_f32_e32 v7, 0xbfd9db23, v5
	s_waitcnt vmcnt(0)
	v_add_f32_e32 v6, v6, v8
	v_mul_f32_e32 v8, 0x3fb8aa3b, v7
	v_fma_f32 v9, v7, s28, -v8
	v_rndne_f32_e32 v10, v8
	v_fmac_f32_e32 v9, 0x32a5705f, v7
	v_sub_f32_e32 v8, v8, v10
	v_add_f32_e32 v8, v8, v9
	v_cvt_i32_f32_e32 v10, v10
	v_exp_f32_e32 v8, v8
	v_cmp_ngt_f32_e32 vcc, s29, v7
	v_max_f32_e32 v6, 0xc0e00000, v6
	v_min_f32_e32 v6, 0x40e00000, v6
	v_ldexp_f32 v8, v8, v10
	v_cndmask_b32_e32 v8, 0, v8, vcc
	v_cmp_nlt_f32_e32 vcc, s30, v7
	v_add_f32_e32 v6, 1.0, v6
	s_nop 0
	v_cndmask_b32_e32 v7, v4, v8, vcc
	v_add_f32_e32 v7, 1.0, v7
	v_rcp_f32_e32 v7, v7
	s_nop 0
	v_mul_f32_e32 v5, v5, v7
	v_mul_f32_e32 v5, v6, v5
	v_lshrrev_b32_e32 v5, 16, v5
	buffer_store_short v5, v2, s[8:11], 0 offen
	v_add_u32_e32 v2, s26, v2
	s_andn2_b64 exec, exec, s[24:25]
	s_cbranch_execnz .LBB329_8
.LBB329_9:
	s_endpgm
	.section	.rodata,"a",@progbits
	.p2align	6, 0x0
	.amdhsa_kernel _ZN5aiter30swiglu_act_and_mul_bias_kernelIftlfLi1EEEvPT0_PKT_PKT1_PKT2_il
		.amdhsa_group_segment_fixed_size 0
		.amdhsa_private_segment_fixed_size 0
		.amdhsa_kernarg_size 304
		.amdhsa_user_sgpr_count 2
		.amdhsa_user_sgpr_dispatch_ptr 0
		.amdhsa_user_sgpr_queue_ptr 0
		.amdhsa_user_sgpr_kernarg_segment_ptr 1
		.amdhsa_user_sgpr_dispatch_id 0
		.amdhsa_user_sgpr_kernarg_preload_length 0
		.amdhsa_user_sgpr_kernarg_preload_offset 0
		.amdhsa_user_sgpr_private_segment_size 0
		.amdhsa_uses_dynamic_stack 0
		.amdhsa_enable_private_segment 0
		.amdhsa_system_sgpr_workgroup_id_x 1
		.amdhsa_system_sgpr_workgroup_id_y 0
		.amdhsa_system_sgpr_workgroup_id_z 0
		.amdhsa_system_sgpr_workgroup_info 0
		.amdhsa_system_vgpr_workitem_id 0
		.amdhsa_next_free_vgpr 11
		.amdhsa_next_free_sgpr 31
		.amdhsa_accum_offset 12
		.amdhsa_reserve_vcc 1
		.amdhsa_float_round_mode_32 0
		.amdhsa_float_round_mode_16_64 0
		.amdhsa_float_denorm_mode_32 3
		.amdhsa_float_denorm_mode_16_64 3
		.amdhsa_dx10_clamp 1
		.amdhsa_ieee_mode 1
		.amdhsa_fp16_overflow 0
		.amdhsa_tg_split 0
		.amdhsa_exception_fp_ieee_invalid_op 0
		.amdhsa_exception_fp_denorm_src 0
		.amdhsa_exception_fp_ieee_div_zero 0
		.amdhsa_exception_fp_ieee_overflow 0
		.amdhsa_exception_fp_ieee_underflow 0
		.amdhsa_exception_fp_ieee_inexact 0
		.amdhsa_exception_int_div_zero 0
	.end_amdhsa_kernel
	.section	.text._ZN5aiter30swiglu_act_and_mul_bias_kernelIftlfLi1EEEvPT0_PKT_PKT1_PKT2_il,"axG",@progbits,_ZN5aiter30swiglu_act_and_mul_bias_kernelIftlfLi1EEEvPT0_PKT_PKT1_PKT2_il,comdat
.Lfunc_end329:
	.size	_ZN5aiter30swiglu_act_and_mul_bias_kernelIftlfLi1EEEvPT0_PKT_PKT1_PKT2_il, .Lfunc_end329-_ZN5aiter30swiglu_act_and_mul_bias_kernelIftlfLi1EEEvPT0_PKT_PKT1_PKT2_il
                                        ; -- End function
	.section	.AMDGPU.csdata,"",@progbits
; Kernel info:
; codeLenInByte = 768
; NumSgprs: 37
; NumVgprs: 11
; NumAgprs: 0
; TotalNumVgprs: 11
; ScratchSize: 0
; MemoryBound: 0
; FloatMode: 240
; IeeeMode: 1
; LDSByteSize: 0 bytes/workgroup (compile time only)
; SGPRBlocks: 4
; VGPRBlocks: 1
; NumSGPRsForWavesPerEU: 37
; NumVGPRsForWavesPerEU: 11
; AccumOffset: 12
; Occupancy: 8
; WaveLimiterHint : 0
; COMPUTE_PGM_RSRC2:SCRATCH_EN: 0
; COMPUTE_PGM_RSRC2:USER_SGPR: 2
; COMPUTE_PGM_RSRC2:TRAP_HANDLER: 0
; COMPUTE_PGM_RSRC2:TGID_X_EN: 1
; COMPUTE_PGM_RSRC2:TGID_Y_EN: 0
; COMPUTE_PGM_RSRC2:TGID_Z_EN: 0
; COMPUTE_PGM_RSRC2:TIDIG_COMP_CNT: 0
; COMPUTE_PGM_RSRC3_GFX90A:ACCUM_OFFSET: 2
; COMPUTE_PGM_RSRC3_GFX90A:TG_SPLIT: 0
	.section	.text._ZN5aiter30swiglu_act_and_mul_bias_kernelIfDF16_lfLi16EEEvPT0_PKT_PKT1_PKT2_il,"axG",@progbits,_ZN5aiter30swiglu_act_and_mul_bias_kernelIfDF16_lfLi16EEEvPT0_PKT_PKT1_PKT2_il,comdat
	.protected	_ZN5aiter30swiglu_act_and_mul_bias_kernelIfDF16_lfLi16EEEvPT0_PKT_PKT1_PKT2_il ; -- Begin function _ZN5aiter30swiglu_act_and_mul_bias_kernelIfDF16_lfLi16EEEvPT0_PKT_PKT1_PKT2_il
	.globl	_ZN5aiter30swiglu_act_and_mul_bias_kernelIfDF16_lfLi16EEEvPT0_PKT_PKT1_PKT2_il
	.p2align	8
	.type	_ZN5aiter30swiglu_act_and_mul_bias_kernelIfDF16_lfLi16EEEvPT0_PKT_PKT1_PKT2_il,@function
_ZN5aiter30swiglu_act_and_mul_bias_kernelIfDF16_lfLi16EEEvPT0_PKT_PKT1_PKT2_il: ; @_ZN5aiter30swiglu_act_and_mul_bias_kernelIfDF16_lfLi16EEEvPT0_PKT_PKT1_PKT2_il
; %bb.0:
	s_load_dwordx2 s[6:7], s[0:1], 0x0
	s_load_dwordx2 s[4:5], s[0:1], 0x10
	s_load_dword s64, s[0:1], 0x20
	s_load_dwordx2 s[8:9], s[0:1], 0x28
	s_mov_b32 s3, 0
	s_lshl_b64 s[10:11], s[2:3], 3
	s_waitcnt lgkmcnt(0)
	s_add_u32 s4, s4, s10
	s_addc_u32 s5, s5, s11
	s_ashr_i32 s65, s64, 31
	s_mul_hi_u32 s3, s64, s2
	s_mul_i32 s10, s65, s2
	s_load_dwordx2 s[4:5], s[4:5], 0x0
	s_add_i32 s11, s3, s10
	s_mul_i32 s10, s64, s2
	s_lshl_b64 s[10:11], s[10:11], 1
	s_add_u32 s44, s6, s10
	s_addc_u32 s3, s7, s11
	s_add_i32 s6, s64, 1
	s_lshr_b32 s7, s6, 31
	v_mov_b64_e32 v[2:3], s[8:9]
	s_add_i32 s6, s6, s7
	s_waitcnt lgkmcnt(0)
	v_cmp_gt_i64_e64 s[10:11], s[4:5], -1
	v_cmp_lt_i64_e32 vcc, s[4:5], v[2:3]
	s_lshl_b32 s6, s6, 1
	s_and_b64 s[8:9], s[10:11], vcc
	s_and_b32 s46, s6, -4
	s_and_b32 s45, s3, 0xffff
	s_mov_b64 s[6:7], -1
	s_and_b64 vcc, exec, s[8:9]
	v_lshlrev_b32_e32 v40, 4, v0
	s_cbranch_vccnz .LBB330_5
; %bb.1:
	v_cmp_gt_i32_e32 vcc, s64, v40
	s_and_saveexec_b64 s[6:7], vcc
	s_cbranch_execz .LBB330_4
; %bb.2:
	s_load_dword s3, s[0:1], 0x3c
	s_mov_b32 s9, 0
	s_mov_b32 s12, s9
	;; [unrolled: 1-line block ×3, first 2 shown]
	v_mov_b32_e32 v41, 0
	s_waitcnt lgkmcnt(0)
	s_and_b32 s3, s3, 0xffff
	s_mov_b32 s14, s9
	s_mov_b32 s15, s9
	v_mov_b64_e32 v[2:3], s[12:13]
	v_lshlrev_b32_e32 v1, 5, v0
	s_lshl_b32 s8, s3, 4
	s_lshl_b32 s3, s3, 5
	s_mov_b64 s[10:11], 0
	s_mov_b32 s47, 0x20000
	v_mov_b64_e32 v[4:5], s[14:15]
	v_mov_b64_e32 v[6:7], v[40:41]
.LBB330_3:                              ; =>This Inner Loop Header: Depth=1
	v_lshl_add_u64 v[6:7], s[8:9], 0, v[6:7]
	v_cmp_le_i64_e32 vcc, s[64:65], v[6:7]
	buffer_store_dwordx4 v[2:5], v1, s[44:47], 0 offen
	buffer_store_dwordx4 v[2:5], v1, s[44:47], 16 offen
	s_or_b64 s[10:11], vcc, s[10:11]
	v_add_u32_e32 v1, s3, v1
	s_andn2_b64 exec, exec, s[10:11]
	s_cbranch_execnz .LBB330_3
.LBB330_4:
	s_or_b64 exec, exec, s[6:7]
	s_mov_b64 s[6:7], 0
.LBB330_5:
	s_andn2_b64 vcc, exec, s[6:7]
	s_cbranch_vccnz .LBB330_9
; %bb.6:
	v_cmp_gt_i32_e32 vcc, s64, v40
	s_and_saveexec_b64 s[6:7], vcc
	s_cbranch_execz .LBB330_9
; %bb.7:
	s_load_dwordx2 s[6:7], s[0:1], 0x8
	s_load_dwordx2 s[8:9], s[0:1], 0x18
	s_mul_i32 s3, s64, s5
	s_mul_hi_u32 s5, s64, s4
	s_add_i32 s3, s5, s3
	s_mul_i32 s5, s65, s4
	s_add_i32 s5, s3, s5
	s_mul_i32 s4, s64, s4
	s_lshl_b32 s50, s64, 2
	s_lshl_b64 s[4:5], s[4:5], 3
	s_waitcnt lgkmcnt(0)
	s_add_u32 s48, s8, s4
	s_load_dword s10, s[0:1], 0x3c
	s_addc_u32 s3, s9, s5
	s_lshl_b64 s[0:1], s[64:65], 2
	s_add_u32 s52, s48, s0
	s_addc_u32 s4, s3, s1
	s_and_b32 s49, s3, 0xffff
	s_and_b32 s53, s4, 0xffff
	s_mul_i32 s3, s2, s65
	s_mul_hi_u32 s4, s2, s64
	s_add_i32 s3, s4, s3
	s_mul_i32 s2, s2, s64
	s_lshl_b64 s[2:3], s[2:3], 3
	s_add_u32 s56, s6, s2
	s_addc_u32 s2, s7, s3
	s_add_u32 s60, s56, s0
	s_addc_u32 s0, s2, s1
	s_mov_b32 s47, 0x20000
	s_and_b32 s61, s0, 0xffff
	s_waitcnt lgkmcnt(0)
	s_and_b32 s0, s10, 0xffff
	s_mov_b32 s51, s47
	s_and_b32 s57, s2, 0xffff
	s_mov_b32 s67, 0
	v_mov_b32_e32 v41, 0
	s_lshl_b32 s66, s0, 4
	v_lshlrev_b32_e32 v50, 5, v0
	s_lshl_b32 s33, s0, 5
	v_lshlrev_b32_e32 v51, 6, v0
	s_lshl_b32 s70, s0, 6
	s_mov_b64 s[68:69], 0
	s_mov_b32 s58, s50
	s_mov_b32 s59, s47
	;; [unrolled: 1-line block ×5, first 2 shown]
	v_mov_b32_e32 v52, 0x7f800000
	s_mov_b32 s74, 0xc0e00000
	v_mov_b32_e32 v53, 0x40e00000
	s_mov_b32 s62, s50
	s_mov_b32 s63, s47
.LBB330_8:                              ; =>This Inner Loop Header: Depth=1
	buffer_load_dwordx4 v[0:3], v51, s[56:59], 0 offen
	buffer_load_dwordx4 v[44:47], v51, s[48:51], 0 offen
	;; [unrolled: 1-line block ×11, first 2 shown]
	s_mov_b32 s54, s50
	s_mov_b32 s55, s51
	buffer_load_dwordx4 v[54:57], v51, s[52:55], 32 offen
	v_lshl_add_u64 v[40:41], s[66:67], 0, v[40:41]
	v_cmp_le_i64_e64 s[40:41], s[64:65], v[40:41]
	s_or_b64 s[68:69], s[40:41], s[68:69]
	s_waitcnt vmcnt(10)
	v_pk_add_f32 v[42:43], v[2:3], v[46:47]
	v_pk_add_f32 v[44:45], v[0:1], v[44:45]
	s_waitcnt vmcnt(8)
	v_pk_add_f32 v[38:39], v[34:35], v[38:39]
	v_pk_add_f32 v[36:37], v[32:33], v[36:37]
	buffer_load_dwordx4 v[32:35], v51, s[52:55], 0 offen
	buffer_load_dwordx4 v[0:3], v51, s[60:63], 48 offen
	s_waitcnt vmcnt(7)
	v_pk_add_f32 v[30:31], v[26:27], v[30:31]
	v_pk_add_f32 v[46:47], v[24:25], v[28:29]
	buffer_load_dwordx4 v[24:27], v51, s[52:55], 16 offen
	v_min_f32_e32 v28, 0x40e00000, v44
	s_waitcnt vmcnt(4)
	v_pk_add_f32 v[48:49], v[14:15], v[22:23]
	v_pk_add_f32 v[58:59], v[12:13], v[20:21]
	v_min_f32_e32 v29, 0x40e00000, v45
	v_min_f32_e32 v14, 0x40e00000, v36
	v_mul_f32_e32 v36, 0xbfd9db23, v29
	v_min_f32_e32 v12, 0x40e00000, v42
	v_cmp_ngt_f32_e64 s[12:13], s72, v36
	v_cmp_nlt_f32_e64 s[14:15], s73, v36
	v_min_f32_e32 v13, 0x40e00000, v43
	v_mul_f32_e32 v44, 0xbfd9db23, v13
	v_min_f32_e32 v15, 0x40e00000, v37
	v_mul_f32_e32 v37, 0x3fb8aa3b, v44
	v_cmp_ngt_f32_e64 s[36:37], s72, v44
	v_cmp_nlt_f32_e64 s[0:1], s73, v44
	v_mul_f32_e32 v45, 0xbfd9db23, v14
	v_cmp_ngt_f32_e64 s[28:29], s72, v45
	v_cmp_nlt_f32_e64 s[2:3], s73, v45
	s_waitcnt vmcnt(2)
	v_pk_add_f32 v[18:19], v[18:19], v[34:35]
	v_pk_add_f32 v[16:17], v[16:17], v[32:33]
	buffer_load_dwordx4 v[32:35], v51, s[52:55], 48 offen
	v_pk_add_f32 v[22:23], v[4:5], v[54:55]
	s_waitcnt vmcnt(1)
	v_pk_add_f32 v[20:21], v[10:11], v[26:27]
	v_pk_add_f32 v[26:27], v[8:9], v[24:25]
	v_min_f32_e32 v5, 0x40e00000, v31
	v_min_f32_e32 v4, 0x40e00000, v30
	;; [unrolled: 1-line block ×4, first 2 shown]
	v_pk_add_f32 v[24:25], v[6:7], v[56:57]
	v_mul_f32_e32 v46, 0xbfd9db23, v15
	v_fma_f32 v56, v44, s71, -v37
	v_min_f32_e32 v9, 0x40e00000, v39
	v_fmac_f32_e32 v56, 0x32a5705f, v44
	v_mul_f32_e32 v44, 0xbfd9db23, v11
	v_min_f32_e32 v6, 0x40e00000, v58
	v_mul_f32_e32 v58, 0xbfd9db23, v9
	v_min_f32_e32 v8, 0x40e00000, v38
	v_cmp_ngt_f32_e64 s[30:31], s72, v46
	v_cmp_nlt_f32_e64 s[4:5], s73, v46
	v_mul_f32_e32 v47, 0xbfd9db23, v8
	v_cmp_ngt_f32_e64 s[24:25], s72, v44
	v_mul_f32_e32 v38, 0xbfd9db23, v12
	v_cmp_ngt_f32_e64 s[34:35], s72, v58
	v_min_f32_e32 v7, 0x40e00000, v59
	v_mul_f32_e32 v59, 0xbfd9db23, v10
	v_mul_f32_e32 v39, 0x3fb8aa3b, v38
	v_cmp_ngt_f32_e64 s[26:27], s72, v47
	v_cmp_nlt_f32_e64 s[6:7], s73, v47
	v_fma_f32 v57, v38, s71, -v39
	v_cmp_ngt_f32_e64 s[38:39], s72, v38
	v_cmp_nlt_f32_e32 vcc, s73, v38
	v_fmac_f32_e32 v57, 0x32a5705f, v38
	v_cmp_ngt_f32_e64 s[18:19], s72, v59
	v_med3_f32 v21, v21, s74, v53
	v_med3_f32 v20, v20, s74, v53
	;; [unrolled: 1-line block ×6, first 2 shown]
	v_pk_add_f32 v[20:21], v[20:21], 1.0 op_sel_hi:[1,0]
	v_pk_add_f32 v[22:23], v[22:23], 1.0 op_sel_hi:[1,0]
	;; [unrolled: 1-line block ×3, first 2 shown]
	v_add_u32_e32 v51, s70, v51
	s_waitcnt vmcnt(0)
	v_pk_add_f32 v[30:31], v[2:3], v[34:35]
	v_pk_add_f32 v[32:33], v[0:1], v[32:33]
	v_mul_f32_e32 v35, 0xbfd9db23, v28
	v_med3_f32 v2, v16, s74, v53
	v_med3_f32 v16, v18, s74, v53
	;; [unrolled: 1-line block ×4, first 2 shown]
	v_mul_f32_e32 v32, 0x3fb8aa3b, v35
	v_med3_f32 v3, v17, s74, v53
	v_med3_f32 v17, v19, s74, v53
	;; [unrolled: 1-line block ×4, first 2 shown]
	v_mul_f32_e32 v33, 0x3fb8aa3b, v36
	v_fma_f32 v42, v35, s71, -v32
	v_cmp_ngt_f32_e64 s[8:9], s72, v35
	v_cmp_nlt_f32_e64 s[10:11], s73, v35
	v_fmac_f32_e32 v42, 0x32a5705f, v35
	v_fma_f32 v35, v36, s71, -v33
	v_fmac_f32_e32 v35, 0x32a5705f, v36
	v_rndne_f32_e32 v36, v32
	v_sub_f32_e32 v32, v32, v36
	v_add_f32_e32 v32, v32, v42
	v_rndne_f32_e32 v42, v33
	v_sub_f32_e32 v33, v33, v42
	v_add_f32_e32 v43, v33, v35
	v_cvt_i32_f32_e32 v33, v36
	v_exp_f32_e32 v32, v32
	v_cvt_i32_f32_e32 v36, v42
	v_exp_f32_e32 v42, v43
	v_mul_f32_e32 v35, 0x3fb8aa3b, v46
	v_ldexp_f32 v32, v32, v33
	v_cndmask_b32_e64 v32, 0, v32, s[8:9]
	v_ldexp_f32 v36, v42, v36
	v_cndmask_b32_e64 v36, 0, v36, s[12:13]
	v_cndmask_b32_e64 v32, v52, v32, s[10:11]
	;; [unrolled: 1-line block ×3, first 2 shown]
	v_add_f32_e32 v32, 1.0, v32
	v_add_f32_e32 v36, 1.0, v36
	v_rcp_f32_e32 v42, v32
	v_rcp_f32_e32 v43, v36
	v_fma_f32 v54, v46, s71, -v35
	v_mul_f32_e32 v34, 0x3fb8aa3b, v45
	v_mul_f32_e32 v36, 0x3fb8aa3b, v58
	v_pk_mul_f32 v[28:29], v[28:29], v[42:43]
	v_mul_f32_e32 v42, 0x3fb8aa3b, v44
	v_fmac_f32_e32 v54, 0x32a5705f, v46
	v_fma_f32 v43, v44, s71, -v42
	v_mul_f32_e32 v46, 0xbfd9db23, v4
	v_min_f32_e32 v0, 0x40e00000, v48
	v_fma_f32 v55, v45, s71, -v34
	v_fma_f32 v48, v58, s71, -v36
	v_cmp_nlt_f32_e64 s[12:13], s73, v44
	v_fmac_f32_e32 v43, 0x32a5705f, v44
	v_mul_f32_e32 v44, 0x3fb8aa3b, v46
	v_mul_f32_e32 v33, 0x3fb8aa3b, v47
	v_cmp_nlt_f32_e64 s[8:9], s73, v58
	v_fmac_f32_e32 v55, 0x32a5705f, v45
	v_fmac_f32_e32 v48, 0x32a5705f, v58
	v_fma_f32 v45, v46, s71, -v44
	v_mul_f32_e32 v58, 0xbfd9db23, v5
	v_min_f32_e32 v1, 0x40e00000, v49
	v_fma_f32 v49, v47, s71, -v33
	v_cmp_ngt_f32_e64 s[22:23], s72, v46
	v_cmp_nlt_f32_e64 s[14:15], s73, v46
	v_fmac_f32_e32 v45, 0x32a5705f, v46
	v_mul_f32_e32 v46, 0x3fb8aa3b, v58
	v_mul_f32_e32 v32, 0x3fb8aa3b, v59
	v_fmac_f32_e32 v49, 0x32a5705f, v47
	v_fma_f32 v47, v58, s71, -v46
	v_fma_f32 v38, v59, s71, -v32
	v_cmp_ngt_f32_e64 s[20:21], s72, v58
	v_cmp_nlt_f32_e64 s[16:17], s73, v58
	v_fmac_f32_e32 v47, 0x32a5705f, v58
	v_mul_f32_e32 v58, 0xbfd9db23, v6
	v_cmp_nlt_f32_e64 s[10:11], s73, v59
	v_fmac_f32_e32 v38, 0x32a5705f, v59
	v_mul_f32_e32 v59, 0x3fb8aa3b, v58
	v_fma_f32 v60, v58, s71, -v59
	v_cmp_ngt_f32_e64 s[42:43], s72, v58
	v_cmp_nlt_f32_e64 s[40:41], s73, v58
	v_fmac_f32_e32 v60, 0x32a5705f, v58
	v_rndne_f32_e32 v58, v39
	v_sub_f32_e32 v39, v39, v58
	v_add_f32_e32 v39, v39, v57
	v_cvt_i32_f32_e32 v57, v58
	v_rndne_f32_e32 v58, v37
	v_sub_f32_e32 v37, v37, v58
	v_add_f32_e32 v37, v37, v56
	v_cvt_i32_f32_e32 v56, v58
	v_exp_f32_e32 v37, v37
	v_exp_f32_e32 v39, v39
	v_med3_f32 v31, v31, s74, v53
	v_med3_f32 v30, v30, s74, v53
	v_ldexp_f32 v37, v37, v56
	v_mul_f32_e32 v56, 0xbfd9db23, v7
	v_ldexp_f32 v39, v39, v57
	v_mul_f32_e32 v57, 0x3fb8aa3b, v56
	v_fma_f32 v58, v56, s71, -v57
	v_cndmask_b32_e64 v39, 0, v39, s[38:39]
	v_cndmask_b32_e64 v37, 0, v37, s[36:37]
	v_cmp_ngt_f32_e64 s[38:39], s72, v56
	v_cmp_nlt_f32_e64 s[36:37], s73, v56
	v_fmac_f32_e32 v58, 0x32a5705f, v56
	v_rndne_f32_e32 v56, v34
	v_sub_f32_e32 v34, v34, v56
	v_add_f32_e32 v34, v34, v55
	v_cvt_i32_f32_e32 v55, v56
	v_rndne_f32_e32 v56, v35
	v_sub_f32_e32 v35, v35, v56
	v_add_f32_e32 v35, v35, v54
	v_cvt_i32_f32_e32 v54, v56
	v_exp_f32_e32 v35, v35
	v_exp_f32_e32 v34, v34
	v_cndmask_b32_e32 v39, v52, v39, vcc
	v_cndmask_b32_e64 v37, v52, v37, s[0:1]
	v_ldexp_f32 v35, v35, v54
	v_mul_f32_e32 v54, 0xbfd9db23, v0
	v_ldexp_f32 v34, v34, v55
	v_mul_f32_e32 v55, 0x3fb8aa3b, v54
	v_fma_f32 v56, v54, s71, -v55
	v_cndmask_b32_e64 v34, 0, v34, s[28:29]
	v_cndmask_b32_e64 v35, 0, v35, s[30:31]
	v_cmp_ngt_f32_e64 s[28:29], s72, v54
	v_cmp_nlt_f32_e64 s[30:31], s73, v54
	v_fmac_f32_e32 v56, 0x32a5705f, v54
	v_rndne_f32_e32 v54, v33
	v_sub_f32_e32 v33, v33, v54
	v_add_f32_e32 v33, v33, v49
	v_cvt_i32_f32_e32 v49, v54
	v_rndne_f32_e32 v54, v36
	v_sub_f32_e32 v36, v36, v54
	v_add_f32_e32 v36, v36, v48
	v_cvt_i32_f32_e32 v48, v54
	v_exp_f32_e32 v36, v36
	v_exp_f32_e32 v33, v33
	v_cndmask_b32_e64 v34, v52, v34, s[2:3]
	v_cndmask_b32_e64 v35, v52, v35, s[4:5]
	v_ldexp_f32 v36, v36, v48
	v_mul_f32_e32 v48, 0xbfd9db23, v1
	v_ldexp_f32 v33, v33, v49
	v_mul_f32_e32 v49, 0x3fb8aa3b, v48
	v_fma_f32 v54, v48, s71, -v49
	v_cndmask_b32_e64 v33, 0, v33, s[26:27]
	v_cndmask_b32_e64 v36, 0, v36, s[34:35]
	v_cmp_ngt_f32_e64 s[26:27], s72, v48
	v_cmp_nlt_f32_e64 s[34:35], s73, v48
	v_fmac_f32_e32 v54, 0x32a5705f, v48
	v_rndne_f32_e32 v48, v32
	v_sub_f32_e32 v32, v32, v48
	v_add_f32_e32 v32, v32, v38
	v_rndne_f32_e32 v38, v42
	v_sub_f32_e32 v42, v42, v38
	v_add_f32_e32 v42, v42, v43
	v_cvt_i32_f32_e32 v38, v38
	v_exp_f32_e32 v42, v42
	v_rndne_f32_e32 v43, v44
	v_sub_f32_e32 v44, v44, v43
	v_add_f32_e32 v44, v44, v45
	v_ldexp_f32 v38, v42, v38
	v_cvt_i32_f32_e32 v42, v43
	v_exp_f32_e32 v43, v44
	v_rndne_f32_e32 v45, v46
	v_sub_f32_e32 v46, v46, v45
	v_add_f32_e32 v46, v46, v47
	v_ldexp_f32 v42, v43, v42
	;; [unrolled: 6-line block ×4, first 2 shown]
	v_cvt_i32_f32_e32 v45, v60
	v_exp_f32_e32 v46, v57
	v_rndne_f32_e32 v58, v55
	v_sub_f32_e32 v55, v55, v58
	v_cvt_i32_f32_e32 v48, v48
	v_exp_f32_e32 v32, v32
	v_add_f32_e32 v55, v55, v56
	v_ldexp_f32 v45, v46, v45
	v_cvt_i32_f32_e32 v46, v58
	v_exp_f32_e32 v47, v55
	v_rndne_f32_e32 v56, v49
	v_ldexp_f32 v32, v32, v48
	v_sub_f32_e32 v48, v49, v56
	v_add_f32_e32 v48, v48, v54
	v_ldexp_f32 v46, v47, v46
	v_cvt_i32_f32_e32 v47, v56
	v_exp_f32_e32 v48, v48
	v_cndmask_b32_e64 v32, 0, v32, s[18:19]
	v_cndmask_b32_e64 v38, 0, v38, s[24:25]
	;; [unrolled: 1-line block ×3, first 2 shown]
	v_ldexp_f32 v47, v48, v47
	v_cndmask_b32_e64 v43, 0, v43, s[20:21]
	v_cndmask_b32_e64 v44, 0, v44, s[42:43]
	;; [unrolled: 1-line block ×15, first 2 shown]
	v_add_f32_e32 v39, 1.0, v39
	v_add_f32_e32 v37, 1.0, v37
	;; [unrolled: 1-line block ×14, first 2 shown]
	v_rcp_f32_e32 v32, v39
	v_rcp_f32_e32 v33, v37
	;; [unrolled: 1-line block ×14, first 2 shown]
	v_pk_add_f32 v[2:3], v[2:3], 1.0 op_sel_hi:[1,0]
	v_pk_add_f32 v[16:17], v[16:17], 1.0 op_sel_hi:[1,0]
	;; [unrolled: 1-line block ×3, first 2 shown]
	v_pk_mul_f32 v[12:13], v[12:13], v[32:33]
	v_pk_mul_f32 v[14:15], v[14:15], v[34:35]
	;; [unrolled: 1-line block ×3, first 2 shown]
	v_pk_add_f32 v[26:27], v[26:27], 1.0 op_sel_hi:[1,0]
	v_pk_add_f32 v[30:31], v[30:31], 1.0 op_sel_hi:[1,0]
	v_pk_mul_f32 v[10:11], v[10:11], v[38:39]
	v_pk_mul_f32 v[4:5], v[4:5], v[42:43]
	;; [unrolled: 1-line block ×12, first 2 shown]
	v_cvt_f16_f32_e32 v16, v3
	v_cvt_f16_f32_e32 v17, v2
	;; [unrolled: 1-line block ×16, first 2 shown]
	v_pack_b32_f16 v3, v8, v3
	v_pack_b32_f16 v1, v12, v2
	;; [unrolled: 1-line block ×8, first 2 shown]
	buffer_store_dwordx4 v[0:3], v50, s[44:47], 0 offen
	buffer_store_dwordx4 v[4:7], v50, s[44:47], 16 offen
	v_add_u32_e32 v50, s33, v50
	s_andn2_b64 exec, exec, s[68:69]
	s_cbranch_execnz .LBB330_8
.LBB330_9:
	s_endpgm
	.section	.rodata,"a",@progbits
	.p2align	6, 0x0
	.amdhsa_kernel _ZN5aiter30swiglu_act_and_mul_bias_kernelIfDF16_lfLi16EEEvPT0_PKT_PKT1_PKT2_il
		.amdhsa_group_segment_fixed_size 0
		.amdhsa_private_segment_fixed_size 0
		.amdhsa_kernarg_size 304
		.amdhsa_user_sgpr_count 2
		.amdhsa_user_sgpr_dispatch_ptr 0
		.amdhsa_user_sgpr_queue_ptr 0
		.amdhsa_user_sgpr_kernarg_segment_ptr 1
		.amdhsa_user_sgpr_dispatch_id 0
		.amdhsa_user_sgpr_kernarg_preload_length 0
		.amdhsa_user_sgpr_kernarg_preload_offset 0
		.amdhsa_user_sgpr_private_segment_size 0
		.amdhsa_uses_dynamic_stack 0
		.amdhsa_enable_private_segment 0
		.amdhsa_system_sgpr_workgroup_id_x 1
		.amdhsa_system_sgpr_workgroup_id_y 0
		.amdhsa_system_sgpr_workgroup_id_z 0
		.amdhsa_system_sgpr_workgroup_info 0
		.amdhsa_system_vgpr_workitem_id 0
		.amdhsa_next_free_vgpr 61
		.amdhsa_next_free_sgpr 75
		.amdhsa_accum_offset 64
		.amdhsa_reserve_vcc 1
		.amdhsa_float_round_mode_32 0
		.amdhsa_float_round_mode_16_64 0
		.amdhsa_float_denorm_mode_32 3
		.amdhsa_float_denorm_mode_16_64 3
		.amdhsa_dx10_clamp 1
		.amdhsa_ieee_mode 1
		.amdhsa_fp16_overflow 0
		.amdhsa_tg_split 0
		.amdhsa_exception_fp_ieee_invalid_op 0
		.amdhsa_exception_fp_denorm_src 0
		.amdhsa_exception_fp_ieee_div_zero 0
		.amdhsa_exception_fp_ieee_overflow 0
		.amdhsa_exception_fp_ieee_underflow 0
		.amdhsa_exception_fp_ieee_inexact 0
		.amdhsa_exception_int_div_zero 0
	.end_amdhsa_kernel
	.section	.text._ZN5aiter30swiglu_act_and_mul_bias_kernelIfDF16_lfLi16EEEvPT0_PKT_PKT1_PKT2_il,"axG",@progbits,_ZN5aiter30swiglu_act_and_mul_bias_kernelIfDF16_lfLi16EEEvPT0_PKT_PKT1_PKT2_il,comdat
.Lfunc_end330:
	.size	_ZN5aiter30swiglu_act_and_mul_bias_kernelIfDF16_lfLi16EEEvPT0_PKT_PKT1_PKT2_il, .Lfunc_end330-_ZN5aiter30swiglu_act_and_mul_bias_kernelIfDF16_lfLi16EEEvPT0_PKT_PKT1_PKT2_il
                                        ; -- End function
	.section	.AMDGPU.csdata,"",@progbits
; Kernel info:
; codeLenInByte = 3108
; NumSgprs: 81
; NumVgprs: 61
; NumAgprs: 0
; TotalNumVgprs: 61
; ScratchSize: 0
; MemoryBound: 0
; FloatMode: 240
; IeeeMode: 1
; LDSByteSize: 0 bytes/workgroup (compile time only)
; SGPRBlocks: 10
; VGPRBlocks: 7
; NumSGPRsForWavesPerEU: 81
; NumVGPRsForWavesPerEU: 61
; AccumOffset: 64
; Occupancy: 8
; WaveLimiterHint : 0
; COMPUTE_PGM_RSRC2:SCRATCH_EN: 0
; COMPUTE_PGM_RSRC2:USER_SGPR: 2
; COMPUTE_PGM_RSRC2:TRAP_HANDLER: 0
; COMPUTE_PGM_RSRC2:TGID_X_EN: 1
; COMPUTE_PGM_RSRC2:TGID_Y_EN: 0
; COMPUTE_PGM_RSRC2:TGID_Z_EN: 0
; COMPUTE_PGM_RSRC2:TIDIG_COMP_CNT: 0
; COMPUTE_PGM_RSRC3_GFX90A:ACCUM_OFFSET: 15
; COMPUTE_PGM_RSRC3_GFX90A:TG_SPLIT: 0
	.section	.text._ZN5aiter30swiglu_act_and_mul_bias_kernelIfDF16_lfLi8EEEvPT0_PKT_PKT1_PKT2_il,"axG",@progbits,_ZN5aiter30swiglu_act_and_mul_bias_kernelIfDF16_lfLi8EEEvPT0_PKT_PKT1_PKT2_il,comdat
	.protected	_ZN5aiter30swiglu_act_and_mul_bias_kernelIfDF16_lfLi8EEEvPT0_PKT_PKT1_PKT2_il ; -- Begin function _ZN5aiter30swiglu_act_and_mul_bias_kernelIfDF16_lfLi8EEEvPT0_PKT_PKT1_PKT2_il
	.globl	_ZN5aiter30swiglu_act_and_mul_bias_kernelIfDF16_lfLi8EEEvPT0_PKT_PKT1_PKT2_il
	.p2align	8
	.type	_ZN5aiter30swiglu_act_and_mul_bias_kernelIfDF16_lfLi8EEEvPT0_PKT_PKT1_PKT2_il,@function
_ZN5aiter30swiglu_act_and_mul_bias_kernelIfDF16_lfLi8EEEvPT0_PKT_PKT1_PKT2_il: ; @_ZN5aiter30swiglu_act_and_mul_bias_kernelIfDF16_lfLi8EEEvPT0_PKT_PKT1_PKT2_il
; %bb.0:
	s_load_dwordx2 s[6:7], s[0:1], 0x0
	s_load_dwordx2 s[4:5], s[0:1], 0x10
	s_load_dword s14, s[0:1], 0x20
	s_load_dwordx2 s[8:9], s[0:1], 0x28
	s_mov_b32 s3, 0
	s_lshl_b64 s[10:11], s[2:3], 3
	s_waitcnt lgkmcnt(0)
	s_add_u32 s4, s4, s10
	s_addc_u32 s5, s5, s11
	s_ashr_i32 s15, s14, 31
	s_mul_hi_u32 s3, s14, s2
	s_mul_i32 s10, s15, s2
	s_load_dwordx2 s[4:5], s[4:5], 0x0
	s_add_i32 s11, s3, s10
	s_mul_i32 s10, s14, s2
	s_lshl_b64 s[10:11], s[10:11], 1
	s_add_u32 s16, s6, s10
	s_addc_u32 s3, s7, s11
	s_add_i32 s6, s14, 1
	s_lshr_b32 s7, s6, 31
	v_mov_b64_e32 v[2:3], s[8:9]
	s_add_i32 s6, s6, s7
	s_waitcnt lgkmcnt(0)
	v_cmp_gt_i64_e64 s[10:11], s[4:5], -1
	v_cmp_lt_i64_e32 vcc, s[4:5], v[2:3]
	s_lshl_b32 s6, s6, 1
	s_and_b64 s[8:9], s[10:11], vcc
	s_and_b32 s18, s6, -4
	s_and_b32 s17, s3, 0xffff
	s_mov_b64 s[6:7], -1
	s_and_b64 vcc, exec, s[8:9]
	v_lshlrev_b32_e32 v24, 3, v0
	s_cbranch_vccnz .LBB331_5
; %bb.1:
	v_cmp_gt_i32_e32 vcc, s14, v24
	s_and_saveexec_b64 s[6:7], vcc
	s_cbranch_execz .LBB331_4
; %bb.2:
	s_load_dword s3, s[0:1], 0x3c
	v_mov_b32_e32 v25, 0
	s_mov_b32 s9, 0
	v_lshlrev_b32_e32 v1, 4, v0
	s_mov_b64 s[10:11], 0
	s_waitcnt lgkmcnt(0)
	s_and_b32 s3, s3, 0xffff
	s_lshl_b32 s8, s3, 3
	s_lshl_b32 s3, s3, 4
	s_mov_b32 s19, 0x20000
	v_mov_b32_e32 v2, v25
	v_mov_b32_e32 v3, v25
	;; [unrolled: 1-line block ×4, first 2 shown]
	v_mov_b64_e32 v[6:7], v[24:25]
.LBB331_3:                              ; =>This Inner Loop Header: Depth=1
	v_lshl_add_u64 v[6:7], s[8:9], 0, v[6:7]
	v_cmp_le_i64_e32 vcc, s[14:15], v[6:7]
	buffer_store_dwordx4 v[2:5], v1, s[16:19], 0 offen
	s_or_b64 s[10:11], vcc, s[10:11]
	v_add_u32_e32 v1, s3, v1
	s_andn2_b64 exec, exec, s[10:11]
	s_cbranch_execnz .LBB331_3
.LBB331_4:
	s_or_b64 exec, exec, s[6:7]
	s_mov_b64 s[6:7], 0
.LBB331_5:
	s_andn2_b64 vcc, exec, s[6:7]
	s_cbranch_vccnz .LBB331_9
; %bb.6:
	v_cmp_gt_i32_e32 vcc, s14, v24
	s_and_saveexec_b64 s[6:7], vcc
	s_cbranch_execz .LBB331_9
; %bb.7:
	s_load_dwordx2 s[6:7], s[0:1], 0x8
	s_load_dwordx2 s[8:9], s[0:1], 0x18
	s_mul_i32 s3, s14, s5
	s_mul_hi_u32 s5, s14, s4
	s_add_i32 s3, s5, s3
	s_mul_i32 s5, s15, s4
	s_add_i32 s5, s3, s5
	s_mul_i32 s4, s14, s4
	s_lshl_b32 s22, s14, 2
	s_lshl_b64 s[4:5], s[4:5], 3
	s_waitcnt lgkmcnt(0)
	s_add_u32 s20, s8, s4
	s_load_dword s10, s[0:1], 0x3c
	s_addc_u32 s3, s9, s5
	s_lshl_b64 s[0:1], s[14:15], 2
	s_add_u32 s24, s20, s0
	s_addc_u32 s4, s3, s1
	s_and_b32 s21, s3, 0xffff
	s_and_b32 s25, s4, 0xffff
	s_mul_i32 s3, s2, s15
	s_mul_hi_u32 s4, s2, s14
	s_add_i32 s3, s4, s3
	s_mul_i32 s2, s2, s14
	s_lshl_b64 s[2:3], s[2:3], 3
	s_add_u32 s28, s6, s2
	s_addc_u32 s2, s7, s3
	s_add_u32 s36, s28, s0
	s_addc_u32 s0, s2, s1
	s_mov_b32 s19, 0x20000
	s_and_b32 s37, s0, 0xffff
	s_waitcnt lgkmcnt(0)
	s_and_b32 s0, s10, 0xffff
	s_mov_b32 s23, s19
	s_and_b32 s29, s2, 0xffff
	s_mov_b32 s35, 0
	v_mov_b32_e32 v25, 0
	s_lshl_b32 s34, s0, 3
	v_lshlrev_b32_e32 v26, 4, v0
	s_lshl_b32 s33, s0, 4
	v_lshlrev_b32_e32 v27, 5, v0
	s_lshl_b32 s42, s0, 5
	s_mov_b64 s[40:41], 0
	s_mov_b32 s30, s22
	s_mov_b32 s31, s19
	;; [unrolled: 1-line block ×5, first 2 shown]
	v_mov_b32_e32 v28, 0x7f800000
	s_mov_b32 s46, 0xc0e00000
	v_mov_b32_e32 v29, 0x40e00000
	s_mov_b32 s38, s22
	s_mov_b32 s39, s19
.LBB331_8:                              ; =>This Inner Loop Header: Depth=1
	buffer_load_dwordx4 v[0:3], v27, s[28:31], 0 offen
	buffer_load_dwordx4 v[4:7], v27, s[28:31], 16 offen
	;; [unrolled: 1-line block ×6, first 2 shown]
	s_mov_b32 s26, s22
	s_mov_b32 s27, s23
	buffer_load_dwordx4 v[30:33], v27, s[24:27], 0 offen
	buffer_load_dwordx4 v[34:37], v27, s[24:27], 16 offen
	v_lshl_add_u64 v[24:25], s[34:35], 0, v[24:25]
	v_cmp_le_i64_e32 vcc, s[14:15], v[24:25]
	s_or_b64 s[40:41], vcc, s[40:41]
	v_add_u32_e32 v27, s42, v27
	s_waitcnt vmcnt(5)
	v_pk_add_f32 v[2:3], v[2:3], v[18:19]
	v_pk_add_f32 v[0:1], v[0:1], v[16:17]
	v_min_f32_e32 v3, 0x40e00000, v3
	s_waitcnt vmcnt(2)
	v_pk_add_f32 v[6:7], v[6:7], v[22:23]
	v_pk_add_f32 v[4:5], v[4:5], v[20:21]
	v_min_f32_e32 v1, 0x40e00000, v1
	v_min_f32_e32 v0, 0x40e00000, v0
	;; [unrolled: 1-line block ×7, first 2 shown]
	v_mul_f32_e32 v16, 0xbfd9db23, v0
	v_mul_f32_e32 v17, 0xbfd9db23, v1
	;; [unrolled: 1-line block ×8, first 2 shown]
	s_waitcnt vmcnt(1)
	v_pk_add_f32 v[14:15], v[14:15], v[32:33]
	v_pk_add_f32 v[12:13], v[12:13], v[30:31]
	s_waitcnt vmcnt(0)
	v_pk_add_f32 v[10:11], v[10:11], v[36:37]
	v_pk_add_f32 v[8:9], v[8:9], v[34:35]
	v_mul_f32_e32 v30, 0x3fb8aa3b, v16
	v_mul_f32_e32 v31, 0x3fb8aa3b, v17
	;; [unrolled: 1-line block ×8, first 2 shown]
	v_fma_f32 v38, v16, s43, -v30
	v_rndne_f32_e32 v39, v30
	v_fma_f32 v40, v17, s43, -v31
	v_rndne_f32_e32 v41, v31
	;; [unrolled: 2-line block ×8, first 2 shown]
	v_fmac_f32_e32 v38, 0x32a5705f, v16
	v_sub_f32_e32 v30, v30, v39
	v_fmac_f32_e32 v40, 0x32a5705f, v17
	v_sub_f32_e32 v31, v31, v41
	;; [unrolled: 2-line block ×8, first 2 shown]
	v_add_f32_e32 v30, v30, v38
	v_add_f32_e32 v31, v31, v40
	;; [unrolled: 1-line block ×8, first 2 shown]
	v_cvt_i32_f32_e32 v39, v39
	v_cvt_i32_f32_e32 v41, v41
	v_cvt_i32_f32_e32 v43, v43
	v_cvt_i32_f32_e32 v45, v45
	v_cvt_i32_f32_e32 v47, v47
	v_cvt_i32_f32_e32 v49, v49
	v_cvt_i32_f32_e32 v51, v51
	v_cvt_i32_f32_e32 v53, v53
	v_exp_f32_e32 v30, v30
	v_exp_f32_e32 v31, v31
	;; [unrolled: 1-line block ×8, first 2 shown]
	v_ldexp_f32 v30, v30, v39
	v_ldexp_f32 v31, v31, v41
	v_cmp_ngt_f32_e32 vcc, s44, v17
	v_ldexp_f32 v32, v32, v43
	v_cmp_ngt_f32_e64 s[0:1], s44, v18
	v_ldexp_f32 v33, v33, v45
	v_cmp_ngt_f32_e64 s[2:3], s44, v19
	;; [unrolled: 2-line block ×6, first 2 shown]
	v_cmp_ngt_f32_e64 s[12:13], s44, v16
	v_cndmask_b32_e32 v31, 0, v31, vcc
	v_cmp_nlt_f32_e32 vcc, s45, v17
	v_cndmask_b32_e64 v30, 0, v30, s[12:13]
	v_cndmask_b32_e64 v17, 0, v32, s[0:1]
	v_cmp_nlt_f32_e64 s[0:1], s45, v18
	v_cndmask_b32_e64 v18, 0, v33, s[2:3]
	v_cmp_nlt_f32_e64 s[2:3], s45, v19
	;; [unrolled: 2-line block ×6, first 2 shown]
	v_cmp_nlt_f32_e64 s[12:13], s45, v16
	v_cndmask_b32_e32 v23, v28, v31, vcc
	v_cndmask_b32_e64 v17, v28, v17, s[0:1]
	v_cndmask_b32_e64 v16, v28, v30, s[12:13]
	v_cndmask_b32_e64 v18, v28, v18, s[2:3]
	v_cndmask_b32_e64 v19, v28, v19, s[4:5]
	v_cndmask_b32_e64 v20, v28, v20, s[6:7]
	v_cndmask_b32_e64 v21, v28, v21, s[8:9]
	v_cndmask_b32_e64 v22, v28, v22, s[10:11]
	v_add_f32_e32 v16, 1.0, v16
	v_add_f32_e32 v23, 1.0, v23
	;; [unrolled: 1-line block ×8, first 2 shown]
	v_rcp_f32_e32 v16, v16
	v_rcp_f32_e32 v17, v23
	;; [unrolled: 1-line block ×8, first 2 shown]
	v_med3_f32 v13, v13, s46, v29
	v_med3_f32 v12, v12, s46, v29
	;; [unrolled: 1-line block ×8, first 2 shown]
	v_pk_add_f32 v[12:13], v[12:13], 1.0 op_sel_hi:[1,0]
	v_pk_add_f32 v[14:15], v[14:15], 1.0 op_sel_hi:[1,0]
	;; [unrolled: 1-line block ×4, first 2 shown]
	v_pk_mul_f32 v[0:1], v[0:1], v[16:17]
	v_pk_mul_f32 v[2:3], v[2:3], v[18:19]
	;; [unrolled: 1-line block ×8, first 2 shown]
	v_cvt_f16_f32_e32 v8, v1
	v_cvt_f16_f32_e32 v1, v3
	;; [unrolled: 1-line block ×8, first 2 shown]
	v_pack_b32_f16 v3, v6, v3
	v_pack_b32_f16 v1, v2, v1
	;; [unrolled: 1-line block ×4, first 2 shown]
	buffer_store_dwordx4 v[0:3], v26, s[16:19], 0 offen
	v_add_u32_e32 v26, s33, v26
	s_andn2_b64 exec, exec, s[40:41]
	s_cbranch_execnz .LBB331_8
.LBB331_9:
	s_endpgm
	.section	.rodata,"a",@progbits
	.p2align	6, 0x0
	.amdhsa_kernel _ZN5aiter30swiglu_act_and_mul_bias_kernelIfDF16_lfLi8EEEvPT0_PKT_PKT1_PKT2_il
		.amdhsa_group_segment_fixed_size 0
		.amdhsa_private_segment_fixed_size 0
		.amdhsa_kernarg_size 304
		.amdhsa_user_sgpr_count 2
		.amdhsa_user_sgpr_dispatch_ptr 0
		.amdhsa_user_sgpr_queue_ptr 0
		.amdhsa_user_sgpr_kernarg_segment_ptr 1
		.amdhsa_user_sgpr_dispatch_id 0
		.amdhsa_user_sgpr_kernarg_preload_length 0
		.amdhsa_user_sgpr_kernarg_preload_offset 0
		.amdhsa_user_sgpr_private_segment_size 0
		.amdhsa_uses_dynamic_stack 0
		.amdhsa_enable_private_segment 0
		.amdhsa_system_sgpr_workgroup_id_x 1
		.amdhsa_system_sgpr_workgroup_id_y 0
		.amdhsa_system_sgpr_workgroup_id_z 0
		.amdhsa_system_sgpr_workgroup_info 0
		.amdhsa_system_vgpr_workitem_id 0
		.amdhsa_next_free_vgpr 54
		.amdhsa_next_free_sgpr 47
		.amdhsa_accum_offset 56
		.amdhsa_reserve_vcc 1
		.amdhsa_float_round_mode_32 0
		.amdhsa_float_round_mode_16_64 0
		.amdhsa_float_denorm_mode_32 3
		.amdhsa_float_denorm_mode_16_64 3
		.amdhsa_dx10_clamp 1
		.amdhsa_ieee_mode 1
		.amdhsa_fp16_overflow 0
		.amdhsa_tg_split 0
		.amdhsa_exception_fp_ieee_invalid_op 0
		.amdhsa_exception_fp_denorm_src 0
		.amdhsa_exception_fp_ieee_div_zero 0
		.amdhsa_exception_fp_ieee_overflow 0
		.amdhsa_exception_fp_ieee_underflow 0
		.amdhsa_exception_fp_ieee_inexact 0
		.amdhsa_exception_int_div_zero 0
	.end_amdhsa_kernel
	.section	.text._ZN5aiter30swiglu_act_and_mul_bias_kernelIfDF16_lfLi8EEEvPT0_PKT_PKT1_PKT2_il,"axG",@progbits,_ZN5aiter30swiglu_act_and_mul_bias_kernelIfDF16_lfLi8EEEvPT0_PKT_PKT1_PKT2_il,comdat
.Lfunc_end331:
	.size	_ZN5aiter30swiglu_act_and_mul_bias_kernelIfDF16_lfLi8EEEvPT0_PKT_PKT1_PKT2_il, .Lfunc_end331-_ZN5aiter30swiglu_act_and_mul_bias_kernelIfDF16_lfLi8EEEvPT0_PKT_PKT1_PKT2_il
                                        ; -- End function
	.section	.AMDGPU.csdata,"",@progbits
; Kernel info:
; codeLenInByte = 1844
; NumSgprs: 53
; NumVgprs: 54
; NumAgprs: 0
; TotalNumVgprs: 54
; ScratchSize: 0
; MemoryBound: 0
; FloatMode: 240
; IeeeMode: 1
; LDSByteSize: 0 bytes/workgroup (compile time only)
; SGPRBlocks: 6
; VGPRBlocks: 6
; NumSGPRsForWavesPerEU: 53
; NumVGPRsForWavesPerEU: 54
; AccumOffset: 56
; Occupancy: 8
; WaveLimiterHint : 0
; COMPUTE_PGM_RSRC2:SCRATCH_EN: 0
; COMPUTE_PGM_RSRC2:USER_SGPR: 2
; COMPUTE_PGM_RSRC2:TRAP_HANDLER: 0
; COMPUTE_PGM_RSRC2:TGID_X_EN: 1
; COMPUTE_PGM_RSRC2:TGID_Y_EN: 0
; COMPUTE_PGM_RSRC2:TGID_Z_EN: 0
; COMPUTE_PGM_RSRC2:TIDIG_COMP_CNT: 0
; COMPUTE_PGM_RSRC3_GFX90A:ACCUM_OFFSET: 13
; COMPUTE_PGM_RSRC3_GFX90A:TG_SPLIT: 0
	.section	.text._ZN5aiter30swiglu_act_and_mul_bias_kernelIfDF16_lfLi4EEEvPT0_PKT_PKT1_PKT2_il,"axG",@progbits,_ZN5aiter30swiglu_act_and_mul_bias_kernelIfDF16_lfLi4EEEvPT0_PKT_PKT1_PKT2_il,comdat
	.protected	_ZN5aiter30swiglu_act_and_mul_bias_kernelIfDF16_lfLi4EEEvPT0_PKT_PKT1_PKT2_il ; -- Begin function _ZN5aiter30swiglu_act_and_mul_bias_kernelIfDF16_lfLi4EEEvPT0_PKT_PKT1_PKT2_il
	.globl	_ZN5aiter30swiglu_act_and_mul_bias_kernelIfDF16_lfLi4EEEvPT0_PKT_PKT1_PKT2_il
	.p2align	8
	.type	_ZN5aiter30swiglu_act_and_mul_bias_kernelIfDF16_lfLi4EEEvPT0_PKT_PKT1_PKT2_il,@function
_ZN5aiter30swiglu_act_and_mul_bias_kernelIfDF16_lfLi4EEEvPT0_PKT_PKT1_PKT2_il: ; @_ZN5aiter30swiglu_act_and_mul_bias_kernelIfDF16_lfLi4EEEvPT0_PKT_PKT1_PKT2_il
; %bb.0:
	s_load_dwordx2 s[6:7], s[0:1], 0x0
	s_load_dwordx2 s[4:5], s[0:1], 0x10
	s_load_dword s28, s[0:1], 0x20
	s_load_dwordx2 s[12:13], s[0:1], 0x28
	s_mov_b32 s3, 0
	s_lshl_b64 s[8:9], s[2:3], 3
	s_waitcnt lgkmcnt(0)
	s_add_u32 s4, s4, s8
	s_addc_u32 s5, s5, s9
	s_ashr_i32 s29, s28, 31
	s_mul_hi_u32 s3, s28, s2
	s_mul_i32 s8, s29, s2
	s_load_dwordx2 s[4:5], s[4:5], 0x0
	s_add_i32 s9, s3, s8
	s_mul_i32 s8, s28, s2
	s_lshl_b64 s[8:9], s[8:9], 1
	s_add_u32 s8, s6, s8
	s_addc_u32 s3, s7, s9
	s_add_i32 s6, s28, 1
	s_lshr_b32 s7, s6, 31
	v_mov_b64_e32 v[2:3], s[12:13]
	s_add_i32 s6, s6, s7
	s_waitcnt lgkmcnt(0)
	v_cmp_gt_i64_e64 s[14:15], s[4:5], -1
	v_cmp_lt_i64_e32 vcc, s[4:5], v[2:3]
	s_lshl_b32 s6, s6, 1
	s_and_b64 s[12:13], s[14:15], vcc
	s_and_b32 s10, s6, -4
	s_and_b32 s9, s3, 0xffff
	s_mov_b64 s[6:7], -1
	s_and_b64 vcc, exec, s[12:13]
	v_lshlrev_b32_e32 v12, 2, v0
	s_cbranch_vccnz .LBB332_5
; %bb.1:
	v_cmp_gt_i32_e32 vcc, s28, v12
	s_and_saveexec_b64 s[6:7], vcc
	s_cbranch_execz .LBB332_4
; %bb.2:
	s_load_dword s3, s[0:1], 0x3c
	v_mov_b32_e32 v13, 0
	s_mov_b32 s13, 0
	v_lshlrev_b32_e32 v1, 3, v0
	s_mov_b64 s[14:15], 0
	s_waitcnt lgkmcnt(0)
	s_and_b32 s3, s3, 0xffff
	s_lshl_b32 s12, s3, 2
	s_lshl_b32 s3, s3, 3
	s_mov_b32 s11, 0x20000
	v_mov_b32_e32 v2, v13
	v_mov_b32_e32 v3, v13
	v_mov_b64_e32 v[4:5], v[12:13]
.LBB332_3:                              ; =>This Inner Loop Header: Depth=1
	v_lshl_add_u64 v[4:5], s[12:13], 0, v[4:5]
	v_cmp_le_i64_e32 vcc, s[28:29], v[4:5]
	buffer_store_dwordx2 v[2:3], v1, s[8:11], 0 offen
	s_or_b64 s[14:15], vcc, s[14:15]
	v_add_u32_e32 v1, s3, v1
	s_andn2_b64 exec, exec, s[14:15]
	s_cbranch_execnz .LBB332_3
.LBB332_4:
	s_or_b64 exec, exec, s[6:7]
	s_mov_b64 s[6:7], 0
.LBB332_5:
	s_andn2_b64 vcc, exec, s[6:7]
	s_cbranch_vccnz .LBB332_9
; %bb.6:
	v_cmp_gt_i32_e32 vcc, s28, v12
	s_and_saveexec_b64 s[6:7], vcc
	s_cbranch_execz .LBB332_9
; %bb.7:
	s_load_dwordx2 s[6:7], s[0:1], 0x8
	s_load_dwordx2 s[12:13], s[0:1], 0x18
	s_mul_i32 s3, s28, s5
	s_mul_hi_u32 s5, s28, s4
	s_add_i32 s3, s5, s3
	s_mul_i32 s5, s29, s4
	s_add_i32 s5, s3, s5
	s_mul_i32 s4, s28, s4
	s_lshl_b32 s14, s28, 2
	s_lshl_b64 s[4:5], s[4:5], 3
	s_waitcnt lgkmcnt(0)
	s_add_u32 s12, s12, s4
	s_load_dword s18, s[0:1], 0x3c
	s_addc_u32 s3, s13, s5
	s_lshl_b64 s[0:1], s[28:29], 2
	s_add_u32 s16, s12, s0
	s_addc_u32 s4, s3, s1
	s_and_b32 s13, s3, 0xffff
	s_and_b32 s17, s4, 0xffff
	s_mul_i32 s3, s2, s29
	s_mul_hi_u32 s4, s2, s28
	s_add_i32 s3, s4, s3
	s_mul_i32 s2, s2, s28
	s_lshl_b64 s[2:3], s[2:3], 3
	s_add_u32 s20, s6, s2
	s_addc_u32 s2, s7, s3
	s_add_u32 s24, s20, s0
	s_addc_u32 s0, s2, s1
	s_mov_b32 s11, 0x20000
	s_and_b32 s25, s0, 0xffff
	s_waitcnt lgkmcnt(0)
	s_and_b32 s0, s18, 0xffff
	s_mov_b32 s15, s11
	s_and_b32 s21, s2, 0xffff
	s_mov_b32 s31, 0
	v_mov_b32_e32 v13, 0
	s_lshl_b32 s30, s0, 2
	v_lshlrev_b32_e32 v14, 3, v0
	s_lshl_b32 s33, s0, 3
	v_lshlrev_b32_e32 v15, 4, v0
	s_lshl_b32 s36, s0, 4
	s_mov_b64 s[34:35], 0
	s_mov_b32 s22, s14
	s_mov_b32 s23, s11
	;; [unrolled: 1-line block ×5, first 2 shown]
	v_mov_b32_e32 v16, 0x7f800000
	s_mov_b32 s40, 0xc0e00000
	v_mov_b32_e32 v17, 0x40e00000
	s_mov_b32 s26, s14
	s_mov_b32 s27, s11
.LBB332_8:                              ; =>This Inner Loop Header: Depth=1
	buffer_load_dwordx4 v[4:7], v15, s[20:23], 0 offen
	buffer_load_dwordx4 v[0:3], v15, s[24:27], 0 offen
	;; [unrolled: 1-line block ×3, first 2 shown]
	s_mov_b32 s18, s14
	s_mov_b32 s19, s15
	buffer_load_dwordx4 v[18:21], v15, s[16:19], 0 offen
	v_lshl_add_u64 v[12:13], s[30:31], 0, v[12:13]
	v_cmp_le_i64_e32 vcc, s[28:29], v[12:13]
	v_add_u32_e32 v15, s36, v15
	s_or_b64 s[34:35], vcc, s[34:35]
	s_waitcnt vmcnt(1)
	v_pk_add_f32 v[6:7], v[6:7], v[10:11]
	v_pk_add_f32 v[4:5], v[4:5], v[8:9]
	v_min_f32_e32 v7, 0x40e00000, v7
	v_min_f32_e32 v5, 0x40e00000, v5
	;; [unrolled: 1-line block ×4, first 2 shown]
	v_mul_f32_e32 v8, 0xbfd9db23, v4
	v_mul_f32_e32 v9, 0xbfd9db23, v5
	;; [unrolled: 1-line block ×4, first 2 shown]
	s_waitcnt vmcnt(0)
	v_pk_add_f32 v[2:3], v[2:3], v[20:21]
	v_pk_add_f32 v[0:1], v[0:1], v[18:19]
	v_mul_f32_e32 v18, 0x3fb8aa3b, v8
	v_mul_f32_e32 v19, 0x3fb8aa3b, v9
	;; [unrolled: 1-line block ×4, first 2 shown]
	v_fma_f32 v22, v8, s37, -v18
	v_rndne_f32_e32 v23, v18
	v_fma_f32 v24, v9, s37, -v19
	v_rndne_f32_e32 v25, v19
	v_fma_f32 v26, v10, s37, -v20
	v_rndne_f32_e32 v27, v20
	v_fma_f32 v28, v11, s37, -v21
	v_rndne_f32_e32 v29, v21
	v_fmac_f32_e32 v22, 0x32a5705f, v8
	v_sub_f32_e32 v18, v18, v23
	v_fmac_f32_e32 v24, 0x32a5705f, v9
	v_sub_f32_e32 v19, v19, v25
	v_fmac_f32_e32 v26, 0x32a5705f, v10
	v_sub_f32_e32 v20, v20, v27
	v_fmac_f32_e32 v28, 0x32a5705f, v11
	v_sub_f32_e32 v21, v21, v29
	v_add_f32_e32 v18, v18, v22
	v_add_f32_e32 v19, v19, v24
	;; [unrolled: 1-line block ×4, first 2 shown]
	v_cvt_i32_f32_e32 v23, v23
	v_cvt_i32_f32_e32 v25, v25
	;; [unrolled: 1-line block ×4, first 2 shown]
	v_exp_f32_e32 v18, v18
	v_exp_f32_e32 v19, v19
	;; [unrolled: 1-line block ×4, first 2 shown]
	v_ldexp_f32 v18, v18, v23
	v_ldexp_f32 v19, v19, v25
	v_cmp_ngt_f32_e64 s[0:1], s38, v9
	v_ldexp_f32 v20, v20, v27
	v_cmp_ngt_f32_e64 s[2:3], s38, v10
	;; [unrolled: 2-line block ×3, first 2 shown]
	v_cmp_ngt_f32_e64 s[6:7], s38, v8
	v_cndmask_b32_e64 v19, 0, v19, s[0:1]
	v_cmp_nlt_f32_e64 s[0:1], s39, v9
	v_cndmask_b32_e64 v18, 0, v18, s[6:7]
	v_cndmask_b32_e64 v9, 0, v20, s[2:3]
	v_cmp_nlt_f32_e64 s[2:3], s39, v10
	v_cndmask_b32_e64 v10, 0, v21, s[4:5]
	v_cmp_nlt_f32_e64 s[4:5], s39, v11
	v_cmp_nlt_f32_e64 s[6:7], s39, v8
	v_cndmask_b32_e64 v11, v16, v19, s[0:1]
	v_cndmask_b32_e64 v9, v16, v9, s[2:3]
	;; [unrolled: 1-line block ×4, first 2 shown]
	v_add_f32_e32 v8, 1.0, v8
	v_add_f32_e32 v11, 1.0, v11
	;; [unrolled: 1-line block ×4, first 2 shown]
	v_rcp_f32_e32 v8, v8
	v_rcp_f32_e32 v9, v11
	;; [unrolled: 1-line block ×4, first 2 shown]
	v_med3_f32 v1, v1, s40, v17
	v_med3_f32 v0, v0, s40, v17
	;; [unrolled: 1-line block ×4, first 2 shown]
	v_pk_add_f32 v[0:1], v[0:1], 1.0 op_sel_hi:[1,0]
	v_pk_add_f32 v[2:3], v[2:3], 1.0 op_sel_hi:[1,0]
	v_pk_mul_f32 v[4:5], v[4:5], v[8:9]
	v_pk_mul_f32 v[6:7], v[6:7], v[10:11]
	v_pk_mul_f32 v[0:1], v[0:1], v[4:5]
	v_pk_mul_f32 v[2:3], v[2:3], v[6:7]
	v_cvt_f16_f32_e32 v4, v1
	v_cvt_f16_f32_e32 v1, v3
	;; [unrolled: 1-line block ×4, first 2 shown]
	v_pack_b32_f16 v1, v2, v1
	v_pack_b32_f16 v0, v0, v4
	buffer_store_dwordx2 v[0:1], v14, s[8:11], 0 offen
	v_add_u32_e32 v14, s33, v14
	s_andn2_b64 exec, exec, s[34:35]
	s_cbranch_execnz .LBB332_8
.LBB332_9:
	s_endpgm
	.section	.rodata,"a",@progbits
	.p2align	6, 0x0
	.amdhsa_kernel _ZN5aiter30swiglu_act_and_mul_bias_kernelIfDF16_lfLi4EEEvPT0_PKT_PKT1_PKT2_il
		.amdhsa_group_segment_fixed_size 0
		.amdhsa_private_segment_fixed_size 0
		.amdhsa_kernarg_size 304
		.amdhsa_user_sgpr_count 2
		.amdhsa_user_sgpr_dispatch_ptr 0
		.amdhsa_user_sgpr_queue_ptr 0
		.amdhsa_user_sgpr_kernarg_segment_ptr 1
		.amdhsa_user_sgpr_dispatch_id 0
		.amdhsa_user_sgpr_kernarg_preload_length 0
		.amdhsa_user_sgpr_kernarg_preload_offset 0
		.amdhsa_user_sgpr_private_segment_size 0
		.amdhsa_uses_dynamic_stack 0
		.amdhsa_enable_private_segment 0
		.amdhsa_system_sgpr_workgroup_id_x 1
		.amdhsa_system_sgpr_workgroup_id_y 0
		.amdhsa_system_sgpr_workgroup_id_z 0
		.amdhsa_system_sgpr_workgroup_info 0
		.amdhsa_system_vgpr_workitem_id 0
		.amdhsa_next_free_vgpr 30
		.amdhsa_next_free_sgpr 41
		.amdhsa_accum_offset 32
		.amdhsa_reserve_vcc 1
		.amdhsa_float_round_mode_32 0
		.amdhsa_float_round_mode_16_64 0
		.amdhsa_float_denorm_mode_32 3
		.amdhsa_float_denorm_mode_16_64 3
		.amdhsa_dx10_clamp 1
		.amdhsa_ieee_mode 1
		.amdhsa_fp16_overflow 0
		.amdhsa_tg_split 0
		.amdhsa_exception_fp_ieee_invalid_op 0
		.amdhsa_exception_fp_denorm_src 0
		.amdhsa_exception_fp_ieee_div_zero 0
		.amdhsa_exception_fp_ieee_overflow 0
		.amdhsa_exception_fp_ieee_underflow 0
		.amdhsa_exception_fp_ieee_inexact 0
		.amdhsa_exception_int_div_zero 0
	.end_amdhsa_kernel
	.section	.text._ZN5aiter30swiglu_act_and_mul_bias_kernelIfDF16_lfLi4EEEvPT0_PKT_PKT1_PKT2_il,"axG",@progbits,_ZN5aiter30swiglu_act_and_mul_bias_kernelIfDF16_lfLi4EEEvPT0_PKT_PKT1_PKT2_il,comdat
.Lfunc_end332:
	.size	_ZN5aiter30swiglu_act_and_mul_bias_kernelIfDF16_lfLi4EEEvPT0_PKT_PKT1_PKT2_il, .Lfunc_end332-_ZN5aiter30swiglu_act_and_mul_bias_kernelIfDF16_lfLi4EEEvPT0_PKT_PKT1_PKT2_il
                                        ; -- End function
	.section	.AMDGPU.csdata,"",@progbits
; Kernel info:
; codeLenInByte = 1236
; NumSgprs: 47
; NumVgprs: 30
; NumAgprs: 0
; TotalNumVgprs: 30
; ScratchSize: 0
; MemoryBound: 0
; FloatMode: 240
; IeeeMode: 1
; LDSByteSize: 0 bytes/workgroup (compile time only)
; SGPRBlocks: 5
; VGPRBlocks: 3
; NumSGPRsForWavesPerEU: 47
; NumVGPRsForWavesPerEU: 30
; AccumOffset: 32
; Occupancy: 8
; WaveLimiterHint : 0
; COMPUTE_PGM_RSRC2:SCRATCH_EN: 0
; COMPUTE_PGM_RSRC2:USER_SGPR: 2
; COMPUTE_PGM_RSRC2:TRAP_HANDLER: 0
; COMPUTE_PGM_RSRC2:TGID_X_EN: 1
; COMPUTE_PGM_RSRC2:TGID_Y_EN: 0
; COMPUTE_PGM_RSRC2:TGID_Z_EN: 0
; COMPUTE_PGM_RSRC2:TIDIG_COMP_CNT: 0
; COMPUTE_PGM_RSRC3_GFX90A:ACCUM_OFFSET: 7
; COMPUTE_PGM_RSRC3_GFX90A:TG_SPLIT: 0
	.section	.text._ZN5aiter30swiglu_act_and_mul_bias_kernelIfDF16_lfLi2EEEvPT0_PKT_PKT1_PKT2_il,"axG",@progbits,_ZN5aiter30swiglu_act_and_mul_bias_kernelIfDF16_lfLi2EEEvPT0_PKT_PKT1_PKT2_il,comdat
	.protected	_ZN5aiter30swiglu_act_and_mul_bias_kernelIfDF16_lfLi2EEEvPT0_PKT_PKT1_PKT2_il ; -- Begin function _ZN5aiter30swiglu_act_and_mul_bias_kernelIfDF16_lfLi2EEEvPT0_PKT_PKT1_PKT2_il
	.globl	_ZN5aiter30swiglu_act_and_mul_bias_kernelIfDF16_lfLi2EEEvPT0_PKT_PKT1_PKT2_il
	.p2align	8
	.type	_ZN5aiter30swiglu_act_and_mul_bias_kernelIfDF16_lfLi2EEEvPT0_PKT_PKT1_PKT2_il,@function
_ZN5aiter30swiglu_act_and_mul_bias_kernelIfDF16_lfLi2EEEvPT0_PKT_PKT1_PKT2_il: ; @_ZN5aiter30swiglu_act_and_mul_bias_kernelIfDF16_lfLi2EEEvPT0_PKT_PKT1_PKT2_il
; %bb.0:
	s_load_dwordx2 s[4:5], s[0:1], 0x0
	s_load_dwordx2 s[6:7], s[0:1], 0x10
	s_load_dword s24, s[0:1], 0x20
	s_load_dwordx2 s[12:13], s[0:1], 0x28
	s_mov_b32 s3, 0
	s_lshl_b64 s[8:9], s[2:3], 3
	s_waitcnt lgkmcnt(0)
	s_add_u32 s6, s6, s8
	s_addc_u32 s7, s7, s9
	s_ashr_i32 s25, s24, 31
	s_load_dwordx2 s[8:9], s[6:7], 0x0
	s_mul_hi_u32 s3, s24, s2
	s_mul_i32 s6, s25, s2
	s_add_i32 s7, s3, s6
	s_mul_i32 s6, s24, s2
	s_lshl_b64 s[6:7], s[6:7], 1
	s_add_u32 s4, s4, s6
	s_addc_u32 s3, s5, s7
	s_add_i32 s5, s24, 1
	s_lshr_b32 s6, s5, 31
	v_mov_b64_e32 v[2:3], s[12:13]
	s_add_i32 s5, s5, s6
	s_waitcnt lgkmcnt(0)
	v_cmp_gt_i64_e64 s[14:15], s[8:9], -1
	v_cmp_lt_i64_e32 vcc, s[8:9], v[2:3]
	s_lshl_b32 s5, s5, 1
	s_and_b64 s[12:13], s[14:15], vcc
	s_and_b32 s6, s5, -4
	s_and_b32 s5, s3, 0xffff
	s_mov_b64 s[10:11], -1
	s_and_b64 vcc, exec, s[12:13]
	v_lshlrev_b32_e32 v2, 1, v0
	s_cbranch_vccnz .LBB333_5
; %bb.1:
	v_cmp_gt_i32_e32 vcc, s24, v2
	s_and_saveexec_b64 s[10:11], vcc
	s_cbranch_execz .LBB333_4
; %bb.2:
	s_load_dword s3, s[0:1], 0x3c
	v_mov_b32_e32 v3, 0
	s_mov_b32 s13, 0
	v_lshlrev_b32_e32 v1, 2, v0
	s_mov_b64 s[14:15], 0
	s_waitcnt lgkmcnt(0)
	s_and_b32 s3, s3, 0xffff
	s_lshl_b32 s12, s3, 1
	s_lshl_b32 s3, s3, 2
	s_mov_b32 s7, 0x20000
	v_mov_b64_e32 v[4:5], v[2:3]
.LBB333_3:                              ; =>This Inner Loop Header: Depth=1
	v_lshl_add_u64 v[4:5], s[12:13], 0, v[4:5]
	v_cmp_le_i64_e32 vcc, s[24:25], v[4:5]
	buffer_store_dword v3, v1, s[4:7], 0 offen
	s_or_b64 s[14:15], vcc, s[14:15]
	v_add_u32_e32 v1, s3, v1
	s_andn2_b64 exec, exec, s[14:15]
	s_cbranch_execnz .LBB333_3
.LBB333_4:
	s_or_b64 exec, exec, s[10:11]
	s_mov_b64 s[10:11], 0
.LBB333_5:
	s_andn2_b64 vcc, exec, s[10:11]
	s_cbranch_vccnz .LBB333_9
; %bb.6:
	v_cmp_gt_i32_e32 vcc, s24, v2
	s_and_saveexec_b64 s[10:11], vcc
	s_cbranch_execz .LBB333_9
; %bb.7:
	s_load_dwordx2 s[14:15], s[0:1], 0x8
	s_load_dwordx2 s[12:13], s[0:1], 0x18
	s_mul_i32 s3, s24, s9
	s_mul_hi_u32 s7, s24, s8
	s_add_i32 s3, s7, s3
	s_mul_i32 s7, s25, s8
	s_add_i32 s9, s3, s7
	s_mul_i32 s8, s24, s8
	s_lshl_b32 s10, s24, 2
	s_lshl_b64 s[8:9], s[8:9], 3
	s_waitcnt lgkmcnt(0)
	s_add_u32 s8, s12, s8
	s_load_dword s18, s[0:1], 0x3c
	s_addc_u32 s3, s13, s9
	s_lshl_b64 s[0:1], s[24:25], 2
	s_add_u32 s12, s8, s0
	s_addc_u32 s13, s3, s1
	s_and_b32 s9, s3, 0xffff
	s_mul_i32 s3, s2, s25
	s_mul_hi_u32 s16, s2, s24
	s_add_i32 s3, s16, s3
	s_mul_i32 s2, s2, s24
	s_and_b32 s13, s13, 0xffff
	s_lshl_b64 s[2:3], s[2:3], 3
	s_add_u32 s16, s14, s2
	s_addc_u32 s2, s15, s3
	s_add_u32 s20, s16, s0
	s_addc_u32 s0, s2, s1
	s_mov_b32 s7, 0x20000
	s_and_b32 s21, s0, 0xffff
	s_waitcnt lgkmcnt(0)
	s_and_b32 s0, s18, 0xffff
	s_mov_b32 s11, s7
	s_and_b32 s17, s2, 0xffff
	s_mov_b32 s3, 0
	v_mov_b32_e32 v3, 0
	s_lshl_b32 s2, s0, 1
	v_lshlrev_b32_e32 v1, 2, v0
	s_lshl_b32 s28, s0, 2
	v_lshlrev_b32_e32 v0, 3, v0
	s_lshl_b32 s29, s0, 3
	s_mov_b64 s[26:27], 0
	s_mov_b32 s18, s10
	s_mov_b32 s19, s7
	;; [unrolled: 1-line block ×5, first 2 shown]
	v_mov_b32_e32 v4, 0x7f800000
	s_mov_b32 s34, 0xc0e00000
	v_mov_b32_e32 v5, 0x40e00000
	s_mov_b32 s22, s10
	s_mov_b32 s23, s7
.LBB333_8:                              ; =>This Inner Loop Header: Depth=1
	buffer_load_dwordx2 v[6:7], v0, s[16:19], 0 offen
	buffer_load_dwordx2 v[8:9], v0, s[20:23], 0 offen
	;; [unrolled: 1-line block ×3, first 2 shown]
	s_mov_b32 s14, s10
	s_mov_b32 s15, s11
	buffer_load_dwordx2 v[12:13], v0, s[12:15], 0 offen
	v_lshl_add_u64 v[2:3], s[2:3], 0, v[2:3]
	v_add_u32_e32 v0, s29, v0
	s_waitcnt vmcnt(1)
	v_pk_add_f32 v[6:7], v[6:7], v[10:11]
	s_nop 0
	v_min_f32_e32 v7, 0x40e00000, v7
	v_min_f32_e32 v6, 0x40e00000, v6
	v_mul_f32_e32 v10, 0xbfd9db23, v6
	v_mul_f32_e32 v11, 0xbfd9db23, v7
	s_waitcnt vmcnt(0)
	v_pk_add_f32 v[8:9], v[8:9], v[12:13]
	v_mul_f32_e32 v12, 0x3fb8aa3b, v10
	v_mul_f32_e32 v13, 0x3fb8aa3b, v11
	v_fma_f32 v14, v10, s30, -v12
	v_rndne_f32_e32 v15, v12
	v_fma_f32 v16, v11, s30, -v13
	v_rndne_f32_e32 v17, v13
	v_fmac_f32_e32 v14, 0x32a5705f, v10
	v_sub_f32_e32 v12, v12, v15
	v_fmac_f32_e32 v16, 0x32a5705f, v11
	v_sub_f32_e32 v13, v13, v17
	v_add_f32_e32 v12, v12, v14
	v_add_f32_e32 v13, v13, v16
	v_cvt_i32_f32_e32 v15, v15
	v_cvt_i32_f32_e32 v17, v17
	v_exp_f32_e32 v12, v12
	v_exp_f32_e32 v13, v13
	v_cmp_ngt_f32_e32 vcc, s31, v11
	v_cmp_ngt_f32_e64 s[0:1], s31, v10
	v_ldexp_f32 v12, v12, v15
	v_ldexp_f32 v13, v13, v17
	v_cndmask_b32_e64 v12, 0, v12, s[0:1]
	v_cndmask_b32_e32 v13, 0, v13, vcc
	v_cmp_nlt_f32_e32 vcc, s33, v11
	v_cmp_nlt_f32_e64 s[0:1], s33, v10
	v_med3_f32 v9, v9, s34, v5
	v_cndmask_b32_e32 v11, v4, v13, vcc
	v_cndmask_b32_e64 v10, v4, v12, s[0:1]
	v_add_f32_e32 v10, 1.0, v10
	v_add_f32_e32 v11, 1.0, v11
	v_rcp_f32_e32 v10, v10
	v_rcp_f32_e32 v11, v11
	v_med3_f32 v8, v8, s34, v5
	v_pk_add_f32 v[8:9], v[8:9], 1.0 op_sel_hi:[1,0]
	v_cmp_le_i64_e32 vcc, s[24:25], v[2:3]
	v_pk_mul_f32 v[6:7], v[6:7], v[10:11]
	s_or_b64 s[26:27], vcc, s[26:27]
	v_pk_mul_f32 v[6:7], v[8:9], v[6:7]
	s_nop 0
	v_cvt_f16_f32_e32 v7, v7
	v_cvt_f16_f32_e32 v6, v6
	v_pack_b32_f16 v6, v6, v7
	buffer_store_dword v6, v1, s[4:7], 0 offen
	v_add_u32_e32 v1, s28, v1
	s_andn2_b64 exec, exec, s[26:27]
	s_cbranch_execnz .LBB333_8
.LBB333_9:
	s_endpgm
	.section	.rodata,"a",@progbits
	.p2align	6, 0x0
	.amdhsa_kernel _ZN5aiter30swiglu_act_and_mul_bias_kernelIfDF16_lfLi2EEEvPT0_PKT_PKT1_PKT2_il
		.amdhsa_group_segment_fixed_size 0
		.amdhsa_private_segment_fixed_size 0
		.amdhsa_kernarg_size 304
		.amdhsa_user_sgpr_count 2
		.amdhsa_user_sgpr_dispatch_ptr 0
		.amdhsa_user_sgpr_queue_ptr 0
		.amdhsa_user_sgpr_kernarg_segment_ptr 1
		.amdhsa_user_sgpr_dispatch_id 0
		.amdhsa_user_sgpr_kernarg_preload_length 0
		.amdhsa_user_sgpr_kernarg_preload_offset 0
		.amdhsa_user_sgpr_private_segment_size 0
		.amdhsa_uses_dynamic_stack 0
		.amdhsa_enable_private_segment 0
		.amdhsa_system_sgpr_workgroup_id_x 1
		.amdhsa_system_sgpr_workgroup_id_y 0
		.amdhsa_system_sgpr_workgroup_id_z 0
		.amdhsa_system_sgpr_workgroup_info 0
		.amdhsa_system_vgpr_workitem_id 0
		.amdhsa_next_free_vgpr 18
		.amdhsa_next_free_sgpr 35
		.amdhsa_accum_offset 20
		.amdhsa_reserve_vcc 1
		.amdhsa_float_round_mode_32 0
		.amdhsa_float_round_mode_16_64 0
		.amdhsa_float_denorm_mode_32 3
		.amdhsa_float_denorm_mode_16_64 3
		.amdhsa_dx10_clamp 1
		.amdhsa_ieee_mode 1
		.amdhsa_fp16_overflow 0
		.amdhsa_tg_split 0
		.amdhsa_exception_fp_ieee_invalid_op 0
		.amdhsa_exception_fp_denorm_src 0
		.amdhsa_exception_fp_ieee_div_zero 0
		.amdhsa_exception_fp_ieee_overflow 0
		.amdhsa_exception_fp_ieee_underflow 0
		.amdhsa_exception_fp_ieee_inexact 0
		.amdhsa_exception_int_div_zero 0
	.end_amdhsa_kernel
	.section	.text._ZN5aiter30swiglu_act_and_mul_bias_kernelIfDF16_lfLi2EEEvPT0_PKT_PKT1_PKT2_il,"axG",@progbits,_ZN5aiter30swiglu_act_and_mul_bias_kernelIfDF16_lfLi2EEEvPT0_PKT_PKT1_PKT2_il,comdat
.Lfunc_end333:
	.size	_ZN5aiter30swiglu_act_and_mul_bias_kernelIfDF16_lfLi2EEEvPT0_PKT_PKT1_PKT2_il, .Lfunc_end333-_ZN5aiter30swiglu_act_and_mul_bias_kernelIfDF16_lfLi2EEEvPT0_PKT_PKT1_PKT2_il
                                        ; -- End function
	.section	.AMDGPU.csdata,"",@progbits
; Kernel info:
; codeLenInByte = 932
; NumSgprs: 41
; NumVgprs: 18
; NumAgprs: 0
; TotalNumVgprs: 18
; ScratchSize: 0
; MemoryBound: 0
; FloatMode: 240
; IeeeMode: 1
; LDSByteSize: 0 bytes/workgroup (compile time only)
; SGPRBlocks: 5
; VGPRBlocks: 2
; NumSGPRsForWavesPerEU: 41
; NumVGPRsForWavesPerEU: 18
; AccumOffset: 20
; Occupancy: 8
; WaveLimiterHint : 0
; COMPUTE_PGM_RSRC2:SCRATCH_EN: 0
; COMPUTE_PGM_RSRC2:USER_SGPR: 2
; COMPUTE_PGM_RSRC2:TRAP_HANDLER: 0
; COMPUTE_PGM_RSRC2:TGID_X_EN: 1
; COMPUTE_PGM_RSRC2:TGID_Y_EN: 0
; COMPUTE_PGM_RSRC2:TGID_Z_EN: 0
; COMPUTE_PGM_RSRC2:TIDIG_COMP_CNT: 0
; COMPUTE_PGM_RSRC3_GFX90A:ACCUM_OFFSET: 4
; COMPUTE_PGM_RSRC3_GFX90A:TG_SPLIT: 0
	.section	.text._ZN5aiter30swiglu_act_and_mul_bias_kernelIfDF16_lfLi1EEEvPT0_PKT_PKT1_PKT2_il,"axG",@progbits,_ZN5aiter30swiglu_act_and_mul_bias_kernelIfDF16_lfLi1EEEvPT0_PKT_PKT1_PKT2_il,comdat
	.protected	_ZN5aiter30swiglu_act_and_mul_bias_kernelIfDF16_lfLi1EEEvPT0_PKT_PKT1_PKT2_il ; -- Begin function _ZN5aiter30swiglu_act_and_mul_bias_kernelIfDF16_lfLi1EEEvPT0_PKT_PKT1_PKT2_il
	.globl	_ZN5aiter30swiglu_act_and_mul_bias_kernelIfDF16_lfLi1EEEvPT0_PKT_PKT1_PKT2_il
	.p2align	8
	.type	_ZN5aiter30swiglu_act_and_mul_bias_kernelIfDF16_lfLi1EEEvPT0_PKT_PKT1_PKT2_il,@function
_ZN5aiter30swiglu_act_and_mul_bias_kernelIfDF16_lfLi1EEEvPT0_PKT_PKT1_PKT2_il: ; @_ZN5aiter30swiglu_act_and_mul_bias_kernelIfDF16_lfLi1EEEvPT0_PKT_PKT1_PKT2_il
; %bb.0:
	s_load_dwordx2 s[4:5], s[0:1], 0x0
	s_load_dwordx2 s[6:7], s[0:1], 0x10
	s_load_dword s20, s[0:1], 0x20
	s_load_dwordx2 s[14:15], s[0:1], 0x28
	s_mov_b32 s3, 0
	s_lshl_b64 s[8:9], s[2:3], 3
	s_waitcnt lgkmcnt(0)
	s_add_u32 s6, s6, s8
	s_addc_u32 s7, s7, s9
	s_ashr_i32 s21, s20, 31
	s_load_dwordx2 s[12:13], s[6:7], 0x0
	s_mul_hi_u32 s3, s20, s2
	s_mul_i32 s6, s21, s2
	s_add_i32 s7, s3, s6
	s_mul_i32 s6, s20, s2
	s_lshl_b64 s[6:7], s[6:7], 1
	s_add_u32 s8, s4, s6
	s_addc_u32 s3, s5, s7
	s_add_i32 s4, s20, 1
	s_lshr_b32 s5, s4, 31
	s_add_i32 s4, s4, s5
	s_lshl_b32 s4, s4, 1
	v_mov_b64_e32 v[2:3], s[14:15]
	s_and_b32 s10, s4, -4
	s_waitcnt lgkmcnt(0)
	v_cmp_gt_i64_e64 s[4:5], s[12:13], -1
	v_cmp_lt_i64_e32 vcc, s[12:13], v[2:3]
	s_and_b64 s[4:5], s[4:5], vcc
	s_and_b32 s9, s3, 0xffff
	s_mov_b64 s[6:7], -1
	s_and_b64 vcc, exec, s[4:5]
	v_cmp_gt_i32_e64 s[4:5], s20, v0
	s_cbranch_vccnz .LBB334_5
; %bb.1:
	s_and_saveexec_b64 s[6:7], s[4:5]
	s_cbranch_execz .LBB334_4
; %bb.2:
	s_load_dword s3, s[0:1], 0x3c
	v_mov_b32_e32 v1, 0
	s_mov_b32 s5, 0
	v_lshlrev_b32_e32 v4, 1, v0
	s_mov_b64 s[14:15], 0
	s_waitcnt lgkmcnt(0)
	s_and_b32 s4, s3, 0xffff
	s_lshl_b32 s3, s4, 1
	s_mov_b32 s11, 0x20000
	v_mov_b64_e32 v[2:3], v[0:1]
.LBB334_3:                              ; =>This Inner Loop Header: Depth=1
	v_lshl_add_u64 v[2:3], v[2:3], 0, s[4:5]
	v_cmp_le_i64_e32 vcc, s[20:21], v[2:3]
	buffer_store_short v1, v4, s[8:11], 0 offen
	s_or_b64 s[14:15], vcc, s[14:15]
	v_add_u32_e32 v4, s3, v4
	s_andn2_b64 exec, exec, s[14:15]
	s_cbranch_execnz .LBB334_3
.LBB334_4:
	s_or_b64 exec, exec, s[6:7]
	s_mov_b64 s[6:7], 0
.LBB334_5:
	s_andn2_b64 vcc, exec, s[6:7]
	s_cbranch_vccnz .LBB334_9
; %bb.6:
	v_cmp_gt_i32_e32 vcc, s20, v0
	s_and_saveexec_b64 s[4:5], vcc
	s_cbranch_execz .LBB334_9
; %bb.7:
	s_mul_i32 s3, s20, s13
	s_mul_hi_u32 s4, s20, s12
	s_add_i32 s3, s4, s3
	s_load_dwordx2 s[14:15], s[0:1], 0x8
	s_load_dwordx2 s[4:5], s[0:1], 0x18
	s_mul_i32 s7, s21, s12
	s_add_i32 s13, s3, s7
	s_mul_i32 s12, s20, s12
	s_lshl_b32 s6, s20, 2
	s_lshl_b64 s[12:13], s[12:13], 3
	s_waitcnt lgkmcnt(0)
	s_add_u32 s4, s4, s12
	s_load_dword s18, s[0:1], 0x3c
	s_addc_u32 s1, s5, s13
	s_lshl_b64 s[16:17], s[20:21], 2
	s_add_u32 s0, s4, s16
	s_addc_u32 s3, s1, s17
	s_and_b32 s5, s1, 0xffff
	s_and_b32 s1, s3, 0xffff
	s_mul_i32 s3, s2, s21
	s_mul_hi_u32 s12, s2, s20
	s_add_i32 s3, s12, s3
	s_mul_i32 s2, s2, s20
	s_lshl_b64 s[2:3], s[2:3], 3
	s_add_u32 s12, s14, s2
	s_addc_u32 s2, s15, s3
	s_add_u32 s16, s12, s16
	s_mov_b32 s11, 0x20000
	s_addc_u32 s3, s2, s17
	s_waitcnt lgkmcnt(0)
	s_and_b32 s22, s18, 0xffff
	s_mov_b32 s7, s11
	s_and_b32 s13, s2, 0xffff
	s_and_b32 s17, s3, 0xffff
	s_mov_b32 s23, 0
	v_mov_b32_e32 v1, 0
	v_lshlrev_b32_e32 v2, 1, v0
	s_lshl_b32 s26, s22, 1
	v_lshlrev_b32_e32 v3, 2, v0
	s_lshl_b32 s27, s22, 2
	s_mov_b64 s[24:25], 0
	s_mov_b32 s14, s6
	s_mov_b32 s15, s11
	;; [unrolled: 1-line block ×5, first 2 shown]
	v_mov_b32_e32 v4, 0x7f800000
	s_mov_b32 s18, s6
	s_mov_b32 s19, s11
.LBB334_8:                              ; =>This Inner Loop Header: Depth=1
	buffer_load_dword v5, v3, s[12:15], 0 offen
	buffer_load_dword v6, v3, s[16:19], 0 offen
	s_mov_b32 s2, s6
	s_mov_b32 s3, s7
	buffer_load_dword v7, v3, s[4:7], 0 offen
	buffer_load_dword v8, v3, s[0:3], 0 offen
	v_lshl_add_u64 v[0:1], v[0:1], 0, s[22:23]
	v_cmp_le_i64_e32 vcc, s[20:21], v[0:1]
	s_or_b64 s[24:25], vcc, s[24:25]
	v_add_u32_e32 v3, s27, v3
	s_waitcnt vmcnt(1)
	v_add_f32_e32 v5, v5, v7
	v_min_f32_e32 v5, 0x40e00000, v5
	v_mul_f32_e32 v7, 0xbfd9db23, v5
	s_waitcnt vmcnt(0)
	v_add_f32_e32 v6, v6, v8
	v_mul_f32_e32 v8, 0x3fb8aa3b, v7
	v_fma_f32 v9, v7, s28, -v8
	v_rndne_f32_e32 v10, v8
	v_fmac_f32_e32 v9, 0x32a5705f, v7
	v_sub_f32_e32 v8, v8, v10
	v_add_f32_e32 v8, v8, v9
	v_cvt_i32_f32_e32 v10, v10
	v_exp_f32_e32 v8, v8
	v_cmp_ngt_f32_e32 vcc, s29, v7
	v_max_f32_e32 v6, 0xc0e00000, v6
	v_min_f32_e32 v6, 0x40e00000, v6
	v_ldexp_f32 v8, v8, v10
	v_cndmask_b32_e32 v8, 0, v8, vcc
	v_cmp_nlt_f32_e32 vcc, s30, v7
	v_add_f32_e32 v6, 1.0, v6
	s_nop 0
	v_cndmask_b32_e32 v7, v4, v8, vcc
	v_add_f32_e32 v7, 1.0, v7
	v_rcp_f32_e32 v7, v7
	s_nop 0
	v_mul_f32_e32 v5, v5, v7
	v_fma_mixlo_f16 v5, v6, v5, 0
	buffer_store_short v5, v2, s[8:11], 0 offen
	v_add_u32_e32 v2, s26, v2
	s_andn2_b64 exec, exec, s[24:25]
	s_cbranch_execnz .LBB334_8
.LBB334_9:
	s_endpgm
	.section	.rodata,"a",@progbits
	.p2align	6, 0x0
	.amdhsa_kernel _ZN5aiter30swiglu_act_and_mul_bias_kernelIfDF16_lfLi1EEEvPT0_PKT_PKT1_PKT2_il
		.amdhsa_group_segment_fixed_size 0
		.amdhsa_private_segment_fixed_size 0
		.amdhsa_kernarg_size 304
		.amdhsa_user_sgpr_count 2
		.amdhsa_user_sgpr_dispatch_ptr 0
		.amdhsa_user_sgpr_queue_ptr 0
		.amdhsa_user_sgpr_kernarg_segment_ptr 1
		.amdhsa_user_sgpr_dispatch_id 0
		.amdhsa_user_sgpr_kernarg_preload_length 0
		.amdhsa_user_sgpr_kernarg_preload_offset 0
		.amdhsa_user_sgpr_private_segment_size 0
		.amdhsa_uses_dynamic_stack 0
		.amdhsa_enable_private_segment 0
		.amdhsa_system_sgpr_workgroup_id_x 1
		.amdhsa_system_sgpr_workgroup_id_y 0
		.amdhsa_system_sgpr_workgroup_id_z 0
		.amdhsa_system_sgpr_workgroup_info 0
		.amdhsa_system_vgpr_workitem_id 0
		.amdhsa_next_free_vgpr 11
		.amdhsa_next_free_sgpr 31
		.amdhsa_accum_offset 12
		.amdhsa_reserve_vcc 1
		.amdhsa_float_round_mode_32 0
		.amdhsa_float_round_mode_16_64 0
		.amdhsa_float_denorm_mode_32 3
		.amdhsa_float_denorm_mode_16_64 3
		.amdhsa_dx10_clamp 1
		.amdhsa_ieee_mode 1
		.amdhsa_fp16_overflow 0
		.amdhsa_tg_split 0
		.amdhsa_exception_fp_ieee_invalid_op 0
		.amdhsa_exception_fp_denorm_src 0
		.amdhsa_exception_fp_ieee_div_zero 0
		.amdhsa_exception_fp_ieee_overflow 0
		.amdhsa_exception_fp_ieee_underflow 0
		.amdhsa_exception_fp_ieee_inexact 0
		.amdhsa_exception_int_div_zero 0
	.end_amdhsa_kernel
	.section	.text._ZN5aiter30swiglu_act_and_mul_bias_kernelIfDF16_lfLi1EEEvPT0_PKT_PKT1_PKT2_il,"axG",@progbits,_ZN5aiter30swiglu_act_and_mul_bias_kernelIfDF16_lfLi1EEEvPT0_PKT_PKT1_PKT2_il,comdat
.Lfunc_end334:
	.size	_ZN5aiter30swiglu_act_and_mul_bias_kernelIfDF16_lfLi1EEEvPT0_PKT_PKT1_PKT2_il, .Lfunc_end334-_ZN5aiter30swiglu_act_and_mul_bias_kernelIfDF16_lfLi1EEEvPT0_PKT_PKT1_PKT2_il
                                        ; -- End function
	.section	.AMDGPU.csdata,"",@progbits
; Kernel info:
; codeLenInByte = 768
; NumSgprs: 37
; NumVgprs: 11
; NumAgprs: 0
; TotalNumVgprs: 11
; ScratchSize: 0
; MemoryBound: 0
; FloatMode: 240
; IeeeMode: 1
; LDSByteSize: 0 bytes/workgroup (compile time only)
; SGPRBlocks: 4
; VGPRBlocks: 1
; NumSGPRsForWavesPerEU: 37
; NumVGPRsForWavesPerEU: 11
; AccumOffset: 12
; Occupancy: 8
; WaveLimiterHint : 0
; COMPUTE_PGM_RSRC2:SCRATCH_EN: 0
; COMPUTE_PGM_RSRC2:USER_SGPR: 2
; COMPUTE_PGM_RSRC2:TRAP_HANDLER: 0
; COMPUTE_PGM_RSRC2:TGID_X_EN: 1
; COMPUTE_PGM_RSRC2:TGID_Y_EN: 0
; COMPUTE_PGM_RSRC2:TGID_Z_EN: 0
; COMPUTE_PGM_RSRC2:TIDIG_COMP_CNT: 0
; COMPUTE_PGM_RSRC3_GFX90A:ACCUM_OFFSET: 2
; COMPUTE_PGM_RSRC3_GFX90A:TG_SPLIT: 0
	.section	.text._ZN5aiter30swiglu_act_and_mul_bias_kernelIfflfLi16EEEvPT0_PKT_PKT1_PKT2_il,"axG",@progbits,_ZN5aiter30swiglu_act_and_mul_bias_kernelIfflfLi16EEEvPT0_PKT_PKT1_PKT2_il,comdat
	.protected	_ZN5aiter30swiglu_act_and_mul_bias_kernelIfflfLi16EEEvPT0_PKT_PKT1_PKT2_il ; -- Begin function _ZN5aiter30swiglu_act_and_mul_bias_kernelIfflfLi16EEEvPT0_PKT_PKT1_PKT2_il
	.globl	_ZN5aiter30swiglu_act_and_mul_bias_kernelIfflfLi16EEEvPT0_PKT_PKT1_PKT2_il
	.p2align	8
	.type	_ZN5aiter30swiglu_act_and_mul_bias_kernelIfflfLi16EEEvPT0_PKT_PKT1_PKT2_il,@function
_ZN5aiter30swiglu_act_and_mul_bias_kernelIfflfLi16EEEvPT0_PKT_PKT1_PKT2_il: ; @_ZN5aiter30swiglu_act_and_mul_bias_kernelIfflfLi16EEEvPT0_PKT_PKT1_PKT2_il
; %bb.0:
	s_load_dword s24, s[0:1], 0x20
	s_load_dwordx2 s[4:5], s[0:1], 0x0
	s_load_dwordx2 s[6:7], s[0:1], 0x10
	;; [unrolled: 1-line block ×3, first 2 shown]
	s_mov_b32 s3, 0
	s_waitcnt lgkmcnt(0)
	s_ashr_i32 s25, s24, 31
	s_lshl_b64 s[8:9], s[2:3], 3
	s_add_u32 s6, s6, s8
	s_addc_u32 s7, s7, s9
	s_load_dwordx2 s[8:9], s[6:7], 0x0
	s_mul_hi_u32 s3, s24, s2
	s_mul_i32 s7, s25, s2
	s_add_i32 s11, s3, s7
	s_mul_i32 s10, s24, s2
	s_lshl_b32 s6, s24, 2
	s_lshl_b64 s[10:11], s[10:11], 2
	v_mov_b64_e32 v[2:3], s[12:13]
	s_add_u32 s4, s4, s10
	s_waitcnt lgkmcnt(0)
	v_cmp_gt_i64_e64 s[14:15], s[8:9], -1
	v_cmp_lt_i64_e32 vcc, s[8:9], v[2:3]
	s_addc_u32 s3, s5, s11
	s_and_b64 s[12:13], s[14:15], vcc
	s_and_b32 s5, s3, 0xffff
	s_mov_b64 s[10:11], -1
	s_and_b64 vcc, exec, s[12:13]
	v_lshlrev_b32_e32 v44, 4, v0
	s_cbranch_vccnz .LBB335_5
; %bb.1:
	v_cmp_gt_i32_e32 vcc, s24, v44
	s_and_saveexec_b64 s[10:11], vcc
	s_cbranch_execz .LBB335_4
; %bb.2:
	s_load_dword s3, s[0:1], 0x3c
	s_mov_b32 s13, 0
	s_mov_b32 s16, s13
	;; [unrolled: 1-line block ×3, first 2 shown]
	v_mov_b32_e32 v45, 0
	s_waitcnt lgkmcnt(0)
	s_and_b32 s3, s3, 0xffff
	s_mov_b32 s18, s13
	s_mov_b32 s19, s13
	v_mov_b64_e32 v[2:3], s[16:17]
	v_lshlrev_b32_e32 v1, 6, v0
	s_lshl_b32 s12, s3, 4
	s_lshl_b32 s3, s3, 6
	s_mov_b64 s[14:15], 0
	s_mov_b32 s7, 0x20000
	v_mov_b64_e32 v[4:5], s[18:19]
	v_mov_b64_e32 v[6:7], v[44:45]
.LBB335_3:                              ; =>This Inner Loop Header: Depth=1
	v_lshl_add_u64 v[6:7], s[12:13], 0, v[6:7]
	v_cmp_le_i64_e32 vcc, s[24:25], v[6:7]
	buffer_store_dwordx4 v[2:5], v1, s[4:7], 0 offen
	buffer_store_dwordx4 v[2:5], v1, s[4:7], 16 offen
	;; [unrolled: 1-line block ×4, first 2 shown]
	s_or_b64 s[14:15], vcc, s[14:15]
	v_add_u32_e32 v1, s3, v1
	s_andn2_b64 exec, exec, s[14:15]
	s_cbranch_execnz .LBB335_3
.LBB335_4:
	s_or_b64 exec, exec, s[10:11]
	s_mov_b64 s[10:11], 0
.LBB335_5:
	s_andn2_b64 vcc, exec, s[10:11]
	s_cbranch_vccnz .LBB335_9
; %bb.6:
	v_cmp_gt_i32_e32 vcc, s24, v44
	s_and_saveexec_b64 s[10:11], vcc
	s_cbranch_execz .LBB335_9
; %bb.7:
	s_load_dwordx2 s[10:11], s[0:1], 0x8
	s_load_dwordx2 s[12:13], s[0:1], 0x18
	s_mul_i32 s3, s24, s9
	s_mul_hi_u32 s7, s24, s8
	s_add_i32 s3, s7, s3
	s_mul_i32 s7, s25, s8
	s_add_i32 s9, s3, s7
	s_mul_i32 s8, s24, s8
	s_lshl_b64 s[8:9], s[8:9], 3
	s_waitcnt lgkmcnt(0)
	s_add_u32 s8, s12, s8
	s_load_dword s14, s[0:1], 0x3c
	s_addc_u32 s3, s13, s9
	s_lshl_b64 s[0:1], s[24:25], 2
	s_add_u32 s12, s8, s0
	s_addc_u32 s13, s3, s1
	s_and_b32 s9, s3, 0xffff
	s_mul_i32 s3, s2, s25
	s_mul_hi_u32 s15, s2, s24
	s_add_i32 s3, s15, s3
	s_mul_i32 s2, s2, s24
	s_and_b32 s13, s13, 0xffff
	s_lshl_b64 s[2:3], s[2:3], 3
	s_add_u32 s16, s10, s2
	s_addc_u32 s2, s11, s3
	s_add_u32 s20, s16, s0
	s_addc_u32 s0, s2, s1
	s_mov_b32 s7, 0x20000
	s_and_b32 s21, s0, 0xffff
	s_waitcnt lgkmcnt(0)
	s_and_b32 s0, s14, 0xffff
	s_and_b32 s17, s2, 0xffff
	s_mov_b32 s3, 0
	v_mov_b32_e32 v45, 0
	s_lshl_b32 s2, s0, 4
	v_lshlrev_b32_e32 v48, 6, v0
	s_lshl_b32 s28, s0, 6
	s_mov_b64 s[26:27], 0
	s_mov_b32 s15, s7
	s_mov_b32 s14, s6
	;; [unrolled: 1-line block ×7, first 2 shown]
	v_mov_b32_e32 v49, 0x7f800000
	s_mov_b32 s33, 0xc0e00000
	v_mov_b32_e32 v50, 0x40e00000
	s_mov_b32 s22, s6
	s_mov_b32 s23, s7
	;; [unrolled: 1-line block ×4, first 2 shown]
.LBB335_8:                              ; =>This Inner Loop Header: Depth=1
	buffer_load_dwordx4 v[38:41], v48, s[8:11], 0 offen
	buffer_load_dwordx4 v[52:55], v48, s[16:19], 0 offen
	;; [unrolled: 1-line block ×12, first 2 shown]
	v_lshl_add_u64 v[44:45], s[2:3], 0, v[44:45]
	s_waitcnt vmcnt(10)
	v_pk_add_f32 v[38:39], v[52:53], v[38:39]
	v_pk_add_f32 v[32:33], v[54:55], v[40:41]
	s_waitcnt vmcnt(8)
	v_pk_add_f32 v[12:13], v[12:13], v[56:57]
	v_min_f32_e32 v32, 0x40e00000, v32
	s_waitcnt vmcnt(6)
	v_pk_add_f32 v[28:29], v[28:29], v[34:35]
	v_min_f32_e32 v34, 0x40e00000, v38
	v_mul_f32_e32 v38, 0xbfd9db23, v34
	v_mul_f32_e32 v42, 0x3fb8aa3b, v38
	;; [unrolled: 1-line block ×3, first 2 shown]
	v_fma_f32 v51, v38, s29, -v42
	v_rndne_f32_e32 v52, v42
	v_mul_f32_e32 v46, 0x3fb8aa3b, v40
	v_fmac_f32_e32 v51, 0x32a5705f, v38
	v_sub_f32_e32 v42, v42, v52
	v_min_f32_e32 v35, 0x40e00000, v39
	v_fma_f32 v55, v40, s29, -v46
	v_add_f32_e32 v42, v42, v51
	v_rndne_f32_e32 v51, v46
	v_mul_f32_e32 v39, 0xbfd9db23, v35
	v_fmac_f32_e32 v55, 0x32a5705f, v40
	v_sub_f32_e32 v46, v46, v51
	v_min_f32_e32 v33, 0x40e00000, v33
	v_mul_f32_e32 v43, 0x3fb8aa3b, v39
	v_add_f32_e32 v55, v46, v55
	v_cvt_i32_f32_e32 v46, v52
	v_exp_f32_e32 v42, v42
	v_mul_f32_e32 v41, 0xbfd9db23, v33
	v_fma_f32 v53, v39, s29, -v43
	v_rndne_f32_e32 v54, v43
	v_mul_f32_e32 v47, 0x3fb8aa3b, v41
	v_fmac_f32_e32 v53, 0x32a5705f, v39
	v_sub_f32_e32 v43, v43, v54
	v_add_f32_e32 v43, v43, v53
	v_fma_f32 v53, v41, s29, -v47
	v_rndne_f32_e32 v56, v47
	v_fmac_f32_e32 v53, 0x32a5705f, v41
	v_sub_f32_e32 v47, v47, v56
	v_ldexp_f32 v42, v42, v46
	v_min_f32_e32 v46, 0x40e00000, v28
	v_cvt_i32_f32_e32 v28, v54
	v_exp_f32_e32 v43, v43
	v_add_f32_e32 v47, v47, v53
	v_cvt_i32_f32_e32 v51, v51
	v_exp_f32_e32 v53, v55
	v_cvt_i32_f32_e32 v52, v56
	v_exp_f32_e32 v47, v47
	v_cmp_ngt_f32_e32 vcc, s30, v38
	v_ldexp_f32 v28, v43, v28
	v_cmp_ngt_f32_e64 s[0:1], s30, v39
	v_cndmask_b32_e32 v42, 0, v42, vcc
	v_cmp_nlt_f32_e32 vcc, s31, v38
	v_ldexp_f32 v43, v53, v51
	v_cndmask_b32_e64 v28, 0, v28, s[0:1]
	v_cmp_ngt_f32_e64 s[0:1], s30, v40
	v_cndmask_b32_e32 v42, v49, v42, vcc
	v_cmp_nlt_f32_e32 vcc, s31, v39
	v_ldexp_f32 v47, v47, v52
	v_cndmask_b32_e64 v38, 0, v43, s[0:1]
	v_cmp_ngt_f32_e64 s[0:1], s30, v41
	v_cndmask_b32_e32 v28, v49, v28, vcc
	v_cmp_nlt_f32_e32 vcc, s31, v40
	v_cndmask_b32_e64 v43, 0, v47, s[0:1]
	v_add_f32_e32 v40, 1.0, v42
	v_cndmask_b32_e32 v38, v49, v38, vcc
	v_cmp_nlt_f32_e32 vcc, s31, v41
	v_add_f32_e32 v28, 1.0, v28
	v_add_f32_e32 v41, 1.0, v38
	v_cndmask_b32_e32 v39, v49, v43, vcc
	v_add_f32_e32 v42, 1.0, v39
	v_mul_f32_e32 v54, 0xbfd9db23, v46
	v_rcp_f32_e32 v38, v40
	v_rcp_f32_e32 v39, v28
	;; [unrolled: 1-line block ×4, first 2 shown]
	v_mul_f32_e32 v51, 0x3fb8aa3b, v54
	v_fma_f32 v52, v54, s29, -v51
	v_rndne_f32_e32 v55, v51
	v_fmac_f32_e32 v52, 0x32a5705f, v54
	v_sub_f32_e32 v28, v51, v55
	v_add_f32_e32 v28, v28, v52
	v_pk_mul_f32 v[38:39], v[34:35], v[38:39]
	v_pk_mul_f32 v[52:53], v[32:33], v[40:41]
	buffer_load_dwordx4 v[40:43], v48, s[8:11], 32 offen
	buffer_load_dwordx4 v[32:35], v48, s[8:11], 48 offen
	v_min_f32_e32 v47, 0x40e00000, v29
	v_med3_f32 v13, v13, s33, v50
	v_med3_f32 v12, v12, s33, v50
	v_mul_f32_e32 v29, 0xbfd9db23, v47
	v_pk_add_f32 v[12:13], v[12:13], 1.0 op_sel_hi:[1,0]
	v_exp_f32_e32 v28, v28
	v_cvt_i32_f32_e32 v51, v55
	v_pk_add_f32 v[30:31], v[30:31], v[36:37]
	v_mul_f32_e32 v36, 0x3fb8aa3b, v29
	v_pk_mul_f32 v[12:13], v[12:13], v[38:39]
	v_fma_f32 v37, v29, s29, -v36
	v_rndne_f32_e32 v38, v36
	v_fmac_f32_e32 v37, 0x32a5705f, v29
	v_sub_f32_e32 v36, v36, v38
	v_add_f32_e32 v36, v36, v37
	v_ldexp_f32 v28, v28, v51
	v_cmp_ngt_f32_e32 vcc, s30, v54
	v_exp_f32_e32 v36, v36
	v_cvt_i32_f32_e32 v37, v38
	v_pk_add_f32 v[14:15], v[14:15], v[58:59]
	v_cndmask_b32_e32 v28, 0, v28, vcc
	v_cmp_nlt_f32_e32 vcc, s31, v54
	v_med3_f32 v15, v15, s33, v50
	v_med3_f32 v14, v14, s33, v50
	v_cndmask_b32_e32 v28, v49, v28, vcc
	v_pk_add_f32 v[14:15], v[14:15], 1.0 op_sel_hi:[1,0]
	v_add_f32_e32 v28, 1.0, v28
	v_min_f32_e32 v54, 0x40e00000, v30
	v_pk_mul_f32 v[14:15], v[14:15], v[52:53]
	v_rcp_f32_e32 v52, v28
	v_ldexp_f32 v28, v36, v37
	v_cmp_ngt_f32_e32 vcc, s30, v29
	v_mul_f32_e32 v51, 0xbfd9db23, v54
	v_min_f32_e32 v55, 0x40e00000, v31
	v_cndmask_b32_e32 v28, 0, v28, vcc
	v_cmp_nlt_f32_e32 vcc, s31, v29
	v_mul_f32_e32 v29, 0x3fb8aa3b, v51
	v_fma_f32 v30, v51, s29, -v29
	v_rndne_f32_e32 v36, v29
	v_fmac_f32_e32 v30, 0x32a5705f, v51
	v_sub_f32_e32 v29, v29, v36
	v_add_f32_e32 v29, v29, v30
	v_exp_f32_e32 v29, v29
	v_cvt_i32_f32_e32 v30, v36
	v_cndmask_b32_e32 v28, v49, v28, vcc
	v_add_f32_e32 v28, 1.0, v28
	v_mul_f32_e32 v57, 0xbfd9db23, v55
	v_rcp_f32_e32 v53, v28
	v_mul_f32_e32 v28, 0x3fb8aa3b, v57
	v_ldexp_f32 v56, v29, v30
	v_fma_f32 v29, v57, s29, -v28
	v_rndne_f32_e32 v58, v28
	v_fmac_f32_e32 v29, 0x32a5705f, v57
	v_sub_f32_e32 v28, v28, v58
	v_add_f32_e32 v59, v28, v29
	buffer_load_dwordx4 v[36:39], v48, s[12:15], 32 offen
	buffer_load_dwordx4 v[28:31], v48, s[12:15], 48 offen
	v_cmp_ngt_f32_e32 vcc, s30, v51
	v_exp_f32_e32 v59, v59
	v_cvt_i32_f32_e32 v58, v58
	v_cndmask_b32_e32 v56, 0, v56, vcc
	v_cmp_nlt_f32_e32 vcc, s31, v51
	s_waitcnt vmcnt(4)
	v_pk_add_f32 v[22:23], v[22:23], v[26:27]
	v_pk_add_f32 v[20:21], v[20:21], v[24:25]
	v_cndmask_b32_e32 v51, v49, v56, vcc
	v_add_f32_e32 v51, 1.0, v51
	v_rcp_f32_e32 v56, v51
	v_ldexp_f32 v51, v59, v58
	v_cmp_ngt_f32_e32 vcc, s30, v57
	v_med3_f32 v23, v23, s33, v50
	v_med3_f32 v22, v22, s33, v50
	v_cndmask_b32_e32 v51, 0, v51, vcc
	v_cmp_nlt_f32_e32 vcc, s31, v57
	v_pk_add_f32 v[22:23], v[22:23], 1.0 op_sel_hi:[1,0]
	v_med3_f32 v21, v21, s33, v50
	v_cndmask_b32_e32 v51, v49, v51, vcc
	v_add_f32_e32 v51, 1.0, v51
	v_rcp_f32_e32 v57, v51
	v_med3_f32 v20, v20, s33, v50
	s_waitcnt vmcnt(3)
	v_pk_add_f32 v[16:17], v[16:17], v[40:41]
	v_pk_add_f32 v[20:21], v[20:21], 1.0 op_sel_hi:[1,0]
	v_pk_mul_f32 v[26:27], v[54:55], v[56:57]
	v_min_f32_e32 v16, 0x40e00000, v16
	v_pk_mul_f32 v[22:23], v[22:23], v[26:27]
	v_mul_f32_e32 v26, 0xbfd9db23, v16
	v_mul_f32_e32 v27, 0x3fb8aa3b, v26
	v_fma_f32 v40, v26, s29, -v27
	v_rndne_f32_e32 v41, v27
	v_fmac_f32_e32 v40, 0x32a5705f, v26
	v_sub_f32_e32 v27, v27, v41
	v_add_f32_e32 v27, v27, v40
	v_exp_f32_e32 v27, v27
	v_cvt_i32_f32_e32 v40, v41
	v_pk_mul_f32 v[24:25], v[46:47], v[52:53]
	v_min_f32_e32 v17, 0x40e00000, v17
	v_pk_mul_f32 v[20:21], v[20:21], v[24:25]
	v_mul_f32_e32 v25, 0xbfd9db23, v17
	v_ldexp_f32 v24, v27, v40
	v_mul_f32_e32 v27, 0x3fb8aa3b, v25
	v_fma_f32 v40, v25, s29, -v27
	v_rndne_f32_e32 v41, v27
	v_fmac_f32_e32 v40, 0x32a5705f, v25
	v_sub_f32_e32 v27, v27, v41
	v_add_f32_e32 v27, v27, v40
	v_exp_f32_e32 v27, v27
	v_cvt_i32_f32_e32 v40, v41
	v_cmp_ngt_f32_e32 vcc, s30, v26
	v_pk_add_f32 v[18:19], v[18:19], v[42:43]
	s_waitcnt vmcnt(2)
	v_pk_add_f32 v[4:5], v[4:5], v[32:33]
	v_cndmask_b32_e32 v24, 0, v24, vcc
	v_cmp_nlt_f32_e32 vcc, s31, v26
	v_ldexp_f32 v26, v27, v40
	v_min_f32_e32 v18, 0x40e00000, v18
	v_cndmask_b32_e32 v24, v49, v24, vcc
	v_cmp_ngt_f32_e32 vcc, s30, v25
	v_min_f32_e32 v19, 0x40e00000, v19
	v_add_f32_e32 v24, 1.0, v24
	v_cndmask_b32_e32 v26, 0, v26, vcc
	v_cmp_nlt_f32_e32 vcc, s31, v25
	v_rcp_f32_e32 v24, v24
	v_min_f32_e32 v4, 0x40e00000, v4
	v_cndmask_b32_e32 v25, v49, v26, vcc
	v_mul_f32_e32 v26, 0xbfd9db23, v18
	v_mul_f32_e32 v27, 0x3fb8aa3b, v26
	v_fma_f32 v40, v26, s29, -v27
	v_rndne_f32_e32 v41, v27
	v_fmac_f32_e32 v40, 0x32a5705f, v26
	v_sub_f32_e32 v27, v27, v41
	v_add_f32_e32 v27, v27, v40
	v_exp_f32_e32 v27, v27
	v_cvt_i32_f32_e32 v40, v41
	v_cmp_ngt_f32_e32 vcc, s30, v26
	v_add_f32_e32 v25, 1.0, v25
	v_rcp_f32_e32 v25, v25
	v_ldexp_f32 v27, v27, v40
	v_mul_f32_e32 v40, 0xbfd9db23, v19
	v_mul_f32_e32 v41, 0x3fb8aa3b, v40
	v_fma_f32 v42, v40, s29, -v41
	v_rndne_f32_e32 v43, v41
	v_fmac_f32_e32 v42, 0x32a5705f, v40
	v_sub_f32_e32 v41, v41, v43
	v_add_f32_e32 v41, v41, v42
	v_exp_f32_e32 v41, v41
	v_cvt_i32_f32_e32 v42, v43
	v_cndmask_b32_e32 v27, 0, v27, vcc
	v_cmp_nlt_f32_e32 vcc, s31, v26
	s_waitcnt vmcnt(1)
	v_pk_add_f32 v[10:11], v[10:11], v[38:39]
	v_pk_mul_f32 v[16:17], v[16:17], v[24:25]
	v_cndmask_b32_e32 v26, v49, v27, vcc
	v_ldexp_f32 v27, v41, v42
	v_cmp_ngt_f32_e32 vcc, s30, v40
	v_add_f32_e32 v26, 1.0, v26
	v_rcp_f32_e32 v26, v26
	v_cndmask_b32_e32 v27, 0, v27, vcc
	v_cmp_nlt_f32_e32 vcc, s31, v40
	v_med3_f32 v11, v11, s33, v50
	v_med3_f32 v10, v10, s33, v50
	v_cndmask_b32_e32 v27, v49, v27, vcc
	v_add_f32_e32 v27, 1.0, v27
	v_rcp_f32_e32 v27, v27
	v_pk_add_f32 v[10:11], v[10:11], 1.0 op_sel_hi:[1,0]
	v_pk_add_f32 v[8:9], v[8:9], v[36:37]
	v_min_f32_e32 v5, 0x40e00000, v5
	v_pk_mul_f32 v[18:19], v[18:19], v[26:27]
	v_med3_f32 v9, v9, s33, v50
	v_pk_mul_f32 v[10:11], v[10:11], v[18:19]
	v_mul_f32_e32 v18, 0xbfd9db23, v4
	v_mul_f32_e32 v19, 0x3fb8aa3b, v18
	v_fma_f32 v24, v18, s29, -v19
	v_rndne_f32_e32 v25, v19
	v_fmac_f32_e32 v24, 0x32a5705f, v18
	v_sub_f32_e32 v19, v19, v25
	v_add_f32_e32 v19, v19, v24
	v_exp_f32_e32 v19, v19
	v_cvt_i32_f32_e32 v24, v25
	v_med3_f32 v8, v8, s33, v50
	v_pk_add_f32 v[8:9], v[8:9], 1.0 op_sel_hi:[1,0]
	v_cmp_ngt_f32_e32 vcc, s30, v18
	v_pk_mul_f32 v[8:9], v[8:9], v[16:17]
	v_mul_f32_e32 v17, 0xbfd9db23, v5
	v_ldexp_f32 v16, v19, v24
	v_mul_f32_e32 v19, 0x3fb8aa3b, v17
	v_fma_f32 v24, v17, s29, -v19
	v_rndne_f32_e32 v25, v19
	v_fmac_f32_e32 v24, 0x32a5705f, v17
	v_sub_f32_e32 v19, v19, v25
	v_add_f32_e32 v19, v19, v24
	v_exp_f32_e32 v19, v19
	v_cvt_i32_f32_e32 v24, v25
	v_cndmask_b32_e32 v16, 0, v16, vcc
	v_cmp_nlt_f32_e32 vcc, s31, v18
	v_pk_add_f32 v[6:7], v[6:7], v[34:35]
	v_ldexp_f32 v18, v19, v24
	v_cndmask_b32_e32 v16, v49, v16, vcc
	v_cmp_ngt_f32_e32 vcc, s30, v17
	v_min_f32_e32 v6, 0x40e00000, v6
	v_min_f32_e32 v7, 0x40e00000, v7
	v_cndmask_b32_e32 v18, 0, v18, vcc
	v_cmp_nlt_f32_e32 vcc, s31, v17
	v_add_f32_e32 v16, 1.0, v16
	v_rcp_f32_e32 v16, v16
	v_cndmask_b32_e32 v17, v49, v18, vcc
	v_mul_f32_e32 v18, 0xbfd9db23, v6
	v_mul_f32_e32 v19, 0x3fb8aa3b, v18
	v_fma_f32 v24, v18, s29, -v19
	v_rndne_f32_e32 v25, v19
	v_fmac_f32_e32 v24, 0x32a5705f, v18
	v_sub_f32_e32 v19, v19, v25
	v_add_f32_e32 v19, v19, v24
	v_exp_f32_e32 v19, v19
	v_cvt_i32_f32_e32 v24, v25
	v_cmp_ngt_f32_e32 vcc, s30, v18
	v_add_f32_e32 v17, 1.0, v17
	v_rcp_f32_e32 v17, v17
	v_ldexp_f32 v19, v19, v24
	v_mul_f32_e32 v24, 0xbfd9db23, v7
	v_mul_f32_e32 v25, 0x3fb8aa3b, v24
	v_fma_f32 v26, v24, s29, -v25
	v_rndne_f32_e32 v27, v25
	v_fmac_f32_e32 v26, 0x32a5705f, v24
	v_sub_f32_e32 v25, v25, v27
	v_add_f32_e32 v25, v25, v26
	v_exp_f32_e32 v25, v25
	v_cvt_i32_f32_e32 v26, v27
	v_cndmask_b32_e32 v19, 0, v19, vcc
	v_cmp_nlt_f32_e32 vcc, s31, v18
	s_waitcnt vmcnt(0)
	v_pk_add_f32 v[2:3], v[2:3], v[30:31]
	v_pk_add_f32 v[0:1], v[0:1], v[28:29]
	v_cndmask_b32_e32 v18, v49, v19, vcc
	v_ldexp_f32 v19, v25, v26
	v_cmp_ngt_f32_e32 vcc, s30, v24
	v_add_f32_e32 v18, 1.0, v18
	v_rcp_f32_e32 v18, v18
	v_cndmask_b32_e32 v19, 0, v19, vcc
	v_cmp_nlt_f32_e32 vcc, s31, v24
	v_med3_f32 v3, v3, s33, v50
	v_med3_f32 v2, v2, s33, v50
	v_cndmask_b32_e32 v19, v49, v19, vcc
	v_add_f32_e32 v19, 1.0, v19
	v_rcp_f32_e32 v19, v19
	v_med3_f32 v1, v1, s33, v50
	v_med3_f32 v0, v0, s33, v50
	v_pk_add_f32 v[2:3], v[2:3], 1.0 op_sel_hi:[1,0]
	v_pk_add_f32 v[0:1], v[0:1], 1.0 op_sel_hi:[1,0]
	v_pk_mul_f32 v[4:5], v[4:5], v[16:17]
	v_pk_mul_f32 v[6:7], v[6:7], v[18:19]
	v_cmp_le_i64_e32 vcc, s[24:25], v[44:45]
	v_pk_mul_f32 v[2:3], v[2:3], v[6:7]
	v_pk_mul_f32 v[0:1], v[0:1], v[4:5]
	buffer_store_dwordx4 v[12:15], v48, s[4:7], 0 offen
	buffer_store_dwordx4 v[20:23], v48, s[4:7], 16 offen
	;; [unrolled: 1-line block ×4, first 2 shown]
	s_or_b64 s[26:27], vcc, s[26:27]
	v_add_u32_e32 v48, s28, v48
	s_andn2_b64 exec, exec, s[26:27]
	s_cbranch_execnz .LBB335_8
.LBB335_9:
	s_endpgm
	.section	.rodata,"a",@progbits
	.p2align	6, 0x0
	.amdhsa_kernel _ZN5aiter30swiglu_act_and_mul_bias_kernelIfflfLi16EEEvPT0_PKT_PKT1_PKT2_il
		.amdhsa_group_segment_fixed_size 0
		.amdhsa_private_segment_fixed_size 0
		.amdhsa_kernarg_size 304
		.amdhsa_user_sgpr_count 2
		.amdhsa_user_sgpr_dispatch_ptr 0
		.amdhsa_user_sgpr_queue_ptr 0
		.amdhsa_user_sgpr_kernarg_segment_ptr 1
		.amdhsa_user_sgpr_dispatch_id 0
		.amdhsa_user_sgpr_kernarg_preload_length 0
		.amdhsa_user_sgpr_kernarg_preload_offset 0
		.amdhsa_user_sgpr_private_segment_size 0
		.amdhsa_uses_dynamic_stack 0
		.amdhsa_enable_private_segment 0
		.amdhsa_system_sgpr_workgroup_id_x 1
		.amdhsa_system_sgpr_workgroup_id_y 0
		.amdhsa_system_sgpr_workgroup_id_z 0
		.amdhsa_system_sgpr_workgroup_info 0
		.amdhsa_system_vgpr_workitem_id 0
		.amdhsa_next_free_vgpr 60
		.amdhsa_next_free_sgpr 34
		.amdhsa_accum_offset 60
		.amdhsa_reserve_vcc 1
		.amdhsa_float_round_mode_32 0
		.amdhsa_float_round_mode_16_64 0
		.amdhsa_float_denorm_mode_32 3
		.amdhsa_float_denorm_mode_16_64 3
		.amdhsa_dx10_clamp 1
		.amdhsa_ieee_mode 1
		.amdhsa_fp16_overflow 0
		.amdhsa_tg_split 0
		.amdhsa_exception_fp_ieee_invalid_op 0
		.amdhsa_exception_fp_denorm_src 0
		.amdhsa_exception_fp_ieee_div_zero 0
		.amdhsa_exception_fp_ieee_overflow 0
		.amdhsa_exception_fp_ieee_underflow 0
		.amdhsa_exception_fp_ieee_inexact 0
		.amdhsa_exception_int_div_zero 0
	.end_amdhsa_kernel
	.section	.text._ZN5aiter30swiglu_act_and_mul_bias_kernelIfflfLi16EEEvPT0_PKT_PKT1_PKT2_il,"axG",@progbits,_ZN5aiter30swiglu_act_and_mul_bias_kernelIfflfLi16EEEvPT0_PKT_PKT1_PKT2_il,comdat
.Lfunc_end335:
	.size	_ZN5aiter30swiglu_act_and_mul_bias_kernelIfflfLi16EEEvPT0_PKT_PKT1_PKT2_il, .Lfunc_end335-_ZN5aiter30swiglu_act_and_mul_bias_kernelIfflfLi16EEEvPT0_PKT_PKT1_PKT2_il
                                        ; -- End function
	.section	.AMDGPU.csdata,"",@progbits
; Kernel info:
; codeLenInByte = 2760
; NumSgprs: 40
; NumVgprs: 60
; NumAgprs: 0
; TotalNumVgprs: 60
; ScratchSize: 0
; MemoryBound: 0
; FloatMode: 240
; IeeeMode: 1
; LDSByteSize: 0 bytes/workgroup (compile time only)
; SGPRBlocks: 4
; VGPRBlocks: 7
; NumSGPRsForWavesPerEU: 40
; NumVGPRsForWavesPerEU: 60
; AccumOffset: 60
; Occupancy: 8
; WaveLimiterHint : 0
; COMPUTE_PGM_RSRC2:SCRATCH_EN: 0
; COMPUTE_PGM_RSRC2:USER_SGPR: 2
; COMPUTE_PGM_RSRC2:TRAP_HANDLER: 0
; COMPUTE_PGM_RSRC2:TGID_X_EN: 1
; COMPUTE_PGM_RSRC2:TGID_Y_EN: 0
; COMPUTE_PGM_RSRC2:TGID_Z_EN: 0
; COMPUTE_PGM_RSRC2:TIDIG_COMP_CNT: 0
; COMPUTE_PGM_RSRC3_GFX90A:ACCUM_OFFSET: 14
; COMPUTE_PGM_RSRC3_GFX90A:TG_SPLIT: 0
	.section	.text._ZN5aiter30swiglu_act_and_mul_bias_kernelIfflfLi8EEEvPT0_PKT_PKT1_PKT2_il,"axG",@progbits,_ZN5aiter30swiglu_act_and_mul_bias_kernelIfflfLi8EEEvPT0_PKT_PKT1_PKT2_il,comdat
	.protected	_ZN5aiter30swiglu_act_and_mul_bias_kernelIfflfLi8EEEvPT0_PKT_PKT1_PKT2_il ; -- Begin function _ZN5aiter30swiglu_act_and_mul_bias_kernelIfflfLi8EEEvPT0_PKT_PKT1_PKT2_il
	.globl	_ZN5aiter30swiglu_act_and_mul_bias_kernelIfflfLi8EEEvPT0_PKT_PKT1_PKT2_il
	.p2align	8
	.type	_ZN5aiter30swiglu_act_and_mul_bias_kernelIfflfLi8EEEvPT0_PKT_PKT1_PKT2_il,@function
_ZN5aiter30swiglu_act_and_mul_bias_kernelIfflfLi8EEEvPT0_PKT_PKT1_PKT2_il: ; @_ZN5aiter30swiglu_act_and_mul_bias_kernelIfflfLi8EEEvPT0_PKT_PKT1_PKT2_il
; %bb.0:
	s_load_dword s20, s[0:1], 0x20
	s_load_dwordx2 s[4:5], s[0:1], 0x0
	s_load_dwordx2 s[6:7], s[0:1], 0x10
	;; [unrolled: 1-line block ×3, first 2 shown]
	s_mov_b32 s3, 0
	s_waitcnt lgkmcnt(0)
	s_ashr_i32 s21, s20, 31
	s_lshl_b64 s[8:9], s[2:3], 3
	s_add_u32 s6, s6, s8
	s_addc_u32 s7, s7, s9
	s_load_dwordx2 s[8:9], s[6:7], 0x0
	s_mul_hi_u32 s3, s20, s2
	s_mul_i32 s7, s21, s2
	s_add_i32 s11, s3, s7
	s_mul_i32 s10, s20, s2
	s_lshl_b32 s6, s20, 2
	s_lshl_b64 s[10:11], s[10:11], 2
	v_mov_b64_e32 v[2:3], s[12:13]
	s_add_u32 s4, s4, s10
	s_waitcnt lgkmcnt(0)
	v_cmp_gt_i64_e64 s[14:15], s[8:9], -1
	v_cmp_lt_i64_e32 vcc, s[8:9], v[2:3]
	s_addc_u32 s3, s5, s11
	s_and_b64 s[12:13], s[14:15], vcc
	s_and_b32 s5, s3, 0xffff
	s_mov_b64 s[10:11], -1
	s_and_b64 vcc, exec, s[12:13]
	v_lshlrev_b32_e32 v16, 3, v0
	s_cbranch_vccnz .LBB336_5
; %bb.1:
	v_cmp_gt_i32_e32 vcc, s20, v16
	s_and_saveexec_b64 s[10:11], vcc
	s_cbranch_execz .LBB336_4
; %bb.2:
	s_load_dword s3, s[0:1], 0x3c
	s_mov_b32 s13, 0
	s_mov_b32 s16, s13
	;; [unrolled: 1-line block ×3, first 2 shown]
	v_mov_b32_e32 v17, 0
	s_waitcnt lgkmcnt(0)
	s_and_b32 s3, s3, 0xffff
	s_mov_b32 s18, s13
	s_mov_b32 s19, s13
	v_mov_b64_e32 v[2:3], s[16:17]
	v_lshlrev_b32_e32 v1, 5, v0
	s_lshl_b32 s12, s3, 3
	s_lshl_b32 s3, s3, 5
	s_mov_b64 s[14:15], 0
	s_mov_b32 s7, 0x20000
	v_mov_b64_e32 v[4:5], s[18:19]
	v_mov_b64_e32 v[6:7], v[16:17]
.LBB336_3:                              ; =>This Inner Loop Header: Depth=1
	v_lshl_add_u64 v[6:7], s[12:13], 0, v[6:7]
	v_cmp_le_i64_e32 vcc, s[20:21], v[6:7]
	buffer_store_dwordx4 v[2:5], v1, s[4:7], 0 offen
	buffer_store_dwordx4 v[2:5], v1, s[4:7], 16 offen
	s_or_b64 s[14:15], vcc, s[14:15]
	v_add_u32_e32 v1, s3, v1
	s_andn2_b64 exec, exec, s[14:15]
	s_cbranch_execnz .LBB336_3
.LBB336_4:
	s_or_b64 exec, exec, s[10:11]
	s_mov_b64 s[10:11], 0
.LBB336_5:
	s_andn2_b64 vcc, exec, s[10:11]
	s_cbranch_vccnz .LBB336_9
; %bb.6:
	v_cmp_gt_i32_e32 vcc, s20, v16
	s_and_saveexec_b64 s[10:11], vcc
	s_cbranch_execz .LBB336_9
; %bb.7:
	s_load_dwordx2 s[10:11], s[0:1], 0x8
	s_load_dwordx2 s[12:13], s[0:1], 0x18
	s_mul_i32 s3, s20, s9
	s_mul_hi_u32 s7, s20, s8
	s_add_i32 s3, s7, s3
	s_mul_i32 s7, s21, s8
	s_add_i32 s9, s3, s7
	s_mul_i32 s8, s20, s8
	s_lshl_b64 s[8:9], s[8:9], 3
	s_load_dword s18, s[0:1], 0x3c
	s_waitcnt lgkmcnt(0)
	s_add_u32 s0, s12, s8
	s_addc_u32 s1, s13, s9
	s_lshl_b64 s[14:15], s[20:21], 2
	s_add_u32 s8, s0, s14
	s_addc_u32 s3, s1, s15
	s_and_b32 s9, s3, 0xffff
	s_mul_i32 s3, s2, s21
	s_mul_hi_u32 s12, s2, s20
	s_add_i32 s3, s12, s3
	s_mul_i32 s2, s2, s20
	s_and_b32 s1, s1, 0xffff
	s_lshl_b64 s[2:3], s[2:3], 3
	s_add_u32 s12, s10, s2
	s_addc_u32 s2, s11, s3
	s_add_u32 s16, s12, s14
	s_mov_b32 s7, 0x20000
	s_addc_u32 s3, s2, s15
	s_and_b32 s13, s2, 0xffff
	s_and_b32 s2, s18, 0xffff
	;; [unrolled: 1-line block ×3, first 2 shown]
	s_mov_b32 s23, 0
	v_mov_b32_e32 v17, 0
	s_lshl_b32 s22, s2, 3
	v_lshlrev_b32_e32 v18, 5, v0
	s_lshl_b32 s26, s2, 5
	s_mov_b64 s[24:25], 0
	s_mov_b32 s11, s7
	s_mov_b32 s10, s6
	;; [unrolled: 1-line block ×7, first 2 shown]
	v_mov_b32_e32 v19, 0x7f800000
	s_mov_b32 s30, 0xc0e00000
	v_mov_b32_e32 v20, 0x40e00000
	s_mov_b32 s18, s6
	s_mov_b32 s19, s7
	;; [unrolled: 1-line block ×4, first 2 shown]
.LBB336_8:                              ; =>This Inner Loop Header: Depth=1
	buffer_load_dwordx4 v[22:25], v18, s[0:3], 0 offen
	buffer_load_dwordx4 v[26:29], v18, s[12:15], 0 offen
	;; [unrolled: 1-line block ×8, first 2 shown]
	v_lshl_add_u64 v[16:17], s[22:23], 0, v[16:17]
	s_waitcnt vmcnt(6)
	v_pk_add_f32 v[22:23], v[26:27], v[22:23]
	v_pk_add_f32 v[24:25], v[28:29], v[24:25]
	s_waitcnt vmcnt(4)
	v_pk_add_f32 v[26:27], v[32:33], v[36:37]
	v_pk_add_f32 v[28:29], v[30:31], v[34:35]
	s_waitcnt vmcnt(2)
	v_pk_add_f32 v[8:9], v[8:9], v[12:13]
	v_min_f32_e32 v12, 0x40e00000, v22
	v_min_f32_e32 v13, 0x40e00000, v23
	v_mul_f32_e32 v21, 0xbfd9db23, v12
	v_min_f32_e32 v22, 0x40e00000, v24
	v_med3_f32 v24, v26, s30, v20
	v_med3_f32 v26, v28, s30, v20
	v_mul_f32_e32 v28, 0xbfd9db23, v13
	v_mul_f32_e32 v31, 0x3fb8aa3b, v21
	v_min_f32_e32 v23, 0x40e00000, v25
	v_med3_f32 v25, v27, s30, v20
	v_med3_f32 v27, v29, s30, v20
	v_mul_f32_e32 v29, 0xbfd9db23, v22
	v_mul_f32_e32 v33, 0x3fb8aa3b, v28
	v_fma_f32 v37, v21, s27, -v31
	v_rndne_f32_e32 v38, v31
	v_mul_f32_e32 v30, 0xbfd9db23, v23
	v_mul_f32_e32 v34, 0x3fb8aa3b, v29
	v_fma_f32 v39, v28, s27, -v33
	v_rndne_f32_e32 v40, v33
	v_fmac_f32_e32 v37, 0x32a5705f, v21
	v_sub_f32_e32 v31, v31, v38
	v_mul_f32_e32 v35, 0x3fb8aa3b, v30
	v_fma_f32 v41, v29, s27, -v34
	v_rndne_f32_e32 v42, v34
	v_fmac_f32_e32 v39, 0x32a5705f, v28
	v_sub_f32_e32 v33, v33, v40
	v_add_f32_e32 v31, v31, v37
	v_fma_f32 v43, v30, s27, -v35
	v_rndne_f32_e32 v44, v35
	v_cvt_i32_f32_e32 v38, v38
	v_fmac_f32_e32 v41, 0x32a5705f, v29
	v_sub_f32_e32 v34, v34, v42
	v_add_f32_e32 v33, v33, v39
	v_exp_f32_e32 v31, v31
	v_cvt_i32_f32_e32 v40, v40
	v_fmac_f32_e32 v43, 0x32a5705f, v30
	v_sub_f32_e32 v35, v35, v44
	v_add_f32_e32 v34, v34, v41
	v_exp_f32_e32 v33, v33
	v_cvt_i32_f32_e32 v42, v42
	v_add_f32_e32 v35, v35, v43
	v_exp_f32_e32 v34, v34
	v_cvt_i32_f32_e32 v44, v44
	v_exp_f32_e32 v35, v35
	v_ldexp_f32 v31, v31, v38
	v_cmp_ngt_f32_e32 vcc, s28, v21
	v_ldexp_f32 v33, v33, v40
	v_ldexp_f32 v34, v34, v42
	v_cndmask_b32_e32 v31, 0, v31, vcc
	v_cmp_ngt_f32_e32 vcc, s28, v28
	v_ldexp_f32 v35, v35, v44
	v_min_f32_e32 v8, 0x40e00000, v8
	v_cndmask_b32_e32 v33, 0, v33, vcc
	v_cmp_ngt_f32_e32 vcc, s28, v29
	v_mul_f32_e32 v32, 0xbfd9db23, v8
	v_mul_f32_e32 v36, 0x3fb8aa3b, v32
	v_cndmask_b32_e32 v34, 0, v34, vcc
	v_cmp_ngt_f32_e32 vcc, s28, v30
	v_fma_f32 v45, v32, s27, -v36
	v_rndne_f32_e32 v46, v36
	v_cndmask_b32_e32 v35, 0, v35, vcc
	v_cmp_nlt_f32_e32 vcc, s29, v21
	v_fmac_f32_e32 v45, 0x32a5705f, v32
	v_sub_f32_e32 v36, v36, v46
	v_cndmask_b32_e32 v21, v19, v31, vcc
	v_cmp_nlt_f32_e32 vcc, s29, v28
	v_add_f32_e32 v21, 1.0, v21
	v_cvt_i32_f32_e32 v46, v46
	v_cndmask_b32_e32 v28, v19, v33, vcc
	v_cmp_nlt_f32_e32 vcc, s29, v29
	v_add_f32_e32 v31, 1.0, v28
	v_rcp_f32_e32 v28, v21
	v_cndmask_b32_e32 v29, v19, v34, vcc
	v_cmp_nlt_f32_e32 vcc, s29, v30
	v_add_f32_e32 v33, 1.0, v29
	v_rcp_f32_e32 v29, v31
	v_cndmask_b32_e32 v30, v19, v35, vcc
	v_add_f32_e32 v34, 1.0, v30
	v_rcp_f32_e32 v30, v33
	v_rcp_f32_e32 v31, v34
	v_add_f32_e32 v21, v36, v45
	v_exp_f32_e32 v21, v21
	v_pk_add_f32 v[24:25], v[24:25], 1.0 op_sel_hi:[1,0]
	v_pk_add_f32 v[26:27], v[26:27], 1.0 op_sel_hi:[1,0]
	v_pk_mul_f32 v[12:13], v[12:13], v[28:29]
	v_pk_mul_f32 v[22:23], v[22:23], v[30:31]
	v_min_f32_e32 v9, 0x40e00000, v9
	v_pk_mul_f32 v[24:25], v[24:25], v[22:23]
	v_pk_mul_f32 v[22:23], v[26:27], v[12:13]
	v_mul_f32_e32 v13, 0xbfd9db23, v9
	v_pk_add_f32 v[10:11], v[10:11], v[14:15]
	v_mul_f32_e32 v14, 0x3fb8aa3b, v13
	v_ldexp_f32 v12, v21, v46
	v_fma_f32 v15, v13, s27, -v14
	v_rndne_f32_e32 v21, v14
	v_fmac_f32_e32 v15, 0x32a5705f, v13
	v_sub_f32_e32 v14, v14, v21
	v_add_f32_e32 v14, v14, v15
	v_exp_f32_e32 v14, v14
	v_cvt_i32_f32_e32 v15, v21
	v_cmp_ngt_f32_e32 vcc, s28, v32
	v_min_f32_e32 v10, 0x40e00000, v10
	v_min_f32_e32 v11, 0x40e00000, v11
	v_cndmask_b32_e32 v12, 0, v12, vcc
	v_cmp_nlt_f32_e32 vcc, s29, v32
	v_ldexp_f32 v14, v14, v15
	s_waitcnt vmcnt(0)
	v_pk_add_f32 v[2:3], v[2:3], v[6:7]
	v_cndmask_b32_e32 v12, v19, v12, vcc
	v_cmp_ngt_f32_e32 vcc, s28, v13
	v_add_f32_e32 v12, 1.0, v12
	v_rcp_f32_e32 v12, v12
	v_cndmask_b32_e32 v14, 0, v14, vcc
	v_cmp_nlt_f32_e32 vcc, s29, v13
	v_pk_add_f32 v[0:1], v[0:1], v[4:5]
	v_med3_f32 v3, v3, s30, v20
	v_cndmask_b32_e32 v13, v19, v14, vcc
	v_mul_f32_e32 v14, 0xbfd9db23, v10
	v_mul_f32_e32 v15, 0x3fb8aa3b, v14
	v_fma_f32 v21, v14, s27, -v15
	v_rndne_f32_e32 v26, v15
	v_fmac_f32_e32 v21, 0x32a5705f, v14
	v_sub_f32_e32 v15, v15, v26
	v_add_f32_e32 v15, v15, v21
	v_exp_f32_e32 v15, v15
	v_cvt_i32_f32_e32 v21, v26
	v_cmp_ngt_f32_e32 vcc, s28, v14
	v_add_f32_e32 v13, 1.0, v13
	v_rcp_f32_e32 v13, v13
	v_ldexp_f32 v15, v15, v21
	v_mul_f32_e32 v21, 0xbfd9db23, v11
	v_mul_f32_e32 v26, 0x3fb8aa3b, v21
	v_fma_f32 v27, v21, s27, -v26
	v_rndne_f32_e32 v28, v26
	v_fmac_f32_e32 v27, 0x32a5705f, v21
	v_sub_f32_e32 v26, v26, v28
	v_add_f32_e32 v26, v26, v27
	v_exp_f32_e32 v26, v26
	v_cvt_i32_f32_e32 v27, v28
	v_cndmask_b32_e32 v15, 0, v15, vcc
	v_cmp_nlt_f32_e32 vcc, s29, v14
	v_med3_f32 v2, v2, s30, v20
	v_med3_f32 v1, v1, s30, v20
	v_cndmask_b32_e32 v14, v19, v15, vcc
	v_ldexp_f32 v15, v26, v27
	v_cmp_ngt_f32_e32 vcc, s28, v21
	v_add_f32_e32 v14, 1.0, v14
	v_rcp_f32_e32 v14, v14
	v_cndmask_b32_e32 v15, 0, v15, vcc
	v_cmp_nlt_f32_e32 vcc, s29, v21
	v_med3_f32 v0, v0, s30, v20
	v_pk_add_f32 v[2:3], v[2:3], 1.0 op_sel_hi:[1,0]
	v_cndmask_b32_e32 v15, v19, v15, vcc
	v_add_f32_e32 v15, 1.0, v15
	v_rcp_f32_e32 v15, v15
	v_pk_add_f32 v[0:1], v[0:1], 1.0 op_sel_hi:[1,0]
	v_pk_mul_f32 v[4:5], v[8:9], v[12:13]
	v_cmp_le_i64_e32 vcc, s[20:21], v[16:17]
	v_pk_mul_f32 v[6:7], v[10:11], v[14:15]
	v_pk_mul_f32 v[0:1], v[0:1], v[4:5]
	;; [unrolled: 1-line block ×3, first 2 shown]
	buffer_store_dwordx4 v[22:25], v18, s[4:7], 0 offen
	buffer_store_dwordx4 v[0:3], v18, s[4:7], 16 offen
	s_or_b64 s[24:25], vcc, s[24:25]
	v_add_u32_e32 v18, s26, v18
	s_andn2_b64 exec, exec, s[24:25]
	s_cbranch_execnz .LBB336_8
.LBB336_9:
	s_endpgm
	.section	.rodata,"a",@progbits
	.p2align	6, 0x0
	.amdhsa_kernel _ZN5aiter30swiglu_act_and_mul_bias_kernelIfflfLi8EEEvPT0_PKT_PKT1_PKT2_il
		.amdhsa_group_segment_fixed_size 0
		.amdhsa_private_segment_fixed_size 0
		.amdhsa_kernarg_size 304
		.amdhsa_user_sgpr_count 2
		.amdhsa_user_sgpr_dispatch_ptr 0
		.amdhsa_user_sgpr_queue_ptr 0
		.amdhsa_user_sgpr_kernarg_segment_ptr 1
		.amdhsa_user_sgpr_dispatch_id 0
		.amdhsa_user_sgpr_kernarg_preload_length 0
		.amdhsa_user_sgpr_kernarg_preload_offset 0
		.amdhsa_user_sgpr_private_segment_size 0
		.amdhsa_uses_dynamic_stack 0
		.amdhsa_enable_private_segment 0
		.amdhsa_system_sgpr_workgroup_id_x 1
		.amdhsa_system_sgpr_workgroup_id_y 0
		.amdhsa_system_sgpr_workgroup_id_z 0
		.amdhsa_system_sgpr_workgroup_info 0
		.amdhsa_system_vgpr_workitem_id 0
		.amdhsa_next_free_vgpr 47
		.amdhsa_next_free_sgpr 31
		.amdhsa_accum_offset 48
		.amdhsa_reserve_vcc 1
		.amdhsa_float_round_mode_32 0
		.amdhsa_float_round_mode_16_64 0
		.amdhsa_float_denorm_mode_32 3
		.amdhsa_float_denorm_mode_16_64 3
		.amdhsa_dx10_clamp 1
		.amdhsa_ieee_mode 1
		.amdhsa_fp16_overflow 0
		.amdhsa_tg_split 0
		.amdhsa_exception_fp_ieee_invalid_op 0
		.amdhsa_exception_fp_denorm_src 0
		.amdhsa_exception_fp_ieee_div_zero 0
		.amdhsa_exception_fp_ieee_overflow 0
		.amdhsa_exception_fp_ieee_underflow 0
		.amdhsa_exception_fp_ieee_inexact 0
		.amdhsa_exception_int_div_zero 0
	.end_amdhsa_kernel
	.section	.text._ZN5aiter30swiglu_act_and_mul_bias_kernelIfflfLi8EEEvPT0_PKT_PKT1_PKT2_il,"axG",@progbits,_ZN5aiter30swiglu_act_and_mul_bias_kernelIfflfLi8EEEvPT0_PKT_PKT1_PKT2_il,comdat
.Lfunc_end336:
	.size	_ZN5aiter30swiglu_act_and_mul_bias_kernelIfflfLi8EEEvPT0_PKT_PKT1_PKT2_il, .Lfunc_end336-_ZN5aiter30swiglu_act_and_mul_bias_kernelIfflfLi8EEEvPT0_PKT_PKT1_PKT2_il
                                        ; -- End function
	.section	.AMDGPU.csdata,"",@progbits
; Kernel info:
; codeLenInByte = 1660
; NumSgprs: 37
; NumVgprs: 47
; NumAgprs: 0
; TotalNumVgprs: 47
; ScratchSize: 0
; MemoryBound: 0
; FloatMode: 240
; IeeeMode: 1
; LDSByteSize: 0 bytes/workgroup (compile time only)
; SGPRBlocks: 4
; VGPRBlocks: 5
; NumSGPRsForWavesPerEU: 37
; NumVGPRsForWavesPerEU: 47
; AccumOffset: 48
; Occupancy: 8
; WaveLimiterHint : 0
; COMPUTE_PGM_RSRC2:SCRATCH_EN: 0
; COMPUTE_PGM_RSRC2:USER_SGPR: 2
; COMPUTE_PGM_RSRC2:TRAP_HANDLER: 0
; COMPUTE_PGM_RSRC2:TGID_X_EN: 1
; COMPUTE_PGM_RSRC2:TGID_Y_EN: 0
; COMPUTE_PGM_RSRC2:TGID_Z_EN: 0
; COMPUTE_PGM_RSRC2:TIDIG_COMP_CNT: 0
; COMPUTE_PGM_RSRC3_GFX90A:ACCUM_OFFSET: 11
; COMPUTE_PGM_RSRC3_GFX90A:TG_SPLIT: 0
	.section	.text._ZN5aiter30swiglu_act_and_mul_bias_kernelIfflfLi4EEEvPT0_PKT_PKT1_PKT2_il,"axG",@progbits,_ZN5aiter30swiglu_act_and_mul_bias_kernelIfflfLi4EEEvPT0_PKT_PKT1_PKT2_il,comdat
	.protected	_ZN5aiter30swiglu_act_and_mul_bias_kernelIfflfLi4EEEvPT0_PKT_PKT1_PKT2_il ; -- Begin function _ZN5aiter30swiglu_act_and_mul_bias_kernelIfflfLi4EEEvPT0_PKT_PKT1_PKT2_il
	.globl	_ZN5aiter30swiglu_act_and_mul_bias_kernelIfflfLi4EEEvPT0_PKT_PKT1_PKT2_il
	.p2align	8
	.type	_ZN5aiter30swiglu_act_and_mul_bias_kernelIfflfLi4EEEvPT0_PKT_PKT1_PKT2_il,@function
_ZN5aiter30swiglu_act_and_mul_bias_kernelIfflfLi4EEEvPT0_PKT_PKT1_PKT2_il: ; @_ZN5aiter30swiglu_act_and_mul_bias_kernelIfflfLi4EEEvPT0_PKT_PKT1_PKT2_il
; %bb.0:
	s_load_dword s20, s[0:1], 0x20
	s_load_dwordx2 s[4:5], s[0:1], 0x0
	s_load_dwordx2 s[6:7], s[0:1], 0x10
	;; [unrolled: 1-line block ×3, first 2 shown]
	s_mov_b32 s3, 0
	s_waitcnt lgkmcnt(0)
	s_ashr_i32 s21, s20, 31
	s_lshl_b64 s[8:9], s[2:3], 3
	s_add_u32 s6, s6, s8
	s_addc_u32 s7, s7, s9
	s_load_dwordx2 s[8:9], s[6:7], 0x0
	s_mul_hi_u32 s3, s20, s2
	s_mul_i32 s7, s21, s2
	s_add_i32 s11, s3, s7
	s_mul_i32 s10, s20, s2
	s_lshl_b32 s6, s20, 2
	s_lshl_b64 s[10:11], s[10:11], 2
	v_mov_b64_e32 v[2:3], s[12:13]
	s_add_u32 s4, s4, s10
	s_waitcnt lgkmcnt(0)
	v_cmp_gt_i64_e64 s[14:15], s[8:9], -1
	v_cmp_lt_i64_e32 vcc, s[8:9], v[2:3]
	s_addc_u32 s3, s5, s11
	s_and_b64 s[12:13], s[14:15], vcc
	s_and_b32 s5, s3, 0xffff
	s_mov_b64 s[10:11], -1
	s_and_b64 vcc, exec, s[12:13]
	v_lshlrev_b32_e32 v16, 2, v0
	s_cbranch_vccnz .LBB337_5
; %bb.1:
	v_cmp_gt_i32_e32 vcc, s20, v16
	s_and_saveexec_b64 s[10:11], vcc
	s_cbranch_execz .LBB337_4
; %bb.2:
	s_load_dword s3, s[0:1], 0x3c
	v_mov_b32_e32 v17, 0
	s_mov_b32 s13, 0
	v_lshlrev_b32_e32 v1, 4, v0
	s_mov_b64 s[14:15], 0
	s_waitcnt lgkmcnt(0)
	s_and_b32 s3, s3, 0xffff
	s_lshl_b32 s12, s3, 2
	s_lshl_b32 s3, s3, 4
	s_mov_b32 s7, 0x20000
	v_mov_b32_e32 v2, v17
	v_mov_b32_e32 v3, v17
	;; [unrolled: 1-line block ×4, first 2 shown]
	v_mov_b64_e32 v[6:7], v[16:17]
.LBB337_3:                              ; =>This Inner Loop Header: Depth=1
	v_lshl_add_u64 v[6:7], s[12:13], 0, v[6:7]
	v_cmp_le_i64_e32 vcc, s[20:21], v[6:7]
	buffer_store_dwordx4 v[2:5], v1, s[4:7], 0 offen
	s_or_b64 s[14:15], vcc, s[14:15]
	v_add_u32_e32 v1, s3, v1
	s_andn2_b64 exec, exec, s[14:15]
	s_cbranch_execnz .LBB337_3
.LBB337_4:
	s_or_b64 exec, exec, s[10:11]
	s_mov_b64 s[10:11], 0
.LBB337_5:
	s_andn2_b64 vcc, exec, s[10:11]
	s_cbranch_vccnz .LBB337_9
; %bb.6:
	v_cmp_gt_i32_e32 vcc, s20, v16
	s_and_saveexec_b64 s[10:11], vcc
	s_cbranch_execz .LBB337_9
; %bb.7:
	s_load_dwordx2 s[10:11], s[0:1], 0x8
	s_load_dwordx2 s[12:13], s[0:1], 0x18
	s_mul_i32 s3, s20, s9
	s_mul_hi_u32 s7, s20, s8
	s_add_i32 s3, s7, s3
	s_mul_i32 s7, s21, s8
	s_add_i32 s9, s3, s7
	s_mul_i32 s8, s20, s8
	s_lshl_b64 s[8:9], s[8:9], 3
	s_load_dword s18, s[0:1], 0x3c
	s_waitcnt lgkmcnt(0)
	s_add_u32 s0, s12, s8
	s_addc_u32 s1, s13, s9
	s_lshl_b64 s[14:15], s[20:21], 2
	s_add_u32 s8, s0, s14
	s_addc_u32 s3, s1, s15
	s_and_b32 s9, s3, 0xffff
	s_mul_i32 s3, s2, s21
	s_mul_hi_u32 s12, s2, s20
	s_add_i32 s3, s12, s3
	s_mul_i32 s2, s2, s20
	s_and_b32 s1, s1, 0xffff
	s_lshl_b64 s[2:3], s[2:3], 3
	s_add_u32 s12, s10, s2
	s_addc_u32 s2, s11, s3
	s_add_u32 s16, s12, s14
	s_mov_b32 s7, 0x20000
	s_addc_u32 s3, s2, s15
	s_and_b32 s13, s2, 0xffff
	s_and_b32 s2, s18, 0xffff
	;; [unrolled: 1-line block ×3, first 2 shown]
	s_mov_b32 s23, 0
	v_mov_b32_e32 v17, 0
	s_lshl_b32 s22, s2, 2
	v_lshlrev_b32_e32 v18, 4, v0
	s_lshl_b32 s26, s2, 4
	s_mov_b64 s[24:25], 0
	s_mov_b32 s11, s7
	s_mov_b32 s10, s6
	;; [unrolled: 1-line block ×7, first 2 shown]
	v_mov_b32_e32 v19, 0x7f800000
	s_mov_b32 s30, 0xc0e00000
	v_mov_b32_e32 v20, 0x40e00000
	s_mov_b32 s18, s6
	s_mov_b32 s19, s7
	;; [unrolled: 1-line block ×4, first 2 shown]
.LBB337_8:                              ; =>This Inner Loop Header: Depth=1
	buffer_load_dwordx4 v[4:7], v18, s[0:3], 0 offen
	buffer_load_dwordx4 v[8:11], v18, s[12:15], 0 offen
	;; [unrolled: 1-line block ×4, first 2 shown]
	v_lshl_add_u64 v[16:17], s[22:23], 0, v[16:17]
	v_cmp_le_i64_e32 vcc, s[20:21], v[16:17]
	s_or_b64 s[24:25], vcc, s[24:25]
	s_waitcnt vmcnt(2)
	v_pk_add_f32 v[4:5], v[8:9], v[4:5]
	s_nop 0
	v_min_f32_e32 v4, 0x40e00000, v4
	v_pk_add_f32 v[6:7], v[10:11], v[6:7]
	v_min_f32_e32 v5, 0x40e00000, v5
	v_mul_f32_e32 v8, 0xbfd9db23, v4
	s_waitcnt vmcnt(0)
	v_pk_add_f32 v[0:1], v[0:1], v[12:13]
	v_min_f32_e32 v6, 0x40e00000, v6
	v_mul_f32_e32 v9, 0xbfd9db23, v5
	v_mul_f32_e32 v12, 0x3fb8aa3b, v8
	v_min_f32_e32 v7, 0x40e00000, v7
	v_mul_f32_e32 v10, 0xbfd9db23, v6
	v_mul_f32_e32 v13, 0x3fb8aa3b, v9
	v_fma_f32 v21, v8, s27, -v12
	v_rndne_f32_e32 v22, v12
	v_pk_add_f32 v[2:3], v[2:3], v[14:15]
	v_mul_f32_e32 v11, 0xbfd9db23, v7
	v_mul_f32_e32 v14, 0x3fb8aa3b, v10
	v_fma_f32 v23, v9, s27, -v13
	v_rndne_f32_e32 v24, v13
	v_fmac_f32_e32 v21, 0x32a5705f, v8
	v_sub_f32_e32 v12, v12, v22
	v_mul_f32_e32 v15, 0x3fb8aa3b, v11
	v_fma_f32 v25, v10, s27, -v14
	v_rndne_f32_e32 v26, v14
	v_fmac_f32_e32 v23, 0x32a5705f, v9
	v_sub_f32_e32 v13, v13, v24
	v_add_f32_e32 v12, v12, v21
	v_fma_f32 v27, v11, s27, -v15
	v_rndne_f32_e32 v28, v15
	v_cvt_i32_f32_e32 v22, v22
	v_fmac_f32_e32 v25, 0x32a5705f, v10
	v_sub_f32_e32 v14, v14, v26
	v_add_f32_e32 v13, v13, v23
	v_exp_f32_e32 v12, v12
	v_cvt_i32_f32_e32 v24, v24
	v_fmac_f32_e32 v27, 0x32a5705f, v11
	v_sub_f32_e32 v15, v15, v28
	v_add_f32_e32 v14, v14, v25
	v_exp_f32_e32 v13, v13
	v_cvt_i32_f32_e32 v26, v26
	v_add_f32_e32 v15, v15, v27
	v_exp_f32_e32 v14, v14
	v_cvt_i32_f32_e32 v28, v28
	v_exp_f32_e32 v15, v15
	v_ldexp_f32 v12, v12, v22
	v_cmp_ngt_f32_e32 vcc, s28, v8
	v_ldexp_f32 v13, v13, v24
	v_ldexp_f32 v14, v14, v26
	v_cndmask_b32_e32 v12, 0, v12, vcc
	v_cmp_ngt_f32_e32 vcc, s28, v9
	v_ldexp_f32 v15, v15, v28
	v_med3_f32 v3, v3, s30, v20
	v_cndmask_b32_e32 v13, 0, v13, vcc
	v_cmp_ngt_f32_e32 vcc, s28, v10
	v_med3_f32 v2, v2, s30, v20
	v_med3_f32 v1, v1, s30, v20
	v_cndmask_b32_e32 v14, 0, v14, vcc
	v_cmp_ngt_f32_e32 vcc, s28, v11
	v_med3_f32 v0, v0, s30, v20
	v_pk_add_f32 v[2:3], v[2:3], 1.0 op_sel_hi:[1,0]
	v_cndmask_b32_e32 v15, 0, v15, vcc
	v_cmp_nlt_f32_e32 vcc, s29, v8
	v_pk_add_f32 v[0:1], v[0:1], 1.0 op_sel_hi:[1,0]
	s_nop 0
	v_cndmask_b32_e32 v8, v19, v12, vcc
	v_cmp_nlt_f32_e32 vcc, s29, v9
	v_add_f32_e32 v8, 1.0, v8
	v_rcp_f32_e32 v8, v8
	v_cndmask_b32_e32 v9, v19, v13, vcc
	v_cmp_nlt_f32_e32 vcc, s29, v10
	v_add_f32_e32 v9, 1.0, v9
	v_rcp_f32_e32 v9, v9
	;; [unrolled: 4-line block ×3, first 2 shown]
	v_cndmask_b32_e32 v11, v19, v15, vcc
	v_add_f32_e32 v11, 1.0, v11
	v_rcp_f32_e32 v11, v11
	v_pk_mul_f32 v[4:5], v[4:5], v[8:9]
	v_pk_mul_f32 v[6:7], v[6:7], v[10:11]
	s_nop 0
	v_pk_mul_f32 v[2:3], v[2:3], v[6:7]
	v_pk_mul_f32 v[0:1], v[0:1], v[4:5]
	buffer_store_dwordx4 v[0:3], v18, s[4:7], 0 offen
	v_add_u32_e32 v18, s26, v18
	s_andn2_b64 exec, exec, s[24:25]
	s_cbranch_execnz .LBB337_8
.LBB337_9:
	s_endpgm
	.section	.rodata,"a",@progbits
	.p2align	6, 0x0
	.amdhsa_kernel _ZN5aiter30swiglu_act_and_mul_bias_kernelIfflfLi4EEEvPT0_PKT_PKT1_PKT2_il
		.amdhsa_group_segment_fixed_size 0
		.amdhsa_private_segment_fixed_size 0
		.amdhsa_kernarg_size 304
		.amdhsa_user_sgpr_count 2
		.amdhsa_user_sgpr_dispatch_ptr 0
		.amdhsa_user_sgpr_queue_ptr 0
		.amdhsa_user_sgpr_kernarg_segment_ptr 1
		.amdhsa_user_sgpr_dispatch_id 0
		.amdhsa_user_sgpr_kernarg_preload_length 0
		.amdhsa_user_sgpr_kernarg_preload_offset 0
		.amdhsa_user_sgpr_private_segment_size 0
		.amdhsa_uses_dynamic_stack 0
		.amdhsa_enable_private_segment 0
		.amdhsa_system_sgpr_workgroup_id_x 1
		.amdhsa_system_sgpr_workgroup_id_y 0
		.amdhsa_system_sgpr_workgroup_id_z 0
		.amdhsa_system_sgpr_workgroup_info 0
		.amdhsa_system_vgpr_workitem_id 0
		.amdhsa_next_free_vgpr 29
		.amdhsa_next_free_sgpr 31
		.amdhsa_accum_offset 32
		.amdhsa_reserve_vcc 1
		.amdhsa_float_round_mode_32 0
		.amdhsa_float_round_mode_16_64 0
		.amdhsa_float_denorm_mode_32 3
		.amdhsa_float_denorm_mode_16_64 3
		.amdhsa_dx10_clamp 1
		.amdhsa_ieee_mode 1
		.amdhsa_fp16_overflow 0
		.amdhsa_tg_split 0
		.amdhsa_exception_fp_ieee_invalid_op 0
		.amdhsa_exception_fp_denorm_src 0
		.amdhsa_exception_fp_ieee_div_zero 0
		.amdhsa_exception_fp_ieee_overflow 0
		.amdhsa_exception_fp_ieee_underflow 0
		.amdhsa_exception_fp_ieee_inexact 0
		.amdhsa_exception_int_div_zero 0
	.end_amdhsa_kernel
	.section	.text._ZN5aiter30swiglu_act_and_mul_bias_kernelIfflfLi4EEEvPT0_PKT_PKT1_PKT2_il,"axG",@progbits,_ZN5aiter30swiglu_act_and_mul_bias_kernelIfflfLi4EEEvPT0_PKT_PKT1_PKT2_il,comdat
.Lfunc_end337:
	.size	_ZN5aiter30swiglu_act_and_mul_bias_kernelIfflfLi4EEEvPT0_PKT_PKT1_PKT2_il, .Lfunc_end337-_ZN5aiter30swiglu_act_and_mul_bias_kernelIfflfLi4EEEvPT0_PKT_PKT1_PKT2_il
                                        ; -- End function
	.section	.AMDGPU.csdata,"",@progbits
; Kernel info:
; codeLenInByte = 1128
; NumSgprs: 37
; NumVgprs: 29
; NumAgprs: 0
; TotalNumVgprs: 29
; ScratchSize: 0
; MemoryBound: 0
; FloatMode: 240
; IeeeMode: 1
; LDSByteSize: 0 bytes/workgroup (compile time only)
; SGPRBlocks: 4
; VGPRBlocks: 3
; NumSGPRsForWavesPerEU: 37
; NumVGPRsForWavesPerEU: 29
; AccumOffset: 32
; Occupancy: 8
; WaveLimiterHint : 0
; COMPUTE_PGM_RSRC2:SCRATCH_EN: 0
; COMPUTE_PGM_RSRC2:USER_SGPR: 2
; COMPUTE_PGM_RSRC2:TRAP_HANDLER: 0
; COMPUTE_PGM_RSRC2:TGID_X_EN: 1
; COMPUTE_PGM_RSRC2:TGID_Y_EN: 0
; COMPUTE_PGM_RSRC2:TGID_Z_EN: 0
; COMPUTE_PGM_RSRC2:TIDIG_COMP_CNT: 0
; COMPUTE_PGM_RSRC3_GFX90A:ACCUM_OFFSET: 7
; COMPUTE_PGM_RSRC3_GFX90A:TG_SPLIT: 0
	.section	.text._ZN5aiter30swiglu_act_and_mul_bias_kernelIfflfLi2EEEvPT0_PKT_PKT1_PKT2_il,"axG",@progbits,_ZN5aiter30swiglu_act_and_mul_bias_kernelIfflfLi2EEEvPT0_PKT_PKT1_PKT2_il,comdat
	.protected	_ZN5aiter30swiglu_act_and_mul_bias_kernelIfflfLi2EEEvPT0_PKT_PKT1_PKT2_il ; -- Begin function _ZN5aiter30swiglu_act_and_mul_bias_kernelIfflfLi2EEEvPT0_PKT_PKT1_PKT2_il
	.globl	_ZN5aiter30swiglu_act_and_mul_bias_kernelIfflfLi2EEEvPT0_PKT_PKT1_PKT2_il
	.p2align	8
	.type	_ZN5aiter30swiglu_act_and_mul_bias_kernelIfflfLi2EEEvPT0_PKT_PKT1_PKT2_il,@function
_ZN5aiter30swiglu_act_and_mul_bias_kernelIfflfLi2EEEvPT0_PKT_PKT1_PKT2_il: ; @_ZN5aiter30swiglu_act_and_mul_bias_kernelIfflfLi2EEEvPT0_PKT_PKT1_PKT2_il
; %bb.0:
	s_load_dword s20, s[0:1], 0x20
	s_load_dwordx2 s[4:5], s[0:1], 0x0
	s_load_dwordx2 s[6:7], s[0:1], 0x10
	;; [unrolled: 1-line block ×3, first 2 shown]
	s_mov_b32 s3, 0
	s_waitcnt lgkmcnt(0)
	s_ashr_i32 s21, s20, 31
	s_lshl_b64 s[8:9], s[2:3], 3
	s_add_u32 s6, s6, s8
	s_addc_u32 s7, s7, s9
	s_load_dwordx2 s[8:9], s[6:7], 0x0
	s_mul_hi_u32 s3, s20, s2
	s_mul_i32 s7, s21, s2
	s_add_i32 s11, s3, s7
	s_mul_i32 s10, s20, s2
	s_lshl_b32 s6, s20, 2
	s_lshl_b64 s[10:11], s[10:11], 2
	v_mov_b64_e32 v[2:3], s[12:13]
	s_add_u32 s4, s4, s10
	s_waitcnt lgkmcnt(0)
	v_cmp_gt_i64_e64 s[14:15], s[8:9], -1
	v_cmp_lt_i64_e32 vcc, s[8:9], v[2:3]
	s_addc_u32 s3, s5, s11
	s_and_b64 s[12:13], s[14:15], vcc
	s_and_b32 s5, s3, 0xffff
	s_mov_b64 s[10:11], -1
	s_and_b64 vcc, exec, s[12:13]
	v_lshlrev_b32_e32 v2, 1, v0
	s_cbranch_vccnz .LBB338_5
; %bb.1:
	v_cmp_gt_i32_e32 vcc, s20, v2
	s_and_saveexec_b64 s[10:11], vcc
	s_cbranch_execz .LBB338_4
; %bb.2:
	s_load_dword s3, s[0:1], 0x3c
	v_mov_b32_e32 v3, 0
	s_mov_b32 s13, 0
	v_lshlrev_b32_e32 v1, 3, v0
	s_mov_b64 s[14:15], 0
	s_waitcnt lgkmcnt(0)
	s_and_b32 s3, s3, 0xffff
	s_lshl_b32 s12, s3, 1
	s_lshl_b32 s3, s3, 3
	s_mov_b32 s7, 0x20000
	v_mov_b32_e32 v4, v3
	v_mov_b32_e32 v5, v3
	v_mov_b64_e32 v[6:7], v[2:3]
.LBB338_3:                              ; =>This Inner Loop Header: Depth=1
	v_lshl_add_u64 v[6:7], s[12:13], 0, v[6:7]
	v_cmp_le_i64_e32 vcc, s[20:21], v[6:7]
	buffer_store_dwordx2 v[4:5], v1, s[4:7], 0 offen
	s_or_b64 s[14:15], vcc, s[14:15]
	v_add_u32_e32 v1, s3, v1
	s_andn2_b64 exec, exec, s[14:15]
	s_cbranch_execnz .LBB338_3
.LBB338_4:
	s_or_b64 exec, exec, s[10:11]
	s_mov_b64 s[10:11], 0
.LBB338_5:
	s_andn2_b64 vcc, exec, s[10:11]
	s_cbranch_vccnz .LBB338_9
; %bb.6:
	v_cmp_gt_i32_e32 vcc, s20, v2
	s_and_saveexec_b64 s[10:11], vcc
	s_cbranch_execz .LBB338_9
; %bb.7:
	s_load_dwordx2 s[10:11], s[0:1], 0x8
	s_load_dwordx2 s[12:13], s[0:1], 0x18
	s_mul_i32 s3, s20, s9
	s_mul_hi_u32 s7, s20, s8
	s_add_i32 s3, s7, s3
	s_mul_i32 s7, s21, s8
	s_add_i32 s9, s3, s7
	s_mul_i32 s8, s20, s8
	s_lshl_b64 s[8:9], s[8:9], 3
	s_load_dword s18, s[0:1], 0x3c
	s_waitcnt lgkmcnt(0)
	s_add_u32 s0, s12, s8
	s_addc_u32 s1, s13, s9
	s_lshl_b64 s[14:15], s[20:21], 2
	s_add_u32 s8, s0, s14
	s_addc_u32 s3, s1, s15
	s_and_b32 s9, s3, 0xffff
	s_mul_i32 s3, s2, s21
	s_mul_hi_u32 s12, s2, s20
	s_add_i32 s3, s12, s3
	s_mul_i32 s2, s2, s20
	s_and_b32 s1, s1, 0xffff
	s_lshl_b64 s[2:3], s[2:3], 3
	s_add_u32 s12, s10, s2
	s_addc_u32 s2, s11, s3
	s_add_u32 s16, s12, s14
	s_mov_b32 s7, 0x20000
	s_addc_u32 s3, s2, s15
	s_and_b32 s13, s2, 0xffff
	s_and_b32 s2, s18, 0xffff
	;; [unrolled: 1-line block ×3, first 2 shown]
	s_mov_b32 s23, 0
	v_mov_b32_e32 v3, 0
	s_lshl_b32 s22, s2, 1
	v_lshlrev_b32_e32 v0, 3, v0
	s_lshl_b32 s26, s2, 3
	s_mov_b64 s[24:25], 0
	s_mov_b32 s11, s7
	s_mov_b32 s10, s6
	;; [unrolled: 1-line block ×7, first 2 shown]
	v_mov_b32_e32 v1, 0x7f800000
	s_mov_b32 s30, 0xc0e00000
	v_mov_b32_e32 v4, 0x40e00000
	s_mov_b32 s18, s6
	s_mov_b32 s19, s7
	;; [unrolled: 1-line block ×4, first 2 shown]
.LBB338_8:                              ; =>This Inner Loop Header: Depth=1
	buffer_load_dwordx2 v[6:7], v0, s[0:3], 0 offen
	buffer_load_dwordx2 v[8:9], v0, s[12:15], 0 offen
	;; [unrolled: 1-line block ×4, first 2 shown]
	v_lshl_add_u64 v[2:3], s[22:23], 0, v[2:3]
	v_cmp_le_i64_e32 vcc, s[20:21], v[2:3]
	s_or_b64 s[24:25], vcc, s[24:25]
	s_waitcnt vmcnt(2)
	v_pk_add_f32 v[6:7], v[8:9], v[6:7]
	s_nop 0
	v_min_f32_e32 v6, 0x40e00000, v6
	v_min_f32_e32 v7, 0x40e00000, v7
	v_mul_f32_e32 v5, 0xbfd9db23, v6
	v_mul_f32_e32 v14, 0xbfd9db23, v7
	;; [unrolled: 1-line block ×4, first 2 shown]
	v_fma_f32 v15, v5, s27, -v8
	v_rndne_f32_e32 v16, v8
	v_fma_f32 v17, v14, s27, -v9
	v_rndne_f32_e32 v18, v9
	v_fmac_f32_e32 v15, 0x32a5705f, v5
	v_sub_f32_e32 v8, v8, v16
	v_fmac_f32_e32 v17, 0x32a5705f, v14
	v_sub_f32_e32 v9, v9, v18
	v_add_f32_e32 v8, v8, v15
	v_cvt_i32_f32_e32 v16, v16
	v_add_f32_e32 v9, v9, v17
	v_exp_f32_e32 v15, v8
	v_cvt_i32_f32_e32 v18, v18
	v_exp_f32_e32 v17, v9
	s_waitcnt vmcnt(0)
	v_pk_add_f32 v[8:9], v[10:11], v[12:13]
	v_ldexp_f32 v10, v15, v16
	v_cmp_ngt_f32_e32 vcc, s28, v5
	v_ldexp_f32 v11, v17, v18
	v_med3_f32 v9, v9, s30, v4
	v_cndmask_b32_e32 v10, 0, v10, vcc
	v_cmp_ngt_f32_e32 vcc, s28, v14
	v_med3_f32 v8, v8, s30, v4
	v_pk_add_f32 v[8:9], v[8:9], 1.0 op_sel_hi:[1,0]
	v_cndmask_b32_e32 v11, 0, v11, vcc
	v_cmp_nlt_f32_e32 vcc, s29, v5
	s_nop 1
	v_cndmask_b32_e32 v5, v1, v10, vcc
	v_cmp_nlt_f32_e32 vcc, s29, v14
	v_add_f32_e32 v5, 1.0, v5
	s_nop 0
	v_cndmask_b32_e32 v10, v1, v11, vcc
	v_add_f32_e32 v11, 1.0, v10
	v_rcp_f32_e32 v10, v5
	v_rcp_f32_e32 v11, v11
	s_nop 0
	v_pk_mul_f32 v[6:7], v[6:7], v[10:11]
	s_nop 0
	v_pk_mul_f32 v[6:7], v[8:9], v[6:7]
	buffer_store_dwordx2 v[6:7], v0, s[4:7], 0 offen
	v_add_u32_e32 v0, s26, v0
	s_andn2_b64 exec, exec, s[24:25]
	s_cbranch_execnz .LBB338_8
.LBB338_9:
	s_endpgm
	.section	.rodata,"a",@progbits
	.p2align	6, 0x0
	.amdhsa_kernel _ZN5aiter30swiglu_act_and_mul_bias_kernelIfflfLi2EEEvPT0_PKT_PKT1_PKT2_il
		.amdhsa_group_segment_fixed_size 0
		.amdhsa_private_segment_fixed_size 0
		.amdhsa_kernarg_size 304
		.amdhsa_user_sgpr_count 2
		.amdhsa_user_sgpr_dispatch_ptr 0
		.amdhsa_user_sgpr_queue_ptr 0
		.amdhsa_user_sgpr_kernarg_segment_ptr 1
		.amdhsa_user_sgpr_dispatch_id 0
		.amdhsa_user_sgpr_kernarg_preload_length 0
		.amdhsa_user_sgpr_kernarg_preload_offset 0
		.amdhsa_user_sgpr_private_segment_size 0
		.amdhsa_uses_dynamic_stack 0
		.amdhsa_enable_private_segment 0
		.amdhsa_system_sgpr_workgroup_id_x 1
		.amdhsa_system_sgpr_workgroup_id_y 0
		.amdhsa_system_sgpr_workgroup_id_z 0
		.amdhsa_system_sgpr_workgroup_info 0
		.amdhsa_system_vgpr_workitem_id 0
		.amdhsa_next_free_vgpr 19
		.amdhsa_next_free_sgpr 31
		.amdhsa_accum_offset 20
		.amdhsa_reserve_vcc 1
		.amdhsa_float_round_mode_32 0
		.amdhsa_float_round_mode_16_64 0
		.amdhsa_float_denorm_mode_32 3
		.amdhsa_float_denorm_mode_16_64 3
		.amdhsa_dx10_clamp 1
		.amdhsa_ieee_mode 1
		.amdhsa_fp16_overflow 0
		.amdhsa_tg_split 0
		.amdhsa_exception_fp_ieee_invalid_op 0
		.amdhsa_exception_fp_denorm_src 0
		.amdhsa_exception_fp_ieee_div_zero 0
		.amdhsa_exception_fp_ieee_overflow 0
		.amdhsa_exception_fp_ieee_underflow 0
		.amdhsa_exception_fp_ieee_inexact 0
		.amdhsa_exception_int_div_zero 0
	.end_amdhsa_kernel
	.section	.text._ZN5aiter30swiglu_act_and_mul_bias_kernelIfflfLi2EEEvPT0_PKT_PKT1_PKT2_il,"axG",@progbits,_ZN5aiter30swiglu_act_and_mul_bias_kernelIfflfLi2EEEvPT0_PKT_PKT1_PKT2_il,comdat
.Lfunc_end338:
	.size	_ZN5aiter30swiglu_act_and_mul_bias_kernelIfflfLi2EEEvPT0_PKT_PKT1_PKT2_il, .Lfunc_end338-_ZN5aiter30swiglu_act_and_mul_bias_kernelIfflfLi2EEEvPT0_PKT_PKT1_PKT2_il
                                        ; -- End function
	.section	.AMDGPU.csdata,"",@progbits
; Kernel info:
; codeLenInByte = 888
; NumSgprs: 37
; NumVgprs: 19
; NumAgprs: 0
; TotalNumVgprs: 19
; ScratchSize: 0
; MemoryBound: 0
; FloatMode: 240
; IeeeMode: 1
; LDSByteSize: 0 bytes/workgroup (compile time only)
; SGPRBlocks: 4
; VGPRBlocks: 2
; NumSGPRsForWavesPerEU: 37
; NumVGPRsForWavesPerEU: 19
; AccumOffset: 20
; Occupancy: 8
; WaveLimiterHint : 0
; COMPUTE_PGM_RSRC2:SCRATCH_EN: 0
; COMPUTE_PGM_RSRC2:USER_SGPR: 2
; COMPUTE_PGM_RSRC2:TRAP_HANDLER: 0
; COMPUTE_PGM_RSRC2:TGID_X_EN: 1
; COMPUTE_PGM_RSRC2:TGID_Y_EN: 0
; COMPUTE_PGM_RSRC2:TGID_Z_EN: 0
; COMPUTE_PGM_RSRC2:TIDIG_COMP_CNT: 0
; COMPUTE_PGM_RSRC3_GFX90A:ACCUM_OFFSET: 4
; COMPUTE_PGM_RSRC3_GFX90A:TG_SPLIT: 0
	.section	.text._ZN5aiter30swiglu_act_and_mul_bias_kernelIfflfLi1EEEvPT0_PKT_PKT1_PKT2_il,"axG",@progbits,_ZN5aiter30swiglu_act_and_mul_bias_kernelIfflfLi1EEEvPT0_PKT_PKT1_PKT2_il,comdat
	.protected	_ZN5aiter30swiglu_act_and_mul_bias_kernelIfflfLi1EEEvPT0_PKT_PKT1_PKT2_il ; -- Begin function _ZN5aiter30swiglu_act_and_mul_bias_kernelIfflfLi1EEEvPT0_PKT_PKT1_PKT2_il
	.globl	_ZN5aiter30swiglu_act_and_mul_bias_kernelIfflfLi1EEEvPT0_PKT_PKT1_PKT2_il
	.p2align	8
	.type	_ZN5aiter30swiglu_act_and_mul_bias_kernelIfflfLi1EEEvPT0_PKT_PKT1_PKT2_il,@function
_ZN5aiter30swiglu_act_and_mul_bias_kernelIfflfLi1EEEvPT0_PKT_PKT1_PKT2_il: ; @_ZN5aiter30swiglu_act_and_mul_bias_kernelIfflfLi1EEEvPT0_PKT_PKT1_PKT2_il
; %bb.0:
	s_load_dword s20, s[0:1], 0x20
	s_load_dwordx2 s[4:5], s[0:1], 0x0
	s_load_dwordx2 s[6:7], s[0:1], 0x10
	;; [unrolled: 1-line block ×3, first 2 shown]
	s_mov_b32 s3, 0
	s_waitcnt lgkmcnt(0)
	s_ashr_i32 s21, s20, 31
	s_lshl_b64 s[8:9], s[2:3], 3
	s_add_u32 s6, s6, s8
	s_addc_u32 s7, s7, s9
	s_load_dwordx2 s[6:7], s[6:7], 0x0
	s_mul_hi_u32 s3, s20, s2
	s_mul_i32 s8, s21, s2
	s_add_i32 s9, s3, s8
	s_mul_i32 s8, s20, s2
	s_lshl_b32 s10, s20, 2
	s_lshl_b64 s[8:9], s[8:9], 2
	s_add_u32 s8, s4, s8
	v_mov_b64_e32 v[2:3], s[14:15]
	s_addc_u32 s3, s5, s9
	s_waitcnt lgkmcnt(0)
	v_cmp_gt_i64_e64 s[4:5], s[6:7], -1
	v_cmp_lt_i64_e32 vcc, s[6:7], v[2:3]
	s_and_b64 s[4:5], s[4:5], vcc
	s_and_b32 s9, s3, 0xffff
	s_mov_b64 s[12:13], -1
	s_and_b64 vcc, exec, s[4:5]
	v_cmp_gt_i32_e64 s[4:5], s20, v0
	s_cbranch_vccnz .LBB339_5
; %bb.1:
	s_and_saveexec_b64 s[12:13], s[4:5]
	s_cbranch_execz .LBB339_4
; %bb.2:
	s_load_dword s3, s[0:1], 0x3c
	v_mov_b32_e32 v1, 0
	s_mov_b32 s5, 0
	v_lshlrev_b32_e32 v4, 2, v0
	s_mov_b64 s[14:15], 0
	s_waitcnt lgkmcnt(0)
	s_and_b32 s4, s3, 0xffff
	s_lshl_b32 s3, s4, 2
	s_mov_b32 s11, 0x20000
	v_mov_b64_e32 v[2:3], v[0:1]
.LBB339_3:                              ; =>This Inner Loop Header: Depth=1
	v_lshl_add_u64 v[2:3], v[2:3], 0, s[4:5]
	v_cmp_le_i64_e32 vcc, s[20:21], v[2:3]
	buffer_store_dword v1, v4, s[8:11], 0 offen
	s_or_b64 s[14:15], vcc, s[14:15]
	v_add_u32_e32 v4, s3, v4
	s_andn2_b64 exec, exec, s[14:15]
	s_cbranch_execnz .LBB339_3
.LBB339_4:
	s_or_b64 exec, exec, s[12:13]
	s_mov_b64 s[12:13], 0
.LBB339_5:
	s_andn2_b64 vcc, exec, s[12:13]
	s_cbranch_vccnz .LBB339_9
; %bb.6:
	v_cmp_gt_i32_e32 vcc, s20, v0
	s_and_saveexec_b64 s[4:5], vcc
	s_cbranch_execz .LBB339_9
; %bb.7:
	s_mul_i32 s3, s20, s7
	s_mul_hi_u32 s4, s20, s6
	s_add_i32 s3, s4, s3
	s_load_dwordx2 s[12:13], s[0:1], 0x8
	s_load_dwordx2 s[4:5], s[0:1], 0x18
	s_mul_i32 s7, s21, s6
	s_add_i32 s7, s3, s7
	s_mul_i32 s6, s20, s6
	s_lshl_b64 s[6:7], s[6:7], 3
	s_load_dword s14, s[0:1], 0x3c
	s_waitcnt lgkmcnt(0)
	s_add_u32 s0, s4, s6
	s_addc_u32 s1, s5, s7
	s_lshl_b64 s[6:7], s[20:21], 2
	s_add_u32 s4, s0, s6
	s_addc_u32 s3, s1, s7
	s_and_b32 s5, s3, 0xffff
	s_mul_i32 s3, s2, s21
	s_mul_hi_u32 s15, s2, s20
	s_add_i32 s3, s15, s3
	s_mul_i32 s2, s2, s20
	s_and_b32 s1, s1, 0xffff
	s_lshl_b64 s[2:3], s[2:3], 3
	s_add_u32 s12, s12, s2
	s_addc_u32 s2, s13, s3
	s_add_u32 s16, s12, s6
	s_mov_b32 s11, 0x20000
	s_addc_u32 s3, s2, s7
	s_and_b32 s22, s14, 0xffff
	s_and_b32 s13, s2, 0xffff
	s_and_b32 s17, s3, 0xffff
	s_mov_b32 s23, 0
	v_mov_b32_e32 v1, 0
	v_lshlrev_b32_e32 v2, 2, v0
	s_lshl_b32 s26, s22, 2
	s_mov_b64 s[24:25], 0
	s_mov_b32 s7, s11
	s_mov_b32 s6, s10
	s_mov_b32 s14, s10
	s_mov_b32 s15, s11
	s_mov_b32 s27, 0x3fb8aa3b
	s_mov_b32 s28, 0xc2ce8ed0
	s_mov_b32 s29, 0x42b17218
	v_mov_b32_e32 v3, 0x7f800000
	s_mov_b32 s18, s10
	s_mov_b32 s19, s11
	;; [unrolled: 1-line block ×4, first 2 shown]
.LBB339_8:                              ; =>This Inner Loop Header: Depth=1
	buffer_load_dword v4, v2, s[0:3], 0 offen
	buffer_load_dword v5, v2, s[12:15], 0 offen
	;; [unrolled: 1-line block ×4, first 2 shown]
	v_lshl_add_u64 v[0:1], v[0:1], 0, s[22:23]
	v_cmp_le_i64_e32 vcc, s[20:21], v[0:1]
	s_or_b64 s[24:25], vcc, s[24:25]
	s_waitcnt vmcnt(2)
	v_add_f32_e32 v4, v5, v4
	v_min_f32_e32 v4, 0x40e00000, v4
	v_mul_f32_e32 v5, 0xbfd9db23, v4
	v_mul_f32_e32 v8, 0x3fb8aa3b, v5
	v_fma_f32 v9, v5, s27, -v8
	v_rndne_f32_e32 v10, v8
	v_fmac_f32_e32 v9, 0x32a5705f, v5
	v_sub_f32_e32 v8, v8, v10
	v_add_f32_e32 v8, v8, v9
	v_cvt_i32_f32_e32 v10, v10
	v_exp_f32_e32 v8, v8
	s_waitcnt vmcnt(0)
	v_add_f32_e32 v6, v6, v7
	v_cmp_ngt_f32_e32 vcc, s28, v5
	v_max_f32_e32 v6, 0xc0e00000, v6
	v_ldexp_f32 v7, v8, v10
	v_cndmask_b32_e32 v7, 0, v7, vcc
	v_cmp_nlt_f32_e32 vcc, s29, v5
	v_min_f32_e32 v6, 0x40e00000, v6
	v_add_f32_e32 v6, 1.0, v6
	v_cndmask_b32_e32 v5, v3, v7, vcc
	v_add_f32_e32 v5, 1.0, v5
	v_rcp_f32_e32 v5, v5
	s_nop 0
	v_mul_f32_e32 v4, v4, v5
	v_mul_f32_e32 v4, v6, v4
	buffer_store_dword v4, v2, s[8:11], 0 offen
	v_add_u32_e32 v2, s26, v2
	s_andn2_b64 exec, exec, s[24:25]
	s_cbranch_execnz .LBB339_8
.LBB339_9:
	s_endpgm
	.section	.rodata,"a",@progbits
	.p2align	6, 0x0
	.amdhsa_kernel _ZN5aiter30swiglu_act_and_mul_bias_kernelIfflfLi1EEEvPT0_PKT_PKT1_PKT2_il
		.amdhsa_group_segment_fixed_size 0
		.amdhsa_private_segment_fixed_size 0
		.amdhsa_kernarg_size 304
		.amdhsa_user_sgpr_count 2
		.amdhsa_user_sgpr_dispatch_ptr 0
		.amdhsa_user_sgpr_queue_ptr 0
		.amdhsa_user_sgpr_kernarg_segment_ptr 1
		.amdhsa_user_sgpr_dispatch_id 0
		.amdhsa_user_sgpr_kernarg_preload_length 0
		.amdhsa_user_sgpr_kernarg_preload_offset 0
		.amdhsa_user_sgpr_private_segment_size 0
		.amdhsa_uses_dynamic_stack 0
		.amdhsa_enable_private_segment 0
		.amdhsa_system_sgpr_workgroup_id_x 1
		.amdhsa_system_sgpr_workgroup_id_y 0
		.amdhsa_system_sgpr_workgroup_id_z 0
		.amdhsa_system_sgpr_workgroup_info 0
		.amdhsa_system_vgpr_workitem_id 0
		.amdhsa_next_free_vgpr 11
		.amdhsa_next_free_sgpr 30
		.amdhsa_accum_offset 12
		.amdhsa_reserve_vcc 1
		.amdhsa_float_round_mode_32 0
		.amdhsa_float_round_mode_16_64 0
		.amdhsa_float_denorm_mode_32 3
		.amdhsa_float_denorm_mode_16_64 3
		.amdhsa_dx10_clamp 1
		.amdhsa_ieee_mode 1
		.amdhsa_fp16_overflow 0
		.amdhsa_tg_split 0
		.amdhsa_exception_fp_ieee_invalid_op 0
		.amdhsa_exception_fp_denorm_src 0
		.amdhsa_exception_fp_ieee_div_zero 0
		.amdhsa_exception_fp_ieee_overflow 0
		.amdhsa_exception_fp_ieee_underflow 0
		.amdhsa_exception_fp_ieee_inexact 0
		.amdhsa_exception_int_div_zero 0
	.end_amdhsa_kernel
	.section	.text._ZN5aiter30swiglu_act_and_mul_bias_kernelIfflfLi1EEEvPT0_PKT_PKT1_PKT2_il,"axG",@progbits,_ZN5aiter30swiglu_act_and_mul_bias_kernelIfflfLi1EEEvPT0_PKT_PKT1_PKT2_il,comdat
.Lfunc_end339:
	.size	_ZN5aiter30swiglu_act_and_mul_bias_kernelIfflfLi1EEEvPT0_PKT_PKT1_PKT2_il, .Lfunc_end339-_ZN5aiter30swiglu_act_and_mul_bias_kernelIfflfLi1EEEvPT0_PKT_PKT1_PKT2_il
                                        ; -- End function
	.section	.AMDGPU.csdata,"",@progbits
; Kernel info:
; codeLenInByte = 728
; NumSgprs: 36
; NumVgprs: 11
; NumAgprs: 0
; TotalNumVgprs: 11
; ScratchSize: 0
; MemoryBound: 0
; FloatMode: 240
; IeeeMode: 1
; LDSByteSize: 0 bytes/workgroup (compile time only)
; SGPRBlocks: 4
; VGPRBlocks: 1
; NumSGPRsForWavesPerEU: 36
; NumVGPRsForWavesPerEU: 11
; AccumOffset: 12
; Occupancy: 8
; WaveLimiterHint : 0
; COMPUTE_PGM_RSRC2:SCRATCH_EN: 0
; COMPUTE_PGM_RSRC2:USER_SGPR: 2
; COMPUTE_PGM_RSRC2:TRAP_HANDLER: 0
; COMPUTE_PGM_RSRC2:TGID_X_EN: 1
; COMPUTE_PGM_RSRC2:TGID_Y_EN: 0
; COMPUTE_PGM_RSRC2:TGID_Z_EN: 0
; COMPUTE_PGM_RSRC2:TIDIG_COMP_CNT: 0
; COMPUTE_PGM_RSRC3_GFX90A:ACCUM_OFFSET: 2
; COMPUTE_PGM_RSRC3_GFX90A:TG_SPLIT: 0
	.section	.text._ZN5aiter30swiglu_act_and_mul_bias_kernelIDF16_DF16_lfLi32EEEvPT0_PKT_PKT1_PKT2_il,"axG",@progbits,_ZN5aiter30swiglu_act_and_mul_bias_kernelIDF16_DF16_lfLi32EEEvPT0_PKT_PKT1_PKT2_il,comdat
	.protected	_ZN5aiter30swiglu_act_and_mul_bias_kernelIDF16_DF16_lfLi32EEEvPT0_PKT_PKT1_PKT2_il ; -- Begin function _ZN5aiter30swiglu_act_and_mul_bias_kernelIDF16_DF16_lfLi32EEEvPT0_PKT_PKT1_PKT2_il
	.globl	_ZN5aiter30swiglu_act_and_mul_bias_kernelIDF16_DF16_lfLi32EEEvPT0_PKT_PKT1_PKT2_il
	.p2align	8
	.type	_ZN5aiter30swiglu_act_and_mul_bias_kernelIDF16_DF16_lfLi32EEEvPT0_PKT_PKT1_PKT2_il,@function
_ZN5aiter30swiglu_act_and_mul_bias_kernelIDF16_DF16_lfLi32EEEvPT0_PKT_PKT1_PKT2_il: ; @_ZN5aiter30swiglu_act_and_mul_bias_kernelIDF16_DF16_lfLi32EEEvPT0_PKT_PKT1_PKT2_il
; %bb.0:
	s_load_dword s24, s[0:1], 0x20
	s_load_dwordx2 s[4:5], s[0:1], 0x0
	s_load_dwordx2 s[6:7], s[0:1], 0x10
	;; [unrolled: 1-line block ×3, first 2 shown]
	s_mov_b32 s3, 0
	s_waitcnt lgkmcnt(0)
	s_ashr_i32 s25, s24, 31
	s_lshl_b64 s[8:9], s[2:3], 3
	s_add_u32 s6, s6, s8
	s_addc_u32 s7, s7, s9
	s_add_i32 s3, s24, 1
	s_load_dwordx2 s[8:9], s[6:7], 0x0
	s_lshr_b32 s6, s3, 31
	s_add_i32 s3, s3, s6
	s_lshl_b32 s3, s3, 1
	s_and_b32 s6, s3, -4
	s_mul_hi_u32 s3, s24, s2
	s_mul_i32 s7, s25, s2
	s_add_i32 s11, s3, s7
	s_mul_i32 s10, s24, s2
	s_lshl_b64 s[10:11], s[10:11], 1
	v_mov_b64_e32 v[2:3], s[12:13]
	s_add_u32 s4, s4, s10
	s_waitcnt lgkmcnt(0)
	v_cmp_gt_i64_e64 s[14:15], s[8:9], -1
	v_cmp_lt_i64_e32 vcc, s[8:9], v[2:3]
	s_addc_u32 s3, s5, s11
	s_and_b64 s[12:13], s[14:15], vcc
	s_and_b32 s5, s3, 0xffff
	s_mov_b64 s[10:11], -1
	s_and_b64 vcc, exec, s[12:13]
	v_lshlrev_b32_e32 v42, 5, v0
	s_cbranch_vccnz .LBB340_5
; %bb.1:
	v_cmp_gt_i32_e32 vcc, s24, v42
	s_and_saveexec_b64 s[10:11], vcc
	s_cbranch_execz .LBB340_4
; %bb.2:
	s_load_dword s3, s[0:1], 0x3c
	s_mov_b32 s13, 0
	s_mov_b32 s16, s13
	;; [unrolled: 1-line block ×3, first 2 shown]
	v_mov_b32_e32 v43, 0
	s_waitcnt lgkmcnt(0)
	s_and_b32 s3, s3, 0xffff
	s_mov_b32 s18, s13
	s_mov_b32 s19, s13
	v_mov_b64_e32 v[2:3], s[16:17]
	v_lshlrev_b32_e32 v1, 6, v0
	s_lshl_b32 s12, s3, 5
	s_lshl_b32 s3, s3, 6
	s_mov_b64 s[14:15], 0
	s_mov_b32 s7, 0x20000
	v_mov_b64_e32 v[4:5], s[18:19]
	v_mov_b64_e32 v[6:7], v[42:43]
.LBB340_3:                              ; =>This Inner Loop Header: Depth=1
	v_lshl_add_u64 v[6:7], s[12:13], 0, v[6:7]
	v_cmp_le_i64_e32 vcc, s[24:25], v[6:7]
	buffer_store_dwordx4 v[2:5], v1, s[4:7], 0 offen
	buffer_store_dwordx4 v[2:5], v1, s[4:7], 16 offen
	;; [unrolled: 1-line block ×4, first 2 shown]
	s_or_b64 s[14:15], vcc, s[14:15]
	v_add_u32_e32 v1, s3, v1
	s_andn2_b64 exec, exec, s[14:15]
	s_cbranch_execnz .LBB340_3
.LBB340_4:
	s_or_b64 exec, exec, s[10:11]
	s_mov_b64 s[10:11], 0
.LBB340_5:
	s_andn2_b64 vcc, exec, s[10:11]
	s_cbranch_vccnz .LBB340_9
; %bb.6:
	v_cmp_gt_i32_e32 vcc, s24, v42
	s_and_saveexec_b64 s[10:11], vcc
	s_cbranch_execz .LBB340_9
; %bb.7:
	s_load_dwordx2 s[14:15], s[0:1], 0x8
	s_load_dwordx2 s[10:11], s[0:1], 0x18
	s_mul_i32 s3, s24, s9
	s_mul_hi_u32 s7, s24, s8
	s_add_i32 s3, s7, s3
	s_mul_i32 s7, s25, s8
	s_add_i32 s9, s3, s7
	s_mul_i32 s8, s24, s8
	s_lshl_b64 s[8:9], s[8:9], 3
	s_waitcnt lgkmcnt(0)
	s_add_u32 s8, s10, s8
	s_load_dword s18, s[0:1], 0x3c
	s_addc_u32 s3, s11, s9
	s_lshl_b64 s[0:1], s[24:25], 2
	s_add_u32 s12, s8, s0
	s_addc_u32 s0, s3, s1
	s_and_b32 s13, s0, 0xffff
	s_mul_i32 s0, s2, s25
	s_mul_hi_u32 s1, s2, s24
	s_add_i32 s1, s1, s0
	s_mul_i32 s0, s2, s24
	s_lshl_b32 s10, s24, 2
	s_and_b32 s9, s3, 0xffff
	s_lshl_b64 s[0:1], s[0:1], 2
	s_add_u32 s16, s14, s0
	s_addc_u32 s2, s15, s1
	s_lshl_b64 s[0:1], s[24:25], 1
	s_add_u32 s20, s16, s0
	s_addc_u32 s0, s2, s1
	s_mov_b32 s7, 0x20000
	s_and_b32 s21, s0, 0xffff
	s_waitcnt lgkmcnt(0)
	s_and_b32 s0, s18, 0xffff
	s_mov_b32 s11, s7
	s_and_b32 s17, s2, 0xffff
	s_mov_b64 s[22:23], s[6:7]
	s_mov_b32 s3, 0
	v_mov_b32_e32 v43, 0
	s_lshl_b32 s2, s0, 5
	v_lshlrev_b32_e32 v50, 7, v0
	s_lshl_b32 s28, s0, 7
	v_lshlrev_b32_e32 v51, 6, v0
	s_lshl_b32 s29, s0, 6
	s_mov_b64 s[26:27], 0
	s_movk_i32 s30, 0x50
	s_movk_i32 s31, 0x60
	;; [unrolled: 1-line block ×3, first 2 shown]
	s_mov_b32 s34, 0x3fb8aa3b
	s_mov_b32 s35, 0xc2ce8ed0
	;; [unrolled: 1-line block ×3, first 2 shown]
	v_mov_b32_e32 v52, 0x7f800000
	s_mov_b32 s37, 0xc0e00000
	v_mov_b32_e32 v53, 0x40e00000
	s_mov_b32 s18, s6
	s_mov_b32 s19, s7
.LBB340_8:                              ; =>This Inner Loop Header: Depth=1
	buffer_load_dwordx4 v[22:25], v51, s[16:19], 0 offen
	buffer_load_dwordx4 v[10:13], v51, s[20:23], 0 offen
	buffer_load_dwordx4 v[36:39], v50, s[8:11], 0 offen
	s_mov_b32 s14, s10
	s_mov_b32 s15, s11
	buffer_load_dwordx4 v[44:47], v50, s[12:15], 0 offen
	buffer_load_dwordx4 v[18:21], v51, s[16:19], 16 offen
	;; [unrolled: 1-line block ×7, first 2 shown]
	v_lshl_add_u64 v[42:43], s[2:3], 0, v[42:43]
	s_waitcnt vmcnt(9)
	v_cvt_f32_f16_e32 v8, v22
	v_cvt_f32_f16_sdwa v9, v22 dst_sel:DWORD dst_unused:UNUSED_PAD src0_sel:WORD_1
	v_cvt_f32_f16_e32 v22, v23
	v_cvt_f32_f16_sdwa v23, v23 dst_sel:DWORD dst_unused:UNUSED_PAD src0_sel:WORD_1
	s_waitcnt vmcnt(8)
	v_cvt_f32_f16_e32 v30, v10
	v_cvt_f32_f16_sdwa v31, v10 dst_sel:DWORD dst_unused:UNUSED_PAD src0_sel:WORD_1
	v_cvt_f32_f16_e32 v10, v11
	v_cvt_f32_f16_sdwa v11, v11 dst_sel:DWORD dst_unused:UNUSED_PAD src0_sel:WORD_1
	s_waitcnt vmcnt(7)
	v_pk_add_f32 v[8:9], v[36:37], v[8:9]
	v_pk_add_f32 v[22:23], v[38:39], v[22:23]
	v_min_f32_e32 v37, 0x40e00000, v9
	v_min_f32_e32 v36, 0x40e00000, v8
	;; [unrolled: 1-line block ×3, first 2 shown]
	v_mul_f32_e32 v38, 0xbfd9db23, v36
	v_mul_f32_e32 v39, 0xbfd9db23, v37
	s_waitcnt vmcnt(6)
	v_pk_add_f32 v[10:11], v[46:47], v[10:11]
	v_min_f32_e32 v23, 0x40e00000, v23
	v_mul_f32_e32 v40, 0xbfd9db23, v22
	v_mul_f32_e32 v8, 0x3fb8aa3b, v38
	;; [unrolled: 1-line block ×3, first 2 shown]
	v_pk_add_f32 v[30:31], v[44:45], v[30:31]
	v_med3_f32 v44, v10, s37, v53
	v_mul_f32_e32 v41, 0xbfd9db23, v23
	v_mul_f32_e32 v10, 0x3fb8aa3b, v40
	v_fma_f32 v46, v38, s34, -v8
	v_rndne_f32_e32 v47, v8
	v_fma_f32 v48, v39, s34, -v9
	v_rndne_f32_e32 v49, v9
	v_med3_f32 v45, v11, s37, v53
	v_mul_f32_e32 v11, 0x3fb8aa3b, v41
	v_fma_f32 v54, v40, s34, -v10
	v_rndne_f32_e32 v55, v10
	v_fmac_f32_e32 v46, 0x32a5705f, v38
	v_sub_f32_e32 v8, v8, v47
	v_fmac_f32_e32 v48, 0x32a5705f, v39
	v_sub_f32_e32 v9, v9, v49
	v_add_f32_e32 v8, v8, v46
	v_fma_f32 v46, v41, s34, -v11
	v_add_f32_e32 v9, v9, v48
	v_rndne_f32_e32 v48, v11
	v_fmac_f32_e32 v54, 0x32a5705f, v40
	v_sub_f32_e32 v10, v10, v55
	v_cvt_i32_f32_e32 v47, v47
	v_fmac_f32_e32 v46, 0x32a5705f, v41
	v_sub_f32_e32 v11, v11, v48
	v_add_f32_e32 v10, v10, v54
	v_exp_f32_e32 v8, v8
	v_cvt_i32_f32_e32 v49, v49
	v_cvt_i32_f32_e32 v55, v55
	v_add_f32_e32 v11, v11, v46
	v_exp_f32_e32 v9, v9
	v_exp_f32_e32 v46, v10
	v_cvt_i32_f32_e32 v48, v48
	v_exp_f32_e32 v54, v11
	v_ldexp_f32 v56, v8, v47
	v_cmp_ngt_f32_e32 vcc, s35, v38
	v_ldexp_f32 v49, v9, v49
	v_ldexp_f32 v55, v46, v55
	v_cvt_f32_f16_e32 v46, v24
	v_cvt_f32_f16_sdwa v47, v24 dst_sel:DWORD dst_unused:UNUSED_PAD src0_sel:WORD_1
	v_cndmask_b32_e32 v24, 0, v56, vcc
	v_cmp_ngt_f32_e32 vcc, s35, v39
	v_ldexp_f32 v48, v54, v48
	s_waitcnt vmcnt(1)
	v_pk_add_f32 v[32:33], v[32:33], v[46:47]
	v_cndmask_b32_e32 v49, 0, v49, vcc
	v_cmp_ngt_f32_e32 vcc, s35, v40
	v_med3_f32 v31, v31, s37, v53
	v_med3_f32 v30, v30, s37, v53
	v_cndmask_b32_e32 v54, 0, v55, vcc
	v_cmp_ngt_f32_e32 vcc, s35, v41
	v_min_f32_e32 v46, 0x40e00000, v32
	v_pk_add_f32 v[30:31], v[30:31], 1.0 op_sel_hi:[1,0]
	v_cndmask_b32_e32 v48, 0, v48, vcc
	v_cmp_nlt_f32_e32 vcc, s36, v38
	v_min_f32_e32 v47, 0x40e00000, v33
	buffer_load_dwordx4 v[8:11], v51, s[20:23], 32 offen
	v_cndmask_b32_e32 v24, v52, v24, vcc
	v_cmp_nlt_f32_e32 vcc, s36, v39
	v_add_f32_e32 v24, 1.0, v24
	s_nop 0
	v_cndmask_b32_e32 v38, v52, v49, vcc
	v_cmp_nlt_f32_e32 vcc, s36, v40
	v_add_f32_e32 v38, 1.0, v38
	v_rcp_f32_e32 v49, v38
	v_cndmask_b32_e32 v39, v52, v54, vcc
	v_cmp_nlt_f32_e32 vcc, s36, v41
	v_add_f32_e32 v39, 1.0, v39
	v_rcp_f32_e32 v54, v39
	v_cndmask_b32_e32 v40, v52, v48, vcc
	v_rcp_f32_e32 v48, v24
	v_add_f32_e32 v40, 1.0, v40
	v_rcp_f32_e32 v55, v40
	buffer_load_dwordx4 v[38:41], v50, s[8:11], 32 offen
	v_pk_mul_f32 v[36:37], v[36:37], v[48:49]
	v_mul_f32_e32 v24, 0xbfd9db23, v46
	v_pk_mul_f32 v[36:37], v[30:31], v[36:37]
	v_mul_f32_e32 v30, 0x3fb8aa3b, v24
	v_fma_f32 v31, v24, s34, -v30
	v_rndne_f32_e32 v32, v30
	v_fmac_f32_e32 v31, 0x32a5705f, v24
	v_sub_f32_e32 v30, v30, v32
	v_add_f32_e32 v30, v30, v31
	v_exp_f32_e32 v48, v30
	v_cvt_i32_f32_e32 v32, v32
	v_pk_mul_f32 v[22:23], v[22:23], v[54:55]
	v_pk_add_f32 v[30:31], v[44:45], 1.0 op_sel_hi:[1,0]
	v_cmp_ngt_f32_e32 vcc, s35, v24
	v_pk_mul_f32 v[44:45], v[30:31], v[22:23]
	v_ldexp_f32 v22, v48, v32
	v_cndmask_b32_e32 v22, 0, v22, vcc
	v_cmp_nlt_f32_e32 vcc, s36, v24
	v_cvt_f32_f16_sdwa v23, v12 dst_sel:DWORD dst_unused:UNUSED_PAD src0_sel:WORD_1
	v_cvt_f16_f32_e32 v54, v37
	v_cndmask_b32_e32 v24, v52, v22, vcc
	v_cvt_f32_f16_e32 v22, v12
	v_mul_f32_e32 v12, 0xbfd9db23, v47
	v_mul_f32_e32 v30, 0x3fb8aa3b, v12
	v_fma_f32 v31, v12, s34, -v30
	v_rndne_f32_e32 v32, v30
	v_fmac_f32_e32 v31, 0x32a5705f, v12
	v_sub_f32_e32 v30, v30, v32
	v_add_f32_e32 v30, v30, v31
	v_exp_f32_e32 v30, v30
	v_cvt_i32_f32_e32 v31, v32
	v_add_f32_e32 v24, 1.0, v24
	v_rcp_f32_e32 v48, v24
	v_cmp_ngt_f32_e32 vcc, s35, v12
	v_ldexp_f32 v24, v30, v31
	buffer_load_dwordx4 v[30:33], v50, s[8:11], 48 offen
	v_cndmask_b32_e32 v24, 0, v24, vcc
	v_cmp_nlt_f32_e32 vcc, s36, v12
	s_waitcnt vmcnt(3)
	v_pk_add_f32 v[22:23], v[26:27], v[22:23]
	v_cvt_f16_f32_e32 v55, v36
	v_cndmask_b32_e32 v12, v52, v24, vcc
	v_add_f32_e32 v12, 1.0, v12
	v_rcp_f32_e32 v49, v12
	v_med3_f32 v23, v23, s37, v53
	v_med3_f32 v22, v22, s37, v53
	v_pk_add_f32 v[22:23], v[22:23], 1.0 op_sel_hi:[1,0]
	v_pk_mul_f32 v[46:47], v[46:47], v[48:49]
	v_cvt_f32_f16_e32 v48, v25
	v_cvt_f32_f16_sdwa v49, v25 dst_sel:DWORD dst_unused:UNUSED_PAD src0_sel:WORD_1
	buffer_load_dwordx4 v[24:27], v50, s[12:15], 32 offen
	v_pk_mul_f32 v[46:47], v[22:23], v[46:47]
	v_pk_add_f32 v[22:23], v[34:35], v[48:49]
	s_nop 0
	v_min_f32_e32 v22, 0x40e00000, v22
	v_mul_f32_e32 v12, 0xbfd9db23, v22
	v_mul_f32_e32 v34, 0x3fb8aa3b, v12
	v_fma_f32 v35, v12, s34, -v34
	v_rndne_f32_e32 v48, v34
	v_fmac_f32_e32 v35, 0x32a5705f, v12
	v_sub_f32_e32 v34, v34, v48
	v_add_f32_e32 v34, v34, v35
	v_exp_f32_e32 v34, v34
	v_cvt_i32_f32_e32 v35, v48
	v_min_f32_e32 v23, 0x40e00000, v23
	v_cmp_ngt_f32_e32 vcc, s35, v12
	v_mul_f32_e32 v49, 0xbfd9db23, v23
	v_ldexp_f32 v34, v34, v35
	v_cndmask_b32_e32 v48, 0, v34, vcc
	v_mul_f32_e32 v34, 0x3fb8aa3b, v49
	v_fma_f32 v35, v49, s34, -v34
	v_rndne_f32_e32 v56, v34
	v_fmac_f32_e32 v35, 0x32a5705f, v49
	v_sub_f32_e32 v34, v34, v56
	v_add_f32_e32 v57, v34, v35
	buffer_load_dwordx4 v[34:37], v50, s[12:15], 48 offen
	v_cmp_nlt_f32_e32 vcc, s36, v12
	v_cvt_f32_f16_e32 v12, v13
	v_cvt_f32_f16_sdwa v13, v13 dst_sel:DWORD dst_unused:UNUSED_PAD src0_sel:WORD_1
	v_exp_f32_e32 v57, v57
	v_cvt_i32_f32_e32 v56, v56
	v_cndmask_b32_e32 v48, v52, v48, vcc
	v_pk_add_f32 v[12:13], v[28:29], v[12:13]
	v_cmp_ngt_f32_e32 vcc, s35, v49
	v_ldexp_f32 v29, v57, v56
	v_add_f32_e32 v48, 1.0, v48
	v_cndmask_b32_e32 v29, 0, v29, vcc
	v_cmp_nlt_f32_e32 vcc, s36, v49
	v_rcp_f32_e32 v28, v48
	v_cvt_f32_f16_e32 v48, v18
	v_cndmask_b32_e32 v29, v52, v29, vcc
	v_add_f32_e32 v29, 1.0, v29
	v_rcp_f32_e32 v29, v29
	v_cvt_f32_f16_sdwa v49, v18 dst_sel:DWORD dst_unused:UNUSED_PAD src0_sel:WORD_1
	v_med3_f32 v13, v13, s37, v53
	v_med3_f32 v12, v12, s37, v53
	v_pk_mul_f32 v[22:23], v[22:23], v[28:29]
	s_waitcnt vmcnt(3)
	v_pk_add_f32 v[28:29], v[38:39], v[48:49]
	v_pk_add_f32 v[12:13], v[12:13], 1.0 op_sel_hi:[1,0]
	v_min_f32_e32 v28, 0x40e00000, v28
	v_mul_f32_e32 v18, 0xbfd9db23, v28
	v_mul_f32_e32 v38, 0x3fb8aa3b, v18
	v_fma_f32 v39, v18, s34, -v38
	v_rndne_f32_e32 v48, v38
	v_fmac_f32_e32 v39, 0x32a5705f, v18
	v_sub_f32_e32 v38, v38, v48
	v_add_f32_e32 v38, v38, v39
	v_exp_f32_e32 v38, v38
	v_cvt_i32_f32_e32 v39, v48
	v_min_f32_e32 v29, 0x40e00000, v29
	v_pk_mul_f32 v[48:49], v[12:13], v[22:23]
	v_cmp_ngt_f32_e32 vcc, s35, v18
	v_ldexp_f32 v12, v38, v39
	v_mul_f32_e32 v13, 0xbfd9db23, v29
	v_cndmask_b32_e32 v12, 0, v12, vcc
	v_cmp_nlt_f32_e32 vcc, s36, v18
	v_mul_f32_e32 v18, 0x3fb8aa3b, v13
	v_fma_f32 v22, v13, s34, -v18
	v_rndne_f32_e32 v23, v18
	v_fmac_f32_e32 v22, 0x32a5705f, v13
	v_sub_f32_e32 v18, v18, v23
	v_add_f32_e32 v18, v18, v22
	v_exp_f32_e32 v18, v18
	v_cvt_i32_f32_e32 v38, v23
	v_cndmask_b32_e32 v12, v52, v12, vcc
	v_cvt_f32_f16_e32 v22, v14
	v_cvt_f32_f16_sdwa v23, v14 dst_sel:DWORD dst_unused:UNUSED_PAD src0_sel:WORD_1
	v_ldexp_f32 v14, v18, v38
	v_cmp_ngt_f32_e32 vcc, s35, v13
	v_add_f32_e32 v12, 1.0, v12
	v_rcp_f32_e32 v12, v12
	v_cndmask_b32_e32 v14, 0, v14, vcc
	v_cmp_nlt_f32_e32 vcc, s36, v13
	s_waitcnt vmcnt(1)
	v_pk_add_f32 v[22:23], v[24:25], v[22:23]
	v_cndmask_b32_e32 v13, v52, v14, vcc
	v_add_f32_e32 v13, 1.0, v13
	v_rcp_f32_e32 v13, v13
	v_med3_f32 v39, v23, s37, v53
	v_med3_f32 v38, v22, s37, v53
	buffer_load_dwordx4 v[22:25], v50, s[8:11], 64 offen
	v_pk_mul_f32 v[12:13], v[28:29], v[12:13]
	v_cvt_f32_f16_e32 v28, v19
	v_cvt_f32_f16_sdwa v29, v19 dst_sel:DWORD dst_unused:UNUSED_PAD src0_sel:WORD_1
	v_pk_add_f32 v[18:19], v[38:39], 1.0 op_sel_hi:[1,0]
	s_nop 0
	v_pk_mul_f32 v[18:19], v[18:19], v[12:13]
	v_pk_add_f32 v[12:13], v[40:41], v[28:29]
	s_nop 0
	v_min_f32_e32 v12, 0x40e00000, v12
	v_mul_f32_e32 v28, 0xbfd9db23, v12
	v_mul_f32_e32 v14, 0x3fb8aa3b, v28
	v_fma_f32 v29, v28, s34, -v14
	v_rndne_f32_e32 v38, v14
	v_fmac_f32_e32 v29, 0x32a5705f, v28
	v_sub_f32_e32 v14, v14, v38
	v_add_f32_e32 v14, v14, v29
	v_exp_f32_e32 v29, v14
	v_cvt_i32_f32_e32 v38, v38
	v_cvt_f32_f16_e32 v14, v15
	v_cvt_f32_f16_sdwa v15, v15 dst_sel:DWORD dst_unused:UNUSED_PAD src0_sel:WORD_1
	v_min_f32_e32 v13, 0x40e00000, v13
	v_mul_f32_e32 v39, 0xbfd9db23, v13
	v_ldexp_f32 v29, v29, v38
	v_cmp_ngt_f32_e32 vcc, s35, v28
	v_pk_add_f32 v[14:15], v[26:27], v[14:15]
	v_mul_f32_e32 v26, 0x3fb8aa3b, v39
	v_cndmask_b32_e32 v38, 0, v29, vcc
	v_fma_f32 v27, v39, s34, -v26
	v_rndne_f32_e32 v29, v26
	v_fmac_f32_e32 v27, 0x32a5705f, v39
	v_sub_f32_e32 v26, v26, v29
	v_add_f32_e32 v26, v26, v27
	v_exp_f32_e32 v40, v26
	v_cvt_i32_f32_e32 v41, v29
	v_cmp_nlt_f32_e32 vcc, s36, v28
	buffer_load_dwordx4 v[26:29], v50, s[12:15], 64 offen
	v_med3_f32 v15, v15, s37, v53
	v_cndmask_b32_e32 v38, v52, v38, vcc
	v_ldexp_f32 v40, v40, v41
	v_cmp_ngt_f32_e32 vcc, s35, v39
	v_add_f32_e32 v38, 1.0, v38
	v_rcp_f32_e32 v38, v38
	v_cndmask_b32_e32 v40, 0, v40, vcc
	v_cmp_nlt_f32_e32 vcc, s36, v39
	v_cvt_f32_f16_sdwa v41, v20 dst_sel:DWORD dst_unused:UNUSED_PAD src0_sel:WORD_1
	v_med3_f32 v14, v14, s37, v53
	v_cndmask_b32_e32 v39, v52, v40, vcc
	v_add_f32_e32 v39, 1.0, v39
	v_rcp_f32_e32 v39, v39
	v_cvt_f32_f16_e32 v40, v20
	v_pk_add_f32 v[14:15], v[14:15], 1.0 op_sel_hi:[1,0]
	v_pk_mul_f32 v[12:13], v[12:13], v[38:39]
	s_nop 0
	v_pk_mul_f32 v[38:39], v[14:15], v[12:13]
	v_pk_add_f32 v[12:13], v[30:31], v[40:41]
	v_cvt_f16_f32_e32 v40, v45
	v_min_f32_e32 v12, 0x40e00000, v12
	v_mul_f32_e32 v14, 0xbfd9db23, v12
	v_mul_f32_e32 v15, 0x3fb8aa3b, v14
	v_min_f32_e32 v13, 0x40e00000, v13
	v_fma_f32 v20, v14, s34, -v15
	v_rndne_f32_e32 v30, v15
	v_fmac_f32_e32 v20, 0x32a5705f, v14
	v_sub_f32_e32 v15, v15, v30
	v_cvt_f16_f32_e32 v45, v46
	v_mul_f32_e32 v46, 0xbfd9db23, v13
	v_add_f32_e32 v15, v15, v20
	v_cvt_i32_f32_e32 v20, v30
	v_mul_f32_e32 v30, 0x3fb8aa3b, v46
	v_exp_f32_e32 v15, v15
	v_cvt_f16_f32_e32 v41, v44
	v_cvt_f16_f32_e32 v44, v47
	v_fma_f32 v31, v46, s34, -v30
	v_rndne_f32_e32 v47, v30
	v_fmac_f32_e32 v31, 0x32a5705f, v46
	v_sub_f32_e32 v30, v30, v47
	v_add_f32_e32 v30, v30, v31
	v_exp_f32_e32 v30, v30
	v_cvt_i32_f32_e32 v31, v47
	v_ldexp_f32 v15, v15, v20
	v_cvt_f32_f16_e32 v20, v21
	v_cvt_f32_f16_sdwa v21, v21 dst_sel:DWORD dst_unused:UNUSED_PAD src0_sel:WORD_1
	v_cmp_ngt_f32_e32 vcc, s35, v14
	v_cvt_f16_f32_e32 v47, v48
	v_pk_add_f32 v[20:21], v[32:33], v[20:21]
	v_cndmask_b32_e32 v15, 0, v15, vcc
	v_cmp_nlt_f32_e32 vcc, s36, v14
	v_min_f32_e32 v20, 0x40e00000, v20
	v_mul_f32_e32 v60, 0xbfd9db23, v20
	v_cndmask_b32_e32 v14, v52, v15, vcc
	v_ldexp_f32 v15, v30, v31
	v_cvt_f32_f16_e32 v30, v16
	v_cvt_f32_f16_sdwa v31, v16 dst_sel:DWORD dst_unused:UNUSED_PAD src0_sel:WORD_1
	v_mul_f32_e32 v16, 0x3fb8aa3b, v60
	v_min_f32_e32 v21, 0x40e00000, v21
	v_cmp_ngt_f32_e32 vcc, s35, v46
	s_waitcnt vmcnt(2)
	v_pk_add_f32 v[30:31], v[34:35], v[30:31]
	v_cvt_f16_f32_e32 v35, v18
	v_med3_f32 v57, v31, s37, v53
	v_med3_f32 v56, v30, s37, v53
	v_fma_f32 v30, v60, s34, -v16
	v_rndne_f32_e32 v31, v16
	v_fmac_f32_e32 v30, 0x32a5705f, v60
	v_sub_f32_e32 v16, v16, v31
	v_add_f32_e32 v16, v16, v30
	v_exp_f32_e32 v16, v16
	v_cvt_i32_f32_e32 v30, v31
	v_cvt_f16_f32_e32 v34, v19
	v_cndmask_b32_e32 v15, 0, v15, vcc
	v_cmp_nlt_f32_e32 vcc, s36, v46
	v_ldexp_f32 v18, v16, v30
	v_cvt_f32_f16_e32 v16, v17
	v_cvt_f32_f16_sdwa v17, v17 dst_sel:DWORD dst_unused:UNUSED_PAD src0_sel:WORD_1
	buffer_load_dwordx4 v[30:33], v50, s[8:11], s30 offen
	v_cndmask_b32_e32 v15, v52, v15, vcc
	v_cmp_ngt_f32_e32 vcc, s35, v60
	v_pk_add_f32 v[36:37], v[36:37], v[16:17]
	v_mul_f32_e32 v16, 0xbfd9db23, v21
	v_mul_f32_e32 v17, 0x3fb8aa3b, v16
	v_fma_f32 v19, v16, s34, -v17
	v_rndne_f32_e32 v48, v17
	v_fmac_f32_e32 v19, 0x32a5705f, v16
	v_sub_f32_e32 v17, v17, v48
	v_add_f32_e32 v17, v17, v19
	v_exp_f32_e32 v17, v17
	v_cvt_i32_f32_e32 v19, v48
	v_cndmask_b32_e32 v18, 0, v18, vcc
	v_cmp_nlt_f32_e32 vcc, s36, v60
	v_cvt_f16_f32_e32 v46, v49
	v_ldexp_f32 v17, v17, v19
	v_cndmask_b32_e32 v18, v52, v18, vcc
	v_cmp_ngt_f32_e32 vcc, s35, v16
	v_add_f32_e32 v18, 1.0, v18
	v_rcp_f32_e32 v48, v18
	v_cndmask_b32_e32 v17, 0, v17, vcc
	v_cmp_nlt_f32_e32 vcc, s36, v16
	v_add_f32_e32 v14, 1.0, v14
	v_add_f32_e32 v15, 1.0, v15
	v_cndmask_b32_e32 v16, v52, v17, vcc
	v_add_f32_e32 v16, 1.0, v16
	v_rcp_f32_e32 v49, v16
	buffer_load_dwordx4 v[16:19], v50, s[12:15], s30 offen
	v_rcp_f32_e32 v14, v14
	v_rcp_f32_e32 v15, v15
	v_pk_mul_f32 v[20:21], v[20:21], v[48:49]
	v_cvt_f32_f16_e32 v48, v4
	v_cvt_f32_f16_sdwa v49, v4 dst_sel:DWORD dst_unused:UNUSED_PAD src0_sel:WORD_1
	v_med3_f32 v37, v37, s37, v53
	v_med3_f32 v36, v36, s37, v53
	v_pk_add_f32 v[36:37], v[36:37], 1.0 op_sel_hi:[1,0]
	v_pk_mul_f32 v[58:59], v[12:13], v[14:15]
	buffer_load_dwordx4 v[12:15], v51, s[20:23], 48 offen
	v_pk_mul_f32 v[20:21], v[36:37], v[20:21]
	v_cvt_f32_f16_e32 v36, v8
	v_cvt_f32_f16_sdwa v37, v8 dst_sel:DWORD dst_unused:UNUSED_PAD src0_sel:WORD_1
	s_waitcnt vmcnt(4)
	v_pk_add_f32 v[22:23], v[22:23], v[48:49]
	v_pk_add_f32 v[56:57], v[56:57], 1.0 op_sel_hi:[1,0]
	v_min_f32_e32 v22, 0x40e00000, v22
	v_mul_f32_e32 v4, 0xbfd9db23, v22
	v_mul_f32_e32 v8, 0x3fb8aa3b, v4
	s_waitcnt vmcnt(3)
	v_pk_add_f32 v[26:27], v[26:27], v[36:37]
	v_fma_f32 v36, v4, s34, -v8
	v_rndne_f32_e32 v37, v8
	v_fmac_f32_e32 v36, 0x32a5705f, v4
	v_sub_f32_e32 v8, v8, v37
	v_add_f32_e32 v8, v8, v36
	v_exp_f32_e32 v8, v8
	v_cvt_i32_f32_e32 v36, v37
	v_min_f32_e32 v23, 0x40e00000, v23
	v_cmp_ngt_f32_e64 s[0:1], s35, v4
	v_med3_f32 v27, v27, s37, v53
	v_ldexp_f32 v8, v8, v36
	v_mul_f32_e32 v36, 0xbfd9db23, v23
	v_mul_f32_e32 v37, 0x3fb8aa3b, v36
	v_fma_f32 v48, v36, s34, -v37
	v_rndne_f32_e32 v49, v37
	v_fmac_f32_e32 v48, 0x32a5705f, v36
	v_sub_f32_e32 v37, v37, v49
	v_add_f32_e32 v37, v37, v48
	v_exp_f32_e32 v37, v37
	v_cvt_i32_f32_e32 v48, v49
	v_cmp_ngt_f32_e32 vcc, s35, v36
	v_cndmask_b32_e64 v8, 0, v8, s[0:1]
	v_cmp_nlt_f32_e64 s[0:1], s36, v4
	v_ldexp_f32 v37, v37, v48
	v_cndmask_b32_e32 v37, 0, v37, vcc
	v_cmp_nlt_f32_e32 vcc, s36, v36
	v_cndmask_b32_e64 v4, v52, v8, s[0:1]
	v_add_f32_e32 v4, 1.0, v4
	v_cndmask_b32_e32 v8, v52, v37, vcc
	v_add_f32_e32 v8, 1.0, v8
	v_rcp_f32_e32 v48, v4
	v_rcp_f32_e32 v49, v8
	v_med3_f32 v26, v26, s37, v53
	v_pk_mul_f32 v[56:57], v[56:57], v[58:59]
	v_cvt_f16_f32_e32 v36, v39
	v_pk_mul_f32 v[22:23], v[22:23], v[48:49]
	v_cvt_f32_f16_e32 v48, v5
	v_cvt_f32_f16_sdwa v49, v5 dst_sel:DWORD dst_unused:UNUSED_PAD src0_sel:WORD_1
	v_pk_add_f32 v[4:5], v[26:27], 1.0 op_sel_hi:[1,0]
	v_cvt_f16_f32_e32 v37, v38
	v_pk_mul_f32 v[4:5], v[4:5], v[22:23]
	v_pk_add_f32 v[22:23], v[24:25], v[48:49]
	v_cvt_f16_f32_e32 v48, v21
	v_min_f32_e32 v22, 0x40e00000, v22
	v_mul_f32_e32 v8, 0xbfd9db23, v22
	v_mul_f32_e32 v24, 0x3fb8aa3b, v8
	v_fma_f32 v25, v8, s34, -v24
	v_rndne_f32_e32 v26, v24
	v_fmac_f32_e32 v25, 0x32a5705f, v8
	v_sub_f32_e32 v24, v24, v26
	v_add_f32_e32 v24, v24, v25
	v_exp_f32_e32 v24, v24
	v_cvt_i32_f32_e32 v25, v26
	v_min_f32_e32 v23, 0x40e00000, v23
	v_cvt_f16_f32_e32 v49, v20
	v_cmp_ngt_f32_e32 vcc, s35, v8
	v_ldexp_f32 v20, v24, v25
	v_mul_f32_e32 v21, 0xbfd9db23, v23
	v_cndmask_b32_e32 v20, 0, v20, vcc
	v_cmp_nlt_f32_e32 vcc, s36, v8
	v_mul_f32_e32 v8, 0x3fb8aa3b, v21
	v_fma_f32 v24, v21, s34, -v8
	v_rndne_f32_e32 v25, v8
	v_fmac_f32_e32 v24, 0x32a5705f, v21
	v_sub_f32_e32 v8, v8, v25
	v_add_f32_e32 v24, v8, v24
	v_exp_f32_e32 v24, v24
	v_cvt_i32_f32_e32 v25, v25
	v_cndmask_b32_e32 v20, v52, v20, vcc
	v_cmp_ngt_f32_e32 vcc, s35, v21
	v_add_f32_e32 v20, 1.0, v20
	v_ldexp_f32 v24, v24, v25
	v_cndmask_b32_e32 v24, 0, v24, vcc
	v_cmp_nlt_f32_e32 vcc, s36, v21
	v_rcp_f32_e32 v20, v20
	v_cvt_f32_f16_sdwa v25, v6 dst_sel:DWORD dst_unused:UNUSED_PAD src0_sel:WORD_1
	v_cndmask_b32_e32 v21, v52, v24, vcc
	v_add_f32_e32 v21, 1.0, v21
	v_rcp_f32_e32 v21, v21
	v_cvt_f32_f16_e32 v24, v6
	v_cvt_f32_f16_e32 v8, v9
	v_cvt_f32_f16_sdwa v9, v9 dst_sel:DWORD dst_unused:UNUSED_PAD src0_sel:WORD_1
	v_pk_mul_f32 v[20:21], v[22:23], v[20:21]
	s_waitcnt vmcnt(2)
	v_pk_add_f32 v[22:23], v[30:31], v[24:25]
	v_cvt_f16_f32_e32 v38, v57
	v_min_f32_e32 v22, 0x40e00000, v22
	v_mul_f32_e32 v6, 0xbfd9db23, v22
	v_mul_f32_e32 v24, 0x3fb8aa3b, v6
	v_fma_f32 v25, v6, s34, -v24
	v_rndne_f32_e32 v26, v24
	v_fmac_f32_e32 v25, 0x32a5705f, v6
	v_sub_f32_e32 v24, v24, v26
	v_add_f32_e32 v24, v24, v25
	v_exp_f32_e32 v24, v24
	v_cvt_i32_f32_e32 v25, v26
	v_pk_add_f32 v[8:9], v[28:29], v[8:9]
	v_min_f32_e32 v23, 0x40e00000, v23
	v_med3_f32 v9, v9, s37, v53
	v_med3_f32 v8, v8, s37, v53
	v_pk_add_f32 v[8:9], v[8:9], 1.0 op_sel_hi:[1,0]
	v_cmp_ngt_f32_e32 vcc, s35, v6
	v_pk_mul_f32 v[8:9], v[8:9], v[20:21]
	v_ldexp_f32 v20, v24, v25
	v_cndmask_b32_e32 v20, 0, v20, vcc
	v_cmp_nlt_f32_e32 vcc, s36, v6
	v_mul_f32_e32 v21, 0xbfd9db23, v23
	v_cvt_f16_f32_e32 v39, v56
	v_cndmask_b32_e32 v6, v52, v20, vcc
	v_mul_f32_e32 v20, 0x3fb8aa3b, v21
	v_fma_f32 v24, v21, s34, -v20
	v_rndne_f32_e32 v25, v20
	v_fmac_f32_e32 v24, 0x32a5705f, v21
	v_sub_f32_e32 v20, v20, v25
	v_add_f32_e32 v20, v20, v24
	v_exp_f32_e32 v26, v20
	v_cvt_i32_f32_e32 v27, v25
	v_add_f32_e32 v6, 1.0, v6
	v_rcp_f32_e32 v20, v6
	v_cvt_f32_f16_e32 v24, v10
	v_cvt_f32_f16_sdwa v25, v10 dst_sel:DWORD dst_unused:UNUSED_PAD src0_sel:WORD_1
	v_ldexp_f32 v6, v26, v27
	v_cmp_ngt_f32_e32 vcc, s35, v21
	v_cvt_f16_f32_e32 v28, v9
	s_waitcnt vmcnt(1)
	v_pk_add_f32 v[16:17], v[16:17], v[24:25]
	v_cndmask_b32_e32 v6, 0, v6, vcc
	v_cmp_nlt_f32_e32 vcc, s36, v21
	buffer_load_dwordx4 v[24:27], v50, s[8:11], s31 offen
	v_med3_f32 v31, v17, s37, v53
	v_cndmask_b32_e32 v6, v52, v6, vcc
	v_add_f32_e32 v6, 1.0, v6
	v_rcp_f32_e32 v21, v6
	v_cvt_f32_f16_e32 v6, v7
	v_cvt_f32_f16_sdwa v7, v7 dst_sel:DWORD dst_unused:UNUSED_PAD src0_sel:WORD_1
	v_med3_f32 v30, v16, s37, v53
	v_pk_mul_f32 v[56:57], v[22:23], v[20:21]
	buffer_load_dwordx4 v[20:23], v50, s[12:15], s31 offen
	v_pk_add_f32 v[6:7], v[32:33], v[6:7]
	v_cvt_f16_f32_e32 v16, v5
	v_min_f32_e32 v32, 0x40e00000, v6
	v_mul_f32_e32 v6, 0xbfd9db23, v32
	v_min_f32_e32 v33, 0x40e00000, v7
	v_mul_f32_e32 v7, 0x3fb8aa3b, v6
	v_fma_f32 v10, v6, s34, -v7
	v_rndne_f32_e32 v17, v7
	v_fmac_f32_e32 v10, 0x32a5705f, v6
	v_sub_f32_e32 v7, v7, v17
	v_add_f32_e32 v7, v7, v10
	v_exp_f32_e32 v5, v7
	v_cvt_i32_f32_e32 v7, v17
	v_cvt_f16_f32_e32 v17, v4
	v_cvt_f16_f32_e32 v29, v8
	v_cvt_f32_f16_e32 v4, v11
	v_ldexp_f32 v7, v5, v7
	v_cvt_f32_f16_sdwa v5, v11 dst_sel:DWORD dst_unused:UNUSED_PAD src0_sel:WORD_1
	buffer_load_dwordx4 v[8:11], v50, s[8:11], s33 offen
	v_cmp_ngt_f32_e32 vcc, s35, v6
	v_pk_add_f32 v[30:31], v[30:31], 1.0 op_sel_hi:[1,0]
	v_pk_add_f32 v[18:19], v[18:19], v[4:5]
	v_mul_f32_e32 v4, 0xbfd9db23, v33
	v_mul_f32_e32 v5, 0x3fb8aa3b, v4
	v_fma_f32 v58, v4, s34, -v5
	v_rndne_f32_e32 v59, v5
	v_fmac_f32_e32 v58, 0x32a5705f, v4
	v_sub_f32_e32 v5, v5, v59
	v_add_f32_e32 v5, v5, v58
	v_exp_f32_e32 v5, v5
	v_cvt_i32_f32_e32 v59, v59
	v_cndmask_b32_e32 v7, 0, v7, vcc
	v_cmp_nlt_f32_e32 vcc, s36, v6
	v_pk_mul_f32 v[30:31], v[30:31], v[56:57]
	v_ldexp_f32 v5, v5, v59
	v_cndmask_b32_e32 v6, v52, v7, vcc
	v_cmp_ngt_f32_e32 vcc, s35, v4
	v_add_f32_e32 v6, 1.0, v6
	v_rcp_f32_e32 v58, v6
	v_cndmask_b32_e32 v5, 0, v5, vcc
	v_cmp_nlt_f32_e32 vcc, s36, v4
	v_cvt_f32_f16_e32 v56, v0
	v_cvt_f32_f16_sdwa v57, v0 dst_sel:DWORD dst_unused:UNUSED_PAD src0_sel:WORD_1
	v_cndmask_b32_e32 v4, v52, v5, vcc
	v_add_f32_e32 v4, 1.0, v4
	v_rcp_f32_e32 v59, v4
	buffer_load_dwordx4 v[4:7], v50, s[12:15], s33 offen
	v_med3_f32 v19, v19, s37, v53
	v_med3_f32 v18, v18, s37, v53
	v_pk_mul_f32 v[32:33], v[32:33], v[58:59]
	v_pk_add_f32 v[18:19], v[18:19], 1.0 op_sel_hi:[1,0]
	v_cvt_f16_f32_e32 v31, v31
	v_pk_mul_f32 v[18:19], v[18:19], v[32:33]
	s_waitcnt vmcnt(4)
	v_cvt_f32_f16_e32 v32, v12
	v_cvt_f32_f16_sdwa v33, v12 dst_sel:DWORD dst_unused:UNUSED_PAD src0_sel:WORD_1
	v_cvt_f16_f32_e32 v30, v30
	v_add_u32_e32 v50, s28, v50
	s_waitcnt vmcnt(3)
	v_pk_add_f32 v[24:25], v[24:25], v[56:57]
	s_nop 0
	v_min_f32_e32 v24, 0x40e00000, v24
	v_mul_f32_e32 v0, 0xbfd9db23, v24
	v_mul_f32_e32 v12, 0x3fb8aa3b, v0
	v_min_f32_e32 v25, 0x40e00000, v25
	v_cmp_ngt_f32_e64 s[0:1], s35, v0
	s_waitcnt vmcnt(2)
	v_pk_add_f32 v[20:21], v[20:21], v[32:33]
	v_fma_f32 v32, v0, s34, -v12
	v_rndne_f32_e32 v33, v12
	v_fmac_f32_e32 v32, 0x32a5705f, v0
	v_sub_f32_e32 v12, v12, v33
	v_add_f32_e32 v12, v12, v32
	v_exp_f32_e32 v12, v12
	v_cvt_i32_f32_e32 v32, v33
	v_med3_f32 v21, v21, s37, v53
	v_med3_f32 v20, v20, s37, v53
	v_pk_add_f32 v[20:21], v[20:21], 1.0 op_sel_hi:[1,0]
	v_ldexp_f32 v12, v12, v32
	v_mul_f32_e32 v32, 0xbfd9db23, v25
	v_mul_f32_e32 v33, 0x3fb8aa3b, v32
	v_fma_f32 v56, v32, s34, -v33
	v_rndne_f32_e32 v57, v33
	v_fmac_f32_e32 v56, 0x32a5705f, v32
	v_sub_f32_e32 v33, v33, v57
	v_add_f32_e32 v33, v33, v56
	v_exp_f32_e32 v33, v33
	v_cvt_i32_f32_e32 v56, v57
	v_cndmask_b32_e64 v12, 0, v12, s[0:1]
	v_cmp_nlt_f32_e64 s[0:1], s36, v0
	v_cmp_ngt_f32_e32 vcc, s35, v32
	v_ldexp_f32 v33, v33, v56
	v_cndmask_b32_e64 v0, v52, v12, s[0:1]
	v_cndmask_b32_e32 v33, 0, v33, vcc
	v_cmp_nlt_f32_e32 vcc, s36, v32
	v_add_f32_e32 v0, 1.0, v0
	v_rcp_f32_e32 v32, v0
	v_cndmask_b32_e32 v12, v52, v33, vcc
	v_cvt_f32_f16_e32 v0, v1
	v_cvt_f32_f16_sdwa v1, v1 dst_sel:DWORD dst_unused:UNUSED_PAD src0_sel:WORD_1
	v_add_f32_e32 v12, 1.0, v12
	v_rcp_f32_e32 v33, v12
	v_cvt_f16_f32_e32 v56, v19
	v_pk_add_f32 v[0:1], v[26:27], v[0:1]
	v_cvt_f16_f32_e32 v57, v18
	v_min_f32_e32 v0, 0x40e00000, v0
	v_pk_mul_f32 v[18:19], v[24:25], v[32:33]
	v_mul_f32_e32 v12, 0xbfd9db23, v0
	v_pk_mul_f32 v[18:19], v[20:21], v[18:19]
	v_mul_f32_e32 v20, 0x3fb8aa3b, v12
	v_fma_f32 v21, v12, s34, -v20
	v_rndne_f32_e32 v24, v20
	v_fmac_f32_e32 v21, 0x32a5705f, v12
	v_sub_f32_e32 v20, v20, v24
	v_add_f32_e32 v20, v20, v21
	v_exp_f32_e32 v20, v20
	v_cvt_i32_f32_e32 v21, v24
	v_min_f32_e32 v1, 0x40e00000, v1
	v_cvt_f16_f32_e32 v24, v19
	v_cvt_f16_f32_e32 v25, v18
	v_ldexp_f32 v18, v20, v21
	v_cmp_ngt_f32_e32 vcc, s35, v12
	v_mul_f32_e32 v19, 0xbfd9db23, v1
	s_nop 0
	v_cndmask_b32_e32 v18, 0, v18, vcc
	v_cmp_nlt_f32_e32 vcc, s36, v12
	v_mul_f32_e32 v12, 0x3fb8aa3b, v19
	v_fma_f32 v20, v19, s34, -v12
	v_rndne_f32_e32 v21, v12
	v_fmac_f32_e32 v20, 0x32a5705f, v19
	v_sub_f32_e32 v12, v12, v21
	v_add_f32_e32 v20, v12, v20
	v_exp_f32_e32 v20, v20
	v_cvt_i32_f32_e32 v21, v21
	v_cndmask_b32_e32 v18, v52, v18, vcc
	v_cmp_ngt_f32_e32 vcc, s35, v19
	v_cvt_f32_f16_e32 v12, v13
	v_ldexp_f32 v20, v20, v21
	v_cndmask_b32_e32 v20, 0, v20, vcc
	v_cmp_nlt_f32_e32 vcc, s36, v19
	v_cvt_f32_f16_sdwa v13, v13 dst_sel:DWORD dst_unused:UNUSED_PAD src0_sel:WORD_1
	v_cvt_f32_f16_sdwa v21, v2 dst_sel:DWORD dst_unused:UNUSED_PAD src0_sel:WORD_1
	v_cndmask_b32_e32 v19, v52, v20, vcc
	v_cvt_f32_f16_e32 v20, v2
	v_add_f32_e32 v18, 1.0, v18
	v_add_f32_e32 v19, 1.0, v19
	v_rcp_f32_e32 v18, v18
	v_rcp_f32_e32 v19, v19
	v_pk_add_f32 v[12:13], v[22:23], v[12:13]
	s_waitcnt vmcnt(1)
	v_pk_add_f32 v[8:9], v[8:9], v[20:21]
	v_med3_f32 v13, v13, s37, v53
	v_med3_f32 v12, v12, s37, v53
	v_min_f32_e32 v8, 0x40e00000, v8
	v_pk_mul_f32 v[0:1], v[0:1], v[18:19]
	v_pk_add_f32 v[12:13], v[12:13], 1.0 op_sel_hi:[1,0]
	v_mul_f32_e32 v2, 0xbfd9db23, v8
	v_pk_mul_f32 v[0:1], v[12:13], v[0:1]
	v_mul_f32_e32 v12, 0x3fb8aa3b, v2
	v_fma_f32 v13, v2, s34, -v12
	v_rndne_f32_e32 v18, v12
	v_fmac_f32_e32 v13, 0x32a5705f, v2
	v_sub_f32_e32 v12, v12, v18
	v_add_f32_e32 v12, v12, v13
	v_exp_f32_e32 v12, v12
	v_cvt_i32_f32_e32 v13, v18
	v_min_f32_e32 v9, 0x40e00000, v9
	v_cvt_f16_f32_e32 v19, v0
	v_cmp_ngt_f32_e32 vcc, s35, v2
	v_ldexp_f32 v0, v12, v13
	v_mul_f32_e32 v13, 0xbfd9db23, v9
	v_cndmask_b32_e32 v0, 0, v0, vcc
	v_cmp_nlt_f32_e32 vcc, s36, v2
	v_mul_f32_e32 v12, 0x3fb8aa3b, v13
	v_cvt_f16_f32_e32 v18, v1
	v_cndmask_b32_e32 v2, v52, v0, vcc
	v_cvt_f32_f16_e32 v0, v14
	v_cvt_f32_f16_sdwa v1, v14 dst_sel:DWORD dst_unused:UNUSED_PAD src0_sel:WORD_1
	v_fma_f32 v14, v13, s34, -v12
	v_rndne_f32_e32 v20, v12
	v_fmac_f32_e32 v14, 0x32a5705f, v13
	v_sub_f32_e32 v12, v12, v20
	v_add_f32_e32 v12, v12, v14
	v_exp_f32_e32 v14, v12
	v_cvt_i32_f32_e32 v20, v20
	v_add_f32_e32 v2, 1.0, v2
	v_rcp_f32_e32 v12, v2
	v_cmp_ngt_f32_e32 vcc, s35, v13
	v_ldexp_f32 v2, v14, v20
	s_waitcnt vmcnt(0)
	v_pk_add_f32 v[0:1], v[4:5], v[0:1]
	v_cndmask_b32_e32 v2, 0, v2, vcc
	v_cmp_nlt_f32_e32 vcc, s36, v13
	v_med3_f32 v1, v1, s37, v53
	v_med3_f32 v0, v0, s37, v53
	v_cndmask_b32_e32 v2, v52, v2, vcc
	v_add_f32_e32 v2, 1.0, v2
	v_rcp_f32_e32 v13, v2
	v_cvt_f32_f16_e32 v2, v3
	v_cvt_f32_f16_sdwa v3, v3 dst_sel:DWORD dst_unused:UNUSED_PAD src0_sel:WORD_1
	v_pk_add_f32 v[0:1], v[0:1], 1.0 op_sel_hi:[1,0]
	v_pk_mul_f32 v[4:5], v[8:9], v[12:13]
	v_pk_add_f32 v[2:3], v[10:11], v[2:3]
	s_nop 0
	v_min_f32_e32 v2, 0x40e00000, v2
	v_pk_mul_f32 v[0:1], v[0:1], v[4:5]
	v_mul_f32_e32 v4, 0xbfd9db23, v2
	v_mul_f32_e32 v5, 0x3fb8aa3b, v4
	v_fma_f32 v8, v4, s34, -v5
	v_rndne_f32_e32 v9, v5
	v_fmac_f32_e32 v8, 0x32a5705f, v4
	v_sub_f32_e32 v5, v5, v9
	v_add_f32_e32 v5, v5, v8
	v_exp_f32_e32 v5, v5
	v_cvt_i32_f32_e32 v8, v9
	v_min_f32_e32 v3, 0x40e00000, v3
	v_cvt_f16_f32_e32 v9, v1
	v_cvt_f16_f32_e32 v10, v0
	v_ldexp_f32 v0, v5, v8
	v_cmp_ngt_f32_e32 vcc, s35, v4
	v_mul_f32_e32 v1, 0xbfd9db23, v3
	s_nop 0
	v_cndmask_b32_e32 v0, 0, v0, vcc
	v_cmp_nlt_f32_e32 vcc, s36, v4
	v_mul_f32_e32 v4, 0x3fb8aa3b, v1
	v_fma_f32 v5, v1, s34, -v4
	v_rndne_f32_e32 v8, v4
	v_fmac_f32_e32 v5, 0x32a5705f, v1
	v_sub_f32_e32 v4, v4, v8
	v_add_f32_e32 v4, v4, v5
	v_exp_f32_e32 v11, v4
	v_cvt_i32_f32_e32 v8, v8
	v_cndmask_b32_e32 v0, v52, v0, vcc
	v_cmp_ngt_f32_e32 vcc, s35, v1
	v_cvt_f32_f16_e32 v4, v15
	v_ldexp_f32 v8, v11, v8
	v_cndmask_b32_e32 v8, 0, v8, vcc
	v_cmp_nlt_f32_e32 vcc, s36, v1
	v_cvt_f32_f16_sdwa v5, v15 dst_sel:DWORD dst_unused:UNUSED_PAD src0_sel:WORD_1
	v_add_f32_e32 v0, 1.0, v0
	v_cndmask_b32_e32 v1, v52, v8, vcc
	v_add_f32_e32 v1, 1.0, v1
	v_rcp_f32_e32 v0, v0
	v_rcp_f32_e32 v1, v1
	v_pk_add_f32 v[4:5], v[6:7], v[4:5]
	v_cmp_le_i64_e32 vcc, s[24:25], v[42:43]
	v_med3_f32 v5, v5, s37, v53
	v_med3_f32 v4, v4, s37, v53
	v_pk_mul_f32 v[0:1], v[2:3], v[0:1]
	v_pk_add_f32 v[2:3], v[4:5], 1.0 op_sel_hi:[1,0]
	s_or_b64 s[26:27], vcc, s[26:27]
	v_pk_mul_f32 v[0:1], v[2:3], v[0:1]
	v_pack_b32_f16 v3, v47, v46
	v_cvt_f16_f32_e32 v4, v1
	v_cvt_f16_f32_e32 v5, v0
	v_pack_b32_f16 v1, v41, v40
	v_pack_b32_f16 v2, v45, v44
	v_pack_b32_f16 v0, v55, v54
	buffer_store_dwordx4 v[0:3], v51, s[4:7], 0 offen
	s_nop 1
	v_pack_b32_f16 v3, v49, v48
	v_pack_b32_f16 v1, v37, v36
	v_pack_b32_f16 v2, v39, v38
	v_pack_b32_f16 v0, v35, v34
	buffer_store_dwordx4 v[0:3], v51, s[4:7], 16 offen
	s_nop 1
	v_pack_b32_f16 v3, v57, v56
	;; [unrolled: 6-line block ×3, first 2 shown]
	v_pack_b32_f16 v1, v19, v18
	v_pack_b32_f16 v2, v10, v9
	;; [unrolled: 1-line block ×3, first 2 shown]
	buffer_store_dwordx4 v[0:3], v51, s[4:7], 48 offen
	v_add_u32_e32 v51, s29, v51
	s_andn2_b64 exec, exec, s[26:27]
	s_cbranch_execnz .LBB340_8
.LBB340_9:
	s_endpgm
	.section	.rodata,"a",@progbits
	.p2align	6, 0x0
	.amdhsa_kernel _ZN5aiter30swiglu_act_and_mul_bias_kernelIDF16_DF16_lfLi32EEEvPT0_PKT_PKT1_PKT2_il
		.amdhsa_group_segment_fixed_size 0
		.amdhsa_private_segment_fixed_size 0
		.amdhsa_kernarg_size 304
		.amdhsa_user_sgpr_count 2
		.amdhsa_user_sgpr_dispatch_ptr 0
		.amdhsa_user_sgpr_queue_ptr 0
		.amdhsa_user_sgpr_kernarg_segment_ptr 1
		.amdhsa_user_sgpr_dispatch_id 0
		.amdhsa_user_sgpr_kernarg_preload_length 0
		.amdhsa_user_sgpr_kernarg_preload_offset 0
		.amdhsa_user_sgpr_private_segment_size 0
		.amdhsa_uses_dynamic_stack 0
		.amdhsa_enable_private_segment 0
		.amdhsa_system_sgpr_workgroup_id_x 1
		.amdhsa_system_sgpr_workgroup_id_y 0
		.amdhsa_system_sgpr_workgroup_id_z 0
		.amdhsa_system_sgpr_workgroup_info 0
		.amdhsa_system_vgpr_workitem_id 0
		.amdhsa_next_free_vgpr 61
		.amdhsa_next_free_sgpr 38
		.amdhsa_accum_offset 64
		.amdhsa_reserve_vcc 1
		.amdhsa_float_round_mode_32 0
		.amdhsa_float_round_mode_16_64 0
		.amdhsa_float_denorm_mode_32 3
		.amdhsa_float_denorm_mode_16_64 3
		.amdhsa_dx10_clamp 1
		.amdhsa_ieee_mode 1
		.amdhsa_fp16_overflow 0
		.amdhsa_tg_split 0
		.amdhsa_exception_fp_ieee_invalid_op 0
		.amdhsa_exception_fp_denorm_src 0
		.amdhsa_exception_fp_ieee_div_zero 0
		.amdhsa_exception_fp_ieee_overflow 0
		.amdhsa_exception_fp_ieee_underflow 0
		.amdhsa_exception_fp_ieee_inexact 0
		.amdhsa_exception_int_div_zero 0
	.end_amdhsa_kernel
	.section	.text._ZN5aiter30swiglu_act_and_mul_bias_kernelIDF16_DF16_lfLi32EEEvPT0_PKT_PKT1_PKT2_il,"axG",@progbits,_ZN5aiter30swiglu_act_and_mul_bias_kernelIDF16_DF16_lfLi32EEEvPT0_PKT_PKT1_PKT2_il,comdat
.Lfunc_end340:
	.size	_ZN5aiter30swiglu_act_and_mul_bias_kernelIDF16_DF16_lfLi32EEEvPT0_PKT_PKT1_PKT2_il, .Lfunc_end340-_ZN5aiter30swiglu_act_and_mul_bias_kernelIDF16_DF16_lfLi32EEEvPT0_PKT_PKT1_PKT2_il
                                        ; -- End function
	.section	.AMDGPU.csdata,"",@progbits
; Kernel info:
; codeLenInByte = 5520
; NumSgprs: 44
; NumVgprs: 61
; NumAgprs: 0
; TotalNumVgprs: 61
; ScratchSize: 0
; MemoryBound: 0
; FloatMode: 240
; IeeeMode: 1
; LDSByteSize: 0 bytes/workgroup (compile time only)
; SGPRBlocks: 5
; VGPRBlocks: 7
; NumSGPRsForWavesPerEU: 44
; NumVGPRsForWavesPerEU: 61
; AccumOffset: 64
; Occupancy: 8
; WaveLimiterHint : 0
; COMPUTE_PGM_RSRC2:SCRATCH_EN: 0
; COMPUTE_PGM_RSRC2:USER_SGPR: 2
; COMPUTE_PGM_RSRC2:TRAP_HANDLER: 0
; COMPUTE_PGM_RSRC2:TGID_X_EN: 1
; COMPUTE_PGM_RSRC2:TGID_Y_EN: 0
; COMPUTE_PGM_RSRC2:TGID_Z_EN: 0
; COMPUTE_PGM_RSRC2:TIDIG_COMP_CNT: 0
; COMPUTE_PGM_RSRC3_GFX90A:ACCUM_OFFSET: 15
; COMPUTE_PGM_RSRC3_GFX90A:TG_SPLIT: 0
	.section	.text._ZN5aiter30swiglu_act_and_mul_bias_kernelIDF16_DF16_lfLi16EEEvPT0_PKT_PKT1_PKT2_il,"axG",@progbits,_ZN5aiter30swiglu_act_and_mul_bias_kernelIDF16_DF16_lfLi16EEEvPT0_PKT_PKT1_PKT2_il,comdat
	.protected	_ZN5aiter30swiglu_act_and_mul_bias_kernelIDF16_DF16_lfLi16EEEvPT0_PKT_PKT1_PKT2_il ; -- Begin function _ZN5aiter30swiglu_act_and_mul_bias_kernelIDF16_DF16_lfLi16EEEvPT0_PKT_PKT1_PKT2_il
	.globl	_ZN5aiter30swiglu_act_and_mul_bias_kernelIDF16_DF16_lfLi16EEEvPT0_PKT_PKT1_PKT2_il
	.p2align	8
	.type	_ZN5aiter30swiglu_act_and_mul_bias_kernelIDF16_DF16_lfLi16EEEvPT0_PKT_PKT1_PKT2_il,@function
_ZN5aiter30swiglu_act_and_mul_bias_kernelIDF16_DF16_lfLi16EEEvPT0_PKT_PKT1_PKT2_il: ; @_ZN5aiter30swiglu_act_and_mul_bias_kernelIDF16_DF16_lfLi16EEEvPT0_PKT_PKT1_PKT2_il
; %bb.0:
	s_load_dword s24, s[0:1], 0x20
	s_load_dwordx2 s[4:5], s[0:1], 0x0
	s_load_dwordx2 s[6:7], s[0:1], 0x10
	;; [unrolled: 1-line block ×3, first 2 shown]
	s_mov_b32 s3, 0
	s_waitcnt lgkmcnt(0)
	s_ashr_i32 s25, s24, 31
	s_lshl_b64 s[8:9], s[2:3], 3
	s_add_u32 s6, s6, s8
	s_addc_u32 s7, s7, s9
	s_add_i32 s3, s24, 1
	s_load_dwordx2 s[8:9], s[6:7], 0x0
	s_lshr_b32 s6, s3, 31
	s_add_i32 s3, s3, s6
	s_lshl_b32 s3, s3, 1
	s_and_b32 s6, s3, -4
	s_mul_hi_u32 s3, s24, s2
	s_mul_i32 s7, s25, s2
	s_add_i32 s11, s3, s7
	s_mul_i32 s10, s24, s2
	s_lshl_b64 s[10:11], s[10:11], 1
	v_mov_b64_e32 v[2:3], s[12:13]
	s_add_u32 s4, s4, s10
	s_waitcnt lgkmcnt(0)
	v_cmp_gt_i64_e64 s[14:15], s[8:9], -1
	v_cmp_lt_i64_e32 vcc, s[8:9], v[2:3]
	s_addc_u32 s3, s5, s11
	s_and_b64 s[12:13], s[14:15], vcc
	s_and_b32 s5, s3, 0xffff
	s_mov_b64 s[10:11], -1
	s_and_b64 vcc, exec, s[12:13]
	v_lshlrev_b32_e32 v40, 4, v0
	s_cbranch_vccnz .LBB341_5
; %bb.1:
	v_cmp_gt_i32_e32 vcc, s24, v40
	s_and_saveexec_b64 s[10:11], vcc
	s_cbranch_execz .LBB341_4
; %bb.2:
	s_load_dword s3, s[0:1], 0x3c
	s_mov_b32 s13, 0
	s_mov_b32 s16, s13
	;; [unrolled: 1-line block ×3, first 2 shown]
	v_mov_b32_e32 v41, 0
	s_waitcnt lgkmcnt(0)
	s_and_b32 s3, s3, 0xffff
	s_mov_b32 s18, s13
	s_mov_b32 s19, s13
	v_mov_b64_e32 v[2:3], s[16:17]
	v_lshlrev_b32_e32 v1, 5, v0
	s_lshl_b32 s12, s3, 4
	s_lshl_b32 s3, s3, 5
	s_mov_b64 s[14:15], 0
	s_mov_b32 s7, 0x20000
	v_mov_b64_e32 v[4:5], s[18:19]
	v_mov_b64_e32 v[6:7], v[40:41]
.LBB341_3:                              ; =>This Inner Loop Header: Depth=1
	v_lshl_add_u64 v[6:7], s[12:13], 0, v[6:7]
	v_cmp_le_i64_e32 vcc, s[24:25], v[6:7]
	buffer_store_dwordx4 v[2:5], v1, s[4:7], 0 offen
	buffer_store_dwordx4 v[2:5], v1, s[4:7], 16 offen
	s_or_b64 s[14:15], vcc, s[14:15]
	v_add_u32_e32 v1, s3, v1
	s_andn2_b64 exec, exec, s[14:15]
	s_cbranch_execnz .LBB341_3
.LBB341_4:
	s_or_b64 exec, exec, s[10:11]
	s_mov_b64 s[10:11], 0
.LBB341_5:
	s_andn2_b64 vcc, exec, s[10:11]
	s_cbranch_vccnz .LBB341_9
; %bb.6:
	v_cmp_gt_i32_e32 vcc, s24, v40
	s_and_saveexec_b64 s[10:11], vcc
	s_cbranch_execz .LBB341_9
; %bb.7:
	s_load_dwordx2 s[14:15], s[0:1], 0x8
	s_load_dwordx2 s[10:11], s[0:1], 0x18
	s_mul_i32 s3, s24, s9
	s_mul_hi_u32 s7, s24, s8
	s_add_i32 s3, s7, s3
	s_mul_i32 s7, s25, s8
	s_add_i32 s9, s3, s7
	s_mul_i32 s8, s24, s8
	s_lshl_b64 s[8:9], s[8:9], 3
	s_waitcnt lgkmcnt(0)
	s_add_u32 s8, s10, s8
	s_load_dword s3, s[0:1], 0x3c
	s_addc_u32 s7, s11, s9
	s_lshl_b64 s[0:1], s[24:25], 2
	s_add_u32 s12, s8, s0
	s_addc_u32 s0, s7, s1
	s_and_b32 s13, s0, 0xffff
	s_mul_i32 s0, s2, s25
	s_mul_hi_u32 s1, s2, s24
	s_add_i32 s1, s1, s0
	s_mul_i32 s0, s2, s24
	s_lshl_b32 s10, s24, 2
	s_and_b32 s9, s7, 0xffff
	s_lshl_b64 s[0:1], s[0:1], 2
	s_add_u32 s16, s14, s0
	s_addc_u32 s2, s15, s1
	s_lshl_b64 s[0:1], s[24:25], 1
	s_add_u32 s20, s16, s0
	s_addc_u32 s0, s2, s1
	s_mov_b32 s7, 0x20000
	s_and_b32 s21, s0, 0xffff
	s_waitcnt lgkmcnt(0)
	s_and_b32 s0, s3, 0xffff
	s_mov_b32 s11, s7
	s_and_b32 s17, s2, 0xffff
	s_mov_b32 s27, 0
	v_mov_b32_e32 v41, 0
	s_lshl_b32 s26, s0, 4
	v_lshlrev_b32_e32 v42, 6, v0
	s_lshl_b32 s30, s0, 6
	v_lshlrev_b32_e32 v43, 5, v0
	s_lshl_b32 s31, s0, 5
	s_mov_b64 s[28:29], 0
	s_mov_b32 s33, 0x3fb8aa3b
	s_mov_b32 s34, 0xc2ce8ed0
	;; [unrolled: 1-line block ×3, first 2 shown]
	v_mov_b32_e32 v44, 0x7f800000
	s_mov_b32 s36, 0xc0e00000
	v_mov_b32_e32 v45, 0x40e00000
	s_mov_b32 s18, s6
	s_mov_b32 s19, s7
	;; [unrolled: 1-line block ×4, first 2 shown]
.LBB341_8:                              ; =>This Inner Loop Header: Depth=1
	buffer_load_dwordx4 v[28:31], v43, s[16:19], 0 offen
	buffer_load_dwordx4 v[20:23], v43, s[20:23], 0 offen
	;; [unrolled: 1-line block ×3, first 2 shown]
	s_mov_b32 s14, s10
	s_mov_b32 s15, s11
	buffer_load_dwordx4 v[32:35], v42, s[12:15], 0 offen
	buffer_load_dwordx4 v[8:11], v43, s[16:19], 16 offen
	;; [unrolled: 1-line block ×7, first 2 shown]
	v_lshl_add_u64 v[40:41], s[26:27], 0, v[40:41]
	s_waitcnt vmcnt(9)
	v_cvt_f32_f16_e32 v46, v28
	v_cvt_f32_f16_sdwa v47, v28 dst_sel:DWORD dst_unused:UNUSED_PAD src0_sel:WORD_1
	v_cvt_f32_f16_e32 v28, v29
	v_cvt_f32_f16_sdwa v29, v29 dst_sel:DWORD dst_unused:UNUSED_PAD src0_sel:WORD_1
	s_waitcnt vmcnt(8)
	v_cvt_f32_f16_e32 v48, v20
	v_cvt_f32_f16_sdwa v49, v20 dst_sel:DWORD dst_unused:UNUSED_PAD src0_sel:WORD_1
	v_cvt_f32_f16_e32 v20, v21
	v_cvt_f32_f16_sdwa v21, v21 dst_sel:DWORD dst_unused:UNUSED_PAD src0_sel:WORD_1
	s_waitcnt vmcnt(7)
	v_pk_add_f32 v[12:13], v[12:13], v[46:47]
	v_pk_add_f32 v[14:15], v[14:15], v[28:29]
	v_min_f32_e32 v29, 0x40e00000, v13
	v_min_f32_e32 v28, 0x40e00000, v12
	s_waitcnt vmcnt(6)
	v_pk_add_f32 v[32:33], v[32:33], v[48:49]
	v_pk_add_f32 v[20:21], v[34:35], v[20:21]
	v_min_f32_e32 v48, 0x40e00000, v14
	v_mul_f32_e32 v12, 0xbfd9db23, v28
	v_mul_f32_e32 v13, 0xbfd9db23, v29
	v_min_f32_e32 v49, 0x40e00000, v15
	v_med3_f32 v50, v20, s36, v45
	v_mul_f32_e32 v20, 0xbfd9db23, v48
	v_mul_f32_e32 v14, 0x3fb8aa3b, v12
	;; [unrolled: 1-line block ×3, first 2 shown]
	v_med3_f32 v46, v32, s36, v45
	v_med3_f32 v51, v21, s36, v45
	v_mul_f32_e32 v21, 0xbfd9db23, v49
	v_mul_f32_e32 v32, 0x3fb8aa3b, v20
	v_fma_f32 v34, v12, s33, -v14
	v_rndne_f32_e32 v35, v14
	v_fma_f32 v52, v13, s33, -v15
	v_rndne_f32_e32 v53, v15
	v_med3_f32 v47, v33, s36, v45
	v_mul_f32_e32 v33, 0x3fb8aa3b, v21
	v_fma_f32 v54, v20, s33, -v32
	v_rndne_f32_e32 v55, v32
	v_fmac_f32_e32 v34, 0x32a5705f, v12
	v_sub_f32_e32 v14, v14, v35
	v_fmac_f32_e32 v52, 0x32a5705f, v13
	v_sub_f32_e32 v15, v15, v53
	v_add_f32_e32 v14, v14, v34
	v_fma_f32 v34, v21, s33, -v33
	v_add_f32_e32 v15, v15, v52
	v_rndne_f32_e32 v52, v33
	v_fmac_f32_e32 v54, 0x32a5705f, v20
	v_sub_f32_e32 v32, v32, v55
	v_cvt_i32_f32_e32 v35, v35
	v_fmac_f32_e32 v34, 0x32a5705f, v21
	v_sub_f32_e32 v33, v33, v52
	v_add_f32_e32 v32, v32, v54
	v_exp_f32_e32 v14, v14
	v_cvt_i32_f32_e32 v53, v53
	v_cvt_i32_f32_e32 v55, v55
	v_add_f32_e32 v33, v33, v34
	v_exp_f32_e32 v15, v15
	v_exp_f32_e32 v32, v32
	v_cvt_i32_f32_e32 v52, v52
	v_exp_f32_e32 v33, v33
	v_ldexp_f32 v14, v14, v35
	v_cmp_ngt_f32_e32 vcc, s34, v12
	v_ldexp_f32 v15, v15, v53
	v_ldexp_f32 v53, v32, v55
	v_cndmask_b32_e32 v54, 0, v14, vcc
	v_cmp_nlt_f32_e32 vcc, s35, v12
	v_cmp_ngt_f32_e64 s[2:3], s34, v20
	v_ldexp_f32 v52, v33, v52
	v_cmp_ngt_f32_e64 s[0:1], s34, v13
	v_cndmask_b32_e64 v53, 0, v53, s[2:3]
	v_cmp_ngt_f32_e64 s[2:3], s34, v21
	v_cndmask_b32_e32 v54, v44, v54, vcc
	v_cmp_nlt_f32_e32 vcc, s35, v20
	v_cndmask_b32_e64 v55, 0, v15, s[0:1]
	v_cmp_nlt_f32_e64 s[0:1], s35, v13
	v_cndmask_b32_e64 v52, 0, v52, s[2:3]
	v_cndmask_b32_e32 v20, v44, v53, vcc
	v_cmp_nlt_f32_e32 vcc, s35, v21
	v_cndmask_b32_e64 v55, v44, v55, s[0:1]
	v_add_f32_e32 v53, 1.0, v55
	v_cndmask_b32_e32 v21, v44, v52, vcc
	v_add_f32_e32 v52, 1.0, v54
	v_add_f32_e32 v54, 1.0, v20
	v_add_f32_e32 v55, 1.0, v21
	v_rcp_f32_e32 v20, v52
	v_rcp_f32_e32 v21, v53
	;; [unrolled: 1-line block ×4, first 2 shown]
	v_cvt_f32_f16_e32 v54, v30
	v_cvt_f32_f16_sdwa v55, v30 dst_sel:DWORD dst_unused:UNUSED_PAD src0_sel:WORD_1
	buffer_load_dwordx4 v[32:35], v42, s[12:15], 32 offen
	buffer_load_dwordx4 v[12:15], v42, s[12:15], 48 offen
	v_pk_add_f32 v[46:47], v[46:47], 1.0 op_sel_hi:[1,0]
	v_pk_mul_f32 v[20:21], v[28:29], v[20:21]
	s_waitcnt vmcnt(5)
	v_pk_add_f32 v[36:37], v[36:37], v[54:55]
	v_pk_mul_f32 v[46:47], v[46:47], v[20:21]
	v_min_f32_e32 v36, 0x40e00000, v36
	v_pk_mul_f32 v[28:29], v[48:49], v[52:53]
	v_cvt_f16_f32_e32 v20, v47
	v_cvt_f16_f32_e32 v21, v46
	v_pk_add_f32 v[46:47], v[50:51], 1.0 op_sel_hi:[1,0]
	v_mul_f32_e32 v30, 0xbfd9db23, v36
	v_pk_mul_f32 v[46:47], v[46:47], v[28:29]
	v_mul_f32_e32 v28, 0x3fb8aa3b, v30
	v_fma_f32 v29, v30, s33, -v28
	v_rndne_f32_e32 v48, v28
	v_fmac_f32_e32 v29, 0x32a5705f, v30
	v_sub_f32_e32 v28, v28, v48
	v_add_f32_e32 v28, v28, v29
	v_exp_f32_e32 v49, v28
	v_cvt_i32_f32_e32 v48, v48
	v_cvt_f16_f32_e32 v29, v46
	v_cmp_ngt_f32_e32 vcc, s34, v30
	v_min_f32_e32 v37, 0x40e00000, v37
	v_ldexp_f32 v46, v49, v48
	v_cndmask_b32_e32 v46, 0, v46, vcc
	v_cmp_nlt_f32_e32 vcc, s35, v30
	v_cvt_f16_f32_e32 v28, v47
	v_cvt_f32_f16_sdwa v47, v22 dst_sel:DWORD dst_unused:UNUSED_PAD src0_sel:WORD_1
	v_cndmask_b32_e32 v30, v44, v46, vcc
	v_cvt_f32_f16_e32 v46, v22
	v_mul_f32_e32 v22, 0xbfd9db23, v37
	v_mul_f32_e32 v48, 0x3fb8aa3b, v22
	v_fma_f32 v49, v22, s33, -v48
	v_rndne_f32_e32 v50, v48
	v_fmac_f32_e32 v49, 0x32a5705f, v22
	v_sub_f32_e32 v48, v48, v50
	v_add_f32_e32 v48, v48, v49
	v_exp_f32_e32 v49, v48
	v_cvt_i32_f32_e32 v50, v50
	v_add_f32_e32 v30, 1.0, v30
	v_rcp_f32_e32 v48, v30
	v_cmp_ngt_f32_e32 vcc, s34, v22
	v_ldexp_f32 v30, v49, v50
	s_waitcnt vmcnt(2)
	v_pk_add_f32 v[24:25], v[24:25], v[46:47]
	v_cndmask_b32_e32 v30, 0, v30, vcc
	v_cmp_nlt_f32_e32 vcc, s35, v22
	v_med3_f32 v25, v25, s36, v45
	v_med3_f32 v24, v24, s36, v45
	v_cndmask_b32_e32 v22, v44, v30, vcc
	v_add_f32_e32 v22, 1.0, v22
	v_cvt_f32_f16_e32 v30, v31
	v_cvt_f32_f16_sdwa v31, v31 dst_sel:DWORD dst_unused:UNUSED_PAD src0_sel:WORD_1
	v_rcp_f32_e32 v49, v22
	v_pk_add_f32 v[24:25], v[24:25], 1.0 op_sel_hi:[1,0]
	v_add_u32_e32 v42, s30, v42
	v_pk_add_f32 v[30:31], v[38:39], v[30:31]
	v_pk_mul_f32 v[36:37], v[36:37], v[48:49]
	v_min_f32_e32 v30, 0x40e00000, v30
	v_pk_mul_f32 v[24:25], v[24:25], v[36:37]
	v_mul_f32_e32 v36, 0xbfd9db23, v30
	v_mul_f32_e32 v22, 0x3fb8aa3b, v36
	v_fma_f32 v37, v36, s33, -v22
	v_rndne_f32_e32 v38, v22
	v_fmac_f32_e32 v37, 0x32a5705f, v36
	v_sub_f32_e32 v22, v22, v38
	v_add_f32_e32 v22, v22, v37
	v_exp_f32_e32 v37, v22
	v_cvt_i32_f32_e32 v38, v38
	v_cvt_f16_f32_e32 v22, v25
	v_min_f32_e32 v31, 0x40e00000, v31
	v_cmp_ngt_f32_e32 vcc, s34, v36
	v_ldexp_f32 v25, v37, v38
	v_cvt_f32_f16_sdwa v37, v23 dst_sel:DWORD dst_unused:UNUSED_PAD src0_sel:WORD_1
	v_cndmask_b32_e32 v25, 0, v25, vcc
	v_cmp_nlt_f32_e32 vcc, s35, v36
	v_cvt_f32_f16_e32 v36, v23
	v_mul_f32_e32 v23, 0xbfd9db23, v31
	v_mul_f32_e32 v38, 0x3fb8aa3b, v23
	v_fma_f32 v39, v23, s33, -v38
	v_rndne_f32_e32 v46, v38
	v_fmac_f32_e32 v39, 0x32a5705f, v23
	v_sub_f32_e32 v38, v38, v46
	v_add_f32_e32 v38, v38, v39
	v_exp_f32_e32 v39, v38
	v_cvt_i32_f32_e32 v46, v46
	v_cndmask_b32_e32 v25, v44, v25, vcc
	v_add_f32_e32 v25, 1.0, v25
	v_rcp_f32_e32 v38, v25
	v_ldexp_f32 v25, v39, v46
	v_cmp_ngt_f32_e32 vcc, s34, v23
	v_pk_add_f32 v[26:27], v[26:27], v[36:37]
	v_cvt_f32_f16_e32 v36, v8
	v_cndmask_b32_e32 v25, 0, v25, vcc
	v_cmp_nlt_f32_e32 vcc, s35, v23
	v_cvt_f32_f16_sdwa v37, v8 dst_sel:DWORD dst_unused:UNUSED_PAD src0_sel:WORD_1
	v_med3_f32 v27, v27, s36, v45
	v_cndmask_b32_e32 v23, v44, v25, vcc
	v_add_f32_e32 v23, 1.0, v23
	v_rcp_f32_e32 v39, v23
	v_med3_f32 v26, v26, s36, v45
	v_pk_add_f32 v[26:27], v[26:27], 1.0 op_sel_hi:[1,0]
	v_pk_add_f32 v[16:17], v[16:17], v[36:37]
	v_pk_mul_f32 v[30:31], v[30:31], v[38:39]
	v_cvt_f16_f32_e32 v24, v24
	v_pk_mul_f32 v[26:27], v[26:27], v[30:31]
	v_min_f32_e32 v30, 0x40e00000, v16
	v_mul_f32_e32 v23, 0xbfd9db23, v30
	v_mul_f32_e32 v8, 0x3fb8aa3b, v23
	v_fma_f32 v16, v23, s33, -v8
	v_rndne_f32_e32 v25, v8
	v_fmac_f32_e32 v16, 0x32a5705f, v23
	v_sub_f32_e32 v8, v8, v25
	v_add_f32_e32 v8, v8, v16
	v_exp_f32_e32 v36, v8
	v_cvt_i32_f32_e32 v25, v25
	v_min_f32_e32 v31, 0x40e00000, v17
	v_cvt_f16_f32_e32 v8, v27
	v_cvt_f16_f32_e32 v16, v26
	v_ldexp_f32 v17, v36, v25
	v_cmp_ngt_f32_e32 vcc, s34, v23
	v_cvt_f32_f16_e32 v26, v0
	v_cvt_f32_f16_sdwa v27, v0 dst_sel:DWORD dst_unused:UNUSED_PAD src0_sel:WORD_1
	v_mul_f32_e32 v0, 0xbfd9db23, v31
	v_cndmask_b32_e32 v17, 0, v17, vcc
	v_cmp_nlt_f32_e32 vcc, s35, v23
	v_mul_f32_e32 v23, 0x3fb8aa3b, v0
	v_fma_f32 v25, v0, s33, -v23
	v_rndne_f32_e32 v36, v23
	v_fmac_f32_e32 v25, 0x32a5705f, v0
	v_sub_f32_e32 v23, v23, v36
	v_add_f32_e32 v23, v23, v25
	v_exp_f32_e32 v23, v23
	v_cvt_i32_f32_e32 v25, v36
	v_cndmask_b32_e32 v17, v44, v17, vcc
	s_waitcnt vmcnt(1)
	v_pk_add_f32 v[26:27], v[32:33], v[26:27]
	v_cvt_f32_f16_e32 v32, v9
	v_cvt_f32_f16_sdwa v33, v9 dst_sel:DWORD dst_unused:UNUSED_PAD src0_sel:WORD_1
	v_add_f32_e32 v17, 1.0, v17
	v_rcp_f32_e32 v36, v17
	v_ldexp_f32 v17, v23, v25
	v_cmp_ngt_f32_e32 vcc, s34, v0
	v_pk_add_f32 v[18:19], v[18:19], v[32:33]
	v_med3_f32 v27, v27, s36, v45
	v_cndmask_b32_e32 v17, 0, v17, vcc
	v_cmp_nlt_f32_e32 vcc, s35, v0
	v_min_f32_e32 v18, 0x40e00000, v18
	v_med3_f32 v26, v26, s36, v45
	v_cndmask_b32_e32 v0, v44, v17, vcc
	v_add_f32_e32 v0, 1.0, v0
	v_rcp_f32_e32 v37, v0
	v_mul_f32_e32 v0, 0xbfd9db23, v18
	v_mul_f32_e32 v9, 0x3fb8aa3b, v0
	v_fma_f32 v17, v0, s33, -v9
	v_rndne_f32_e32 v23, v9
	v_fmac_f32_e32 v17, 0x32a5705f, v0
	v_sub_f32_e32 v9, v9, v23
	v_add_f32_e32 v9, v9, v17
	v_exp_f32_e32 v9, v9
	v_cvt_i32_f32_e32 v17, v23
	v_pk_mul_f32 v[30:31], v[30:31], v[36:37]
	v_pk_add_f32 v[26:27], v[26:27], 1.0 op_sel_hi:[1,0]
	v_min_f32_e32 v19, 0x40e00000, v19
	v_pk_mul_f32 v[26:27], v[26:27], v[30:31]
	v_ldexp_f32 v9, v9, v17
	v_mul_f32_e32 v17, 0xbfd9db23, v19
	v_cvt_f16_f32_e32 v25, v26
	v_mul_f32_e32 v26, 0x3fb8aa3b, v17
	v_cvt_f16_f32_e32 v23, v27
	v_fma_f32 v27, v17, s33, -v26
	v_rndne_f32_e32 v30, v26
	v_fmac_f32_e32 v27, 0x32a5705f, v17
	v_sub_f32_e32 v26, v26, v30
	v_add_f32_e32 v26, v26, v27
	v_cmp_ngt_f32_e32 vcc, s34, v0
	v_exp_f32_e32 v27, v26
	v_cvt_i32_f32_e32 v30, v30
	v_cndmask_b32_e32 v9, 0, v9, vcc
	v_cmp_nlt_f32_e32 vcc, s35, v0
	v_cvt_f32_f16_sdwa v31, v10 dst_sel:DWORD dst_unused:UNUSED_PAD src0_sel:WORD_1
	s_nop 0
	v_cndmask_b32_e32 v0, v44, v9, vcc
	v_add_f32_e32 v9, 1.0, v0
	v_rcp_f32_e32 v26, v9
	v_ldexp_f32 v9, v27, v30
	v_cmp_ngt_f32_e32 vcc, s34, v17
	v_cvt_f32_f16_e32 v30, v10
	v_cvt_f32_f16_e32 v0, v1
	v_cndmask_b32_e32 v9, 0, v9, vcc
	v_cmp_nlt_f32_e32 vcc, s35, v17
	v_cvt_f32_f16_sdwa v1, v1 dst_sel:DWORD dst_unused:UNUSED_PAD src0_sel:WORD_1
	v_pk_add_f32 v[4:5], v[4:5], v[30:31]
	v_cndmask_b32_e32 v9, v44, v9, vcc
	v_add_f32_e32 v9, 1.0, v9
	v_rcp_f32_e32 v27, v9
	v_pk_add_f32 v[0:1], v[34:35], v[0:1]
	v_min_f32_e32 v4, 0x40e00000, v4
	v_med3_f32 v1, v1, s36, v45
	v_med3_f32 v0, v0, s36, v45
	v_mul_f32_e32 v9, 0xbfd9db23, v4
	v_pk_mul_f32 v[18:19], v[18:19], v[26:27]
	v_pk_add_f32 v[0:1], v[0:1], 1.0 op_sel_hi:[1,0]
	v_mul_f32_e32 v10, 0x3fb8aa3b, v9
	v_pk_mul_f32 v[0:1], v[0:1], v[18:19]
	v_fma_f32 v17, v9, s33, -v10
	v_rndne_f32_e32 v18, v10
	v_fmac_f32_e32 v17, 0x32a5705f, v9
	v_sub_f32_e32 v10, v10, v18
	v_add_f32_e32 v10, v10, v17
	v_exp_f32_e32 v10, v10
	v_cvt_i32_f32_e32 v17, v18
	v_cvt_f16_f32_e32 v27, v0
	v_cmp_ngt_f32_e32 vcc, s34, v9
	v_min_f32_e32 v5, 0x40e00000, v5
	v_ldexp_f32 v0, v10, v17
	v_cndmask_b32_e32 v0, 0, v0, vcc
	v_cmp_nlt_f32_e32 vcc, s35, v9
	v_cvt_f16_f32_e32 v26, v1
	v_cvt_f32_f16_sdwa v1, v2 dst_sel:DWORD dst_unused:UNUSED_PAD src0_sel:WORD_1
	v_cndmask_b32_e32 v0, v44, v0, vcc
	v_add_f32_e32 v9, 1.0, v0
	v_cvt_f32_f16_e32 v0, v2
	v_mul_f32_e32 v2, 0xbfd9db23, v5
	v_mul_f32_e32 v10, 0x3fb8aa3b, v2
	v_fma_f32 v17, v2, s33, -v10
	v_rndne_f32_e32 v18, v10
	v_fmac_f32_e32 v17, 0x32a5705f, v2
	v_sub_f32_e32 v10, v10, v18
	v_add_f32_e32 v10, v10, v17
	v_exp_f32_e32 v10, v10
	v_cvt_i32_f32_e32 v17, v18
	v_rcp_f32_e32 v18, v9
	v_cmp_ngt_f32_e32 vcc, s34, v2
	s_waitcnt vmcnt(0)
	v_pk_add_f32 v[0:1], v[12:13], v[0:1]
	v_ldexp_f32 v9, v10, v17
	v_cndmask_b32_e32 v9, 0, v9, vcc
	v_cmp_nlt_f32_e32 vcc, s35, v2
	v_cvt_f32_f16_e32 v10, v11
	v_cvt_f32_f16_sdwa v11, v11 dst_sel:DWORD dst_unused:UNUSED_PAD src0_sel:WORD_1
	v_cndmask_b32_e32 v2, v44, v9, vcc
	v_add_f32_e32 v2, 1.0, v2
	v_rcp_f32_e32 v19, v2
	v_med3_f32 v1, v1, s36, v45
	v_med3_f32 v0, v0, s36, v45
	v_pk_add_f32 v[0:1], v[0:1], 1.0 op_sel_hi:[1,0]
	v_pk_mul_f32 v[4:5], v[4:5], v[18:19]
	s_nop 0
	v_pk_mul_f32 v[0:1], v[0:1], v[4:5]
	v_pk_add_f32 v[4:5], v[6:7], v[10:11]
	v_cvt_f16_f32_e32 v10, v0
	v_min_f32_e32 v4, 0x40e00000, v4
	v_mul_f32_e32 v2, 0xbfd9db23, v4
	v_mul_f32_e32 v6, 0x3fb8aa3b, v2
	v_fma_f32 v7, v2, s33, -v6
	v_rndne_f32_e32 v9, v6
	v_fmac_f32_e32 v7, 0x32a5705f, v2
	v_sub_f32_e32 v6, v6, v9
	v_add_f32_e32 v6, v6, v7
	v_exp_f32_e32 v6, v6
	v_cvt_i32_f32_e32 v7, v9
	v_min_f32_e32 v5, 0x40e00000, v5
	v_cvt_f16_f32_e32 v9, v1
	v_cmp_ngt_f32_e32 vcc, s34, v2
	v_ldexp_f32 v0, v6, v7
	v_mul_f32_e32 v1, 0xbfd9db23, v5
	v_cndmask_b32_e32 v0, 0, v0, vcc
	v_cmp_nlt_f32_e32 vcc, s35, v2
	v_mul_f32_e32 v2, 0x3fb8aa3b, v1
	v_fma_f32 v6, v1, s33, -v2
	v_rndne_f32_e32 v7, v2
	v_fmac_f32_e32 v6, 0x32a5705f, v1
	v_sub_f32_e32 v2, v2, v7
	v_add_f32_e32 v2, v2, v6
	v_exp_f32_e32 v6, v2
	v_cvt_i32_f32_e32 v7, v7
	v_cndmask_b32_e32 v0, v44, v0, vcc
	v_cmp_ngt_f32_e32 vcc, s34, v1
	v_cvt_f32_f16_e32 v2, v3
	v_ldexp_f32 v6, v6, v7
	v_cndmask_b32_e32 v6, 0, v6, vcc
	v_cmp_nlt_f32_e32 vcc, s35, v1
	v_cvt_f32_f16_sdwa v3, v3 dst_sel:DWORD dst_unused:UNUSED_PAD src0_sel:WORD_1
	v_add_f32_e32 v0, 1.0, v0
	v_cndmask_b32_e32 v1, v44, v6, vcc
	v_add_f32_e32 v1, 1.0, v1
	v_rcp_f32_e32 v0, v0
	v_rcp_f32_e32 v1, v1
	v_pk_add_f32 v[2:3], v[14:15], v[2:3]
	v_cmp_le_i64_e32 vcc, s[24:25], v[40:41]
	v_med3_f32 v3, v3, s36, v45
	v_med3_f32 v2, v2, s36, v45
	v_pk_mul_f32 v[0:1], v[4:5], v[0:1]
	v_pk_add_f32 v[2:3], v[2:3], 1.0 op_sel_hi:[1,0]
	s_or_b64 s[28:29], vcc, s[28:29]
	v_pk_mul_f32 v[0:1], v[2:3], v[0:1]
	v_pack_b32_f16 v3, v16, v8
	v_cvt_f16_f32_e32 v4, v1
	v_cvt_f16_f32_e32 v5, v0
	v_pack_b32_f16 v1, v29, v28
	v_pack_b32_f16 v2, v24, v22
	;; [unrolled: 1-line block ×3, first 2 shown]
	buffer_store_dwordx4 v[0:3], v43, s[4:7], 0 offen
	s_nop 1
	v_pack_b32_f16 v3, v5, v4
	v_pack_b32_f16 v1, v27, v26
	;; [unrolled: 1-line block ×4, first 2 shown]
	buffer_store_dwordx4 v[0:3], v43, s[4:7], 16 offen
	v_add_u32_e32 v43, s31, v43
	s_andn2_b64 exec, exec, s[28:29]
	s_cbranch_execnz .LBB341_8
.LBB341_9:
	s_endpgm
	.section	.rodata,"a",@progbits
	.p2align	6, 0x0
	.amdhsa_kernel _ZN5aiter30swiglu_act_and_mul_bias_kernelIDF16_DF16_lfLi16EEEvPT0_PKT_PKT1_PKT2_il
		.amdhsa_group_segment_fixed_size 0
		.amdhsa_private_segment_fixed_size 0
		.amdhsa_kernarg_size 304
		.amdhsa_user_sgpr_count 2
		.amdhsa_user_sgpr_dispatch_ptr 0
		.amdhsa_user_sgpr_queue_ptr 0
		.amdhsa_user_sgpr_kernarg_segment_ptr 1
		.amdhsa_user_sgpr_dispatch_id 0
		.amdhsa_user_sgpr_kernarg_preload_length 0
		.amdhsa_user_sgpr_kernarg_preload_offset 0
		.amdhsa_user_sgpr_private_segment_size 0
		.amdhsa_uses_dynamic_stack 0
		.amdhsa_enable_private_segment 0
		.amdhsa_system_sgpr_workgroup_id_x 1
		.amdhsa_system_sgpr_workgroup_id_y 0
		.amdhsa_system_sgpr_workgroup_id_z 0
		.amdhsa_system_sgpr_workgroup_info 0
		.amdhsa_system_vgpr_workitem_id 0
		.amdhsa_next_free_vgpr 56
		.amdhsa_next_free_sgpr 37
		.amdhsa_accum_offset 56
		.amdhsa_reserve_vcc 1
		.amdhsa_float_round_mode_32 0
		.amdhsa_float_round_mode_16_64 0
		.amdhsa_float_denorm_mode_32 3
		.amdhsa_float_denorm_mode_16_64 3
		.amdhsa_dx10_clamp 1
		.amdhsa_ieee_mode 1
		.amdhsa_fp16_overflow 0
		.amdhsa_tg_split 0
		.amdhsa_exception_fp_ieee_invalid_op 0
		.amdhsa_exception_fp_denorm_src 0
		.amdhsa_exception_fp_ieee_div_zero 0
		.amdhsa_exception_fp_ieee_overflow 0
		.amdhsa_exception_fp_ieee_underflow 0
		.amdhsa_exception_fp_ieee_inexact 0
		.amdhsa_exception_int_div_zero 0
	.end_amdhsa_kernel
	.section	.text._ZN5aiter30swiglu_act_and_mul_bias_kernelIDF16_DF16_lfLi16EEEvPT0_PKT_PKT1_PKT2_il,"axG",@progbits,_ZN5aiter30swiglu_act_and_mul_bias_kernelIDF16_DF16_lfLi16EEEvPT0_PKT_PKT1_PKT2_il,comdat
.Lfunc_end341:
	.size	_ZN5aiter30swiglu_act_and_mul_bias_kernelIDF16_DF16_lfLi16EEEvPT0_PKT_PKT1_PKT2_il, .Lfunc_end341-_ZN5aiter30swiglu_act_and_mul_bias_kernelIDF16_DF16_lfLi16EEEvPT0_PKT_PKT1_PKT2_il
                                        ; -- End function
	.section	.AMDGPU.csdata,"",@progbits
; Kernel info:
; codeLenInByte = 3068
; NumSgprs: 43
; NumVgprs: 56
; NumAgprs: 0
; TotalNumVgprs: 56
; ScratchSize: 0
; MemoryBound: 0
; FloatMode: 240
; IeeeMode: 1
; LDSByteSize: 0 bytes/workgroup (compile time only)
; SGPRBlocks: 5
; VGPRBlocks: 6
; NumSGPRsForWavesPerEU: 43
; NumVGPRsForWavesPerEU: 56
; AccumOffset: 56
; Occupancy: 8
; WaveLimiterHint : 0
; COMPUTE_PGM_RSRC2:SCRATCH_EN: 0
; COMPUTE_PGM_RSRC2:USER_SGPR: 2
; COMPUTE_PGM_RSRC2:TRAP_HANDLER: 0
; COMPUTE_PGM_RSRC2:TGID_X_EN: 1
; COMPUTE_PGM_RSRC2:TGID_Y_EN: 0
; COMPUTE_PGM_RSRC2:TGID_Z_EN: 0
; COMPUTE_PGM_RSRC2:TIDIG_COMP_CNT: 0
; COMPUTE_PGM_RSRC3_GFX90A:ACCUM_OFFSET: 13
; COMPUTE_PGM_RSRC3_GFX90A:TG_SPLIT: 0
	.section	.text._ZN5aiter30swiglu_act_and_mul_bias_kernelIDF16_DF16_lfLi8EEEvPT0_PKT_PKT1_PKT2_il,"axG",@progbits,_ZN5aiter30swiglu_act_and_mul_bias_kernelIDF16_DF16_lfLi8EEEvPT0_PKT_PKT1_PKT2_il,comdat
	.protected	_ZN5aiter30swiglu_act_and_mul_bias_kernelIDF16_DF16_lfLi8EEEvPT0_PKT_PKT1_PKT2_il ; -- Begin function _ZN5aiter30swiglu_act_and_mul_bias_kernelIDF16_DF16_lfLi8EEEvPT0_PKT_PKT1_PKT2_il
	.globl	_ZN5aiter30swiglu_act_and_mul_bias_kernelIDF16_DF16_lfLi8EEEvPT0_PKT_PKT1_PKT2_il
	.p2align	8
	.type	_ZN5aiter30swiglu_act_and_mul_bias_kernelIDF16_DF16_lfLi8EEEvPT0_PKT_PKT1_PKT2_il,@function
_ZN5aiter30swiglu_act_and_mul_bias_kernelIDF16_DF16_lfLi8EEEvPT0_PKT_PKT1_PKT2_il: ; @_ZN5aiter30swiglu_act_and_mul_bias_kernelIDF16_DF16_lfLi8EEEvPT0_PKT_PKT1_PKT2_il
; %bb.0:
	s_load_dword s20, s[0:1], 0x20
	s_load_dwordx2 s[4:5], s[0:1], 0x0
	s_load_dwordx2 s[6:7], s[0:1], 0x10
	;; [unrolled: 1-line block ×3, first 2 shown]
	s_mov_b32 s3, 0
	s_waitcnt lgkmcnt(0)
	s_ashr_i32 s21, s20, 31
	s_lshl_b64 s[8:9], s[2:3], 3
	s_add_u32 s6, s6, s8
	s_addc_u32 s7, s7, s9
	s_add_i32 s3, s20, 1
	s_load_dwordx2 s[8:9], s[6:7], 0x0
	s_lshr_b32 s6, s3, 31
	s_add_i32 s3, s3, s6
	s_lshl_b32 s3, s3, 1
	s_and_b32 s6, s3, -4
	s_mul_hi_u32 s3, s20, s2
	s_mul_i32 s7, s21, s2
	s_add_i32 s11, s3, s7
	s_mul_i32 s10, s20, s2
	s_lshl_b64 s[10:11], s[10:11], 1
	v_mov_b64_e32 v[2:3], s[12:13]
	s_add_u32 s4, s4, s10
	s_waitcnt lgkmcnt(0)
	v_cmp_gt_i64_e64 s[14:15], s[8:9], -1
	v_cmp_lt_i64_e32 vcc, s[8:9], v[2:3]
	s_addc_u32 s3, s5, s11
	s_and_b64 s[12:13], s[14:15], vcc
	s_and_b32 s5, s3, 0xffff
	s_mov_b64 s[10:11], -1
	s_and_b64 vcc, exec, s[12:13]
	v_lshlrev_b32_e32 v24, 3, v0
	s_cbranch_vccnz .LBB342_5
; %bb.1:
	v_cmp_gt_i32_e32 vcc, s20, v24
	s_and_saveexec_b64 s[10:11], vcc
	s_cbranch_execz .LBB342_4
; %bb.2:
	s_load_dword s3, s[0:1], 0x3c
	v_mov_b32_e32 v25, 0
	s_mov_b32 s13, 0
	v_lshlrev_b32_e32 v1, 4, v0
	s_mov_b64 s[14:15], 0
	s_waitcnt lgkmcnt(0)
	s_and_b32 s3, s3, 0xffff
	s_lshl_b32 s12, s3, 3
	s_lshl_b32 s3, s3, 4
	s_mov_b32 s7, 0x20000
	v_mov_b32_e32 v2, v25
	v_mov_b32_e32 v3, v25
	;; [unrolled: 1-line block ×4, first 2 shown]
	v_mov_b64_e32 v[6:7], v[24:25]
.LBB342_3:                              ; =>This Inner Loop Header: Depth=1
	v_lshl_add_u64 v[6:7], s[12:13], 0, v[6:7]
	v_cmp_le_i64_e32 vcc, s[20:21], v[6:7]
	buffer_store_dwordx4 v[2:5], v1, s[4:7], 0 offen
	s_or_b64 s[14:15], vcc, s[14:15]
	v_add_u32_e32 v1, s3, v1
	s_andn2_b64 exec, exec, s[14:15]
	s_cbranch_execnz .LBB342_3
.LBB342_4:
	s_or_b64 exec, exec, s[10:11]
	s_mov_b64 s[10:11], 0
.LBB342_5:
	s_andn2_b64 vcc, exec, s[10:11]
	s_cbranch_vccnz .LBB342_9
; %bb.6:
	v_cmp_gt_i32_e32 vcc, s20, v24
	s_and_saveexec_b64 s[10:11], vcc
	s_cbranch_execz .LBB342_9
; %bb.7:
	s_load_dwordx2 s[12:13], s[0:1], 0x8
	s_load_dwordx2 s[10:11], s[0:1], 0x18
	s_mul_i32 s3, s20, s9
	s_mul_hi_u32 s7, s20, s8
	s_add_i32 s3, s7, s3
	s_mul_i32 s7, s21, s8
	s_add_i32 s9, s3, s7
	s_mul_i32 s8, s20, s8
	s_lshl_b64 s[8:9], s[8:9], 3
	s_waitcnt lgkmcnt(0)
	s_add_u32 s8, s10, s8
	s_load_dword s14, s[0:1], 0x3c
	s_addc_u32 s3, s11, s9
	s_lshl_b64 s[0:1], s[20:21], 2
	s_add_u32 s0, s8, s0
	s_addc_u32 s1, s3, s1
	s_and_b32 s9, s3, 0xffff
	s_mul_i32 s3, s2, s21
	s_mul_hi_u32 s15, s2, s20
	s_add_i32 s3, s15, s3
	s_mul_i32 s2, s2, s20
	s_lshl_b32 s10, s20, 2
	s_and_b32 s1, s1, 0xffff
	s_lshl_b64 s[2:3], s[2:3], 2
	s_add_u32 s12, s12, s2
	s_addc_u32 s13, s13, s3
	s_lshl_b64 s[2:3], s[20:21], 1
	s_add_u32 s16, s12, s2
	s_addc_u32 s2, s13, s3
	s_mov_b32 s7, 0x20000
	s_and_b32 s17, s2, 0xffff
	s_waitcnt lgkmcnt(0)
	s_and_b32 s2, s14, 0xffff
	s_mov_b32 s11, s7
	s_and_b32 s13, s13, 0xffff
	s_mov_b32 s23, 0
	v_mov_b32_e32 v25, 0
	s_lshl_b32 s22, s2, 3
	v_lshlrev_b32_e32 v26, 5, v0
	s_lshl_b32 s26, s2, 5
	v_lshlrev_b32_e32 v27, 4, v0
	s_lshl_b32 s27, s2, 4
	s_mov_b64 s[24:25], 0
	s_mov_b32 s28, 0x3fb8aa3b
	s_mov_b32 s29, 0xc2ce8ed0
	;; [unrolled: 1-line block ×3, first 2 shown]
	v_mov_b32_e32 v28, 0x7f800000
	s_mov_b32 s31, 0xc0e00000
	v_mov_b32_e32 v29, 0x40e00000
	s_mov_b32 s14, s6
	s_mov_b32 s15, s7
	;; [unrolled: 1-line block ×4, first 2 shown]
.LBB342_8:                              ; =>This Inner Loop Header: Depth=1
	buffer_load_dwordx4 v[8:11], v27, s[12:15], 0 offen
	buffer_load_dwordx4 v[0:3], v27, s[16:19], 0 offen
	s_mov_b32 s2, s10
	s_mov_b32 s3, s11
	buffer_load_dwordx4 v[16:19], v26, s[8:11], 0 offen
	buffer_load_dwordx4 v[20:23], v26, s[0:3], 0 offen
	;; [unrolled: 1-line block ×4, first 2 shown]
	v_lshl_add_u64 v[24:25], s[22:23], 0, v[24:25]
	v_add_u32_e32 v26, s26, v26
	s_waitcnt vmcnt(5)
	v_cvt_f32_f16_e32 v30, v8
	v_cvt_f32_f16_sdwa v31, v8 dst_sel:DWORD dst_unused:UNUSED_PAD src0_sel:WORD_1
	s_waitcnt vmcnt(4)
	v_cvt_f32_f16_e32 v32, v0
	v_cvt_f32_f16_sdwa v33, v0 dst_sel:DWORD dst_unused:UNUSED_PAD src0_sel:WORD_1
	v_cvt_f32_f16_e32 v0, v1
	v_cvt_f32_f16_sdwa v1, v1 dst_sel:DWORD dst_unused:UNUSED_PAD src0_sel:WORD_1
	;; [unrolled: 2-line block ×4, first 2 shown]
	s_waitcnt vmcnt(3)
	v_pk_add_f32 v[16:17], v[16:17], v[30:31]
	s_waitcnt vmcnt(2)
	v_pk_add_f32 v[20:21], v[20:21], v[32:33]
	v_pk_add_f32 v[0:1], v[22:23], v[0:1]
	v_min_f32_e32 v16, 0x40e00000, v16
	v_pk_add_f32 v[8:9], v[18:19], v[8:9]
	v_min_f32_e32 v17, 0x40e00000, v17
	v_med3_f32 v19, v21, s31, v29
	v_med3_f32 v21, v1, s31, v29
	v_mul_f32_e32 v1, 0xbfd9db23, v16
	s_waitcnt vmcnt(1)
	v_pk_add_f32 v[12:13], v[12:13], v[34:35]
	v_min_f32_e32 v8, 0x40e00000, v8
	v_mul_f32_e32 v10, 0xbfd9db23, v17
	v_mul_f32_e32 v23, 0x3fb8aa3b, v1
	v_med3_f32 v18, v20, s31, v29
	v_min_f32_e32 v9, 0x40e00000, v9
	v_med3_f32 v20, v0, s31, v29
	v_min_f32_e32 v0, 0x40e00000, v12
	v_mul_f32_e32 v12, 0xbfd9db23, v8
	v_mul_f32_e32 v30, 0x3fb8aa3b, v10
	v_fma_f32 v34, v1, s28, -v23
	v_rndne_f32_e32 v35, v23
	v_mul_f32_e32 v22, 0xbfd9db23, v9
	v_mul_f32_e32 v31, 0x3fb8aa3b, v12
	v_fma_f32 v36, v10, s28, -v30
	v_rndne_f32_e32 v37, v30
	v_fmac_f32_e32 v34, 0x32a5705f, v1
	v_sub_f32_e32 v23, v23, v35
	v_mul_f32_e32 v33, 0x3fb8aa3b, v22
	v_fma_f32 v38, v12, s28, -v31
	v_rndne_f32_e32 v39, v31
	v_fmac_f32_e32 v36, 0x32a5705f, v10
	v_sub_f32_e32 v30, v30, v37
	v_add_f32_e32 v23, v23, v34
	v_fma_f32 v40, v22, s28, -v33
	v_rndne_f32_e32 v41, v33
	v_cvt_i32_f32_e32 v35, v35
	v_fmac_f32_e32 v38, 0x32a5705f, v12
	v_sub_f32_e32 v31, v31, v39
	v_add_f32_e32 v30, v30, v36
	v_exp_f32_e32 v23, v23
	v_cvt_i32_f32_e32 v37, v37
	v_fmac_f32_e32 v40, 0x32a5705f, v22
	v_sub_f32_e32 v33, v33, v41
	v_add_f32_e32 v31, v31, v38
	v_exp_f32_e32 v30, v30
	v_cvt_i32_f32_e32 v39, v39
	v_add_f32_e32 v33, v33, v40
	v_exp_f32_e32 v31, v31
	v_cvt_i32_f32_e32 v41, v41
	v_exp_f32_e32 v33, v33
	v_ldexp_f32 v23, v23, v35
	v_cmp_ngt_f32_e32 vcc, s29, v1
	v_ldexp_f32 v30, v30, v37
	v_ldexp_f32 v31, v31, v39
	v_cndmask_b32_e32 v23, 0, v23, vcc
	v_cmp_ngt_f32_e32 vcc, s29, v10
	v_ldexp_f32 v33, v33, v41
	v_mul_f32_e32 v32, 0xbfd9db23, v0
	v_cndmask_b32_e32 v30, 0, v30, vcc
	v_cmp_ngt_f32_e32 vcc, s29, v12
	v_pk_add_f32 v[18:19], v[18:19], 1.0 op_sel_hi:[1,0]
	v_pk_add_f32 v[20:21], v[20:21], 1.0 op_sel_hi:[1,0]
	v_cndmask_b32_e32 v31, 0, v31, vcc
	v_cmp_ngt_f32_e32 vcc, s29, v22
	s_nop 1
	v_cndmask_b32_e32 v33, 0, v33, vcc
	v_cmp_nlt_f32_e32 vcc, s30, v1
	s_nop 1
	v_cndmask_b32_e32 v1, v28, v23, vcc
	v_cmp_nlt_f32_e32 vcc, s30, v10
	v_add_f32_e32 v1, 1.0, v1
	s_nop 0
	v_cndmask_b32_e32 v10, v28, v30, vcc
	v_cmp_nlt_f32_e32 vcc, s30, v12
	v_add_f32_e32 v10, 1.0, v10
	v_rcp_f32_e32 v23, v10
	v_cndmask_b32_e32 v12, v28, v31, vcc
	v_cmp_nlt_f32_e32 vcc, s30, v22
	v_add_f32_e32 v12, 1.0, v12
	v_rcp_f32_e32 v30, v12
	v_cndmask_b32_e32 v22, v28, v33, vcc
	v_add_f32_e32 v31, 1.0, v22
	v_rcp_f32_e32 v22, v1
	v_mul_f32_e32 v1, 0x3fb8aa3b, v32
	v_fma_f32 v10, v32, s28, -v1
	v_rndne_f32_e32 v12, v1
	v_fmac_f32_e32 v10, 0x32a5705f, v32
	v_sub_f32_e32 v1, v1, v12
	v_rcp_f32_e32 v31, v31
	v_add_f32_e32 v1, v1, v10
	v_exp_f32_e32 v10, v1
	v_cvt_i32_f32_e32 v12, v12
	v_pk_mul_f32 v[16:17], v[16:17], v[22:23]
	v_pk_mul_f32 v[22:23], v[8:9], v[30:31]
	v_min_f32_e32 v1, 0x40e00000, v13
	v_pk_mul_f32 v[8:9], v[18:19], v[16:17]
	v_pk_mul_f32 v[16:17], v[20:21], v[22:23]
	v_ldexp_f32 v10, v10, v12
	v_cvt_f32_f16_e32 v12, v2
	v_cvt_f32_f16_sdwa v13, v2 dst_sel:DWORD dst_unused:UNUSED_PAD src0_sel:WORD_1
	v_mul_f32_e32 v2, 0xbfd9db23, v1
	v_cvt_f16_f32_e32 v19, v16
	v_mul_f32_e32 v16, 0x3fb8aa3b, v2
	v_cvt_f16_f32_e32 v18, v17
	v_fma_f32 v17, v2, s28, -v16
	v_rndne_f32_e32 v20, v16
	v_fmac_f32_e32 v17, 0x32a5705f, v2
	v_sub_f32_e32 v16, v16, v20
	v_add_f32_e32 v16, v16, v17
	v_cmp_ngt_f32_e32 vcc, s29, v32
	v_exp_f32_e32 v17, v16
	v_cvt_i32_f32_e32 v20, v20
	v_cndmask_b32_e32 v10, 0, v10, vcc
	v_cmp_nlt_f32_e32 vcc, s30, v32
	s_waitcnt vmcnt(0)
	v_pk_add_f32 v[4:5], v[4:5], v[12:13]
	v_cvt_f16_f32_e32 v9, v9
	v_cndmask_b32_e32 v10, v28, v10, vcc
	v_add_f32_e32 v10, 1.0, v10
	v_rcp_f32_e32 v16, v10
	v_ldexp_f32 v10, v17, v20
	v_cmp_ngt_f32_e32 vcc, s29, v2
	v_med3_f32 v5, v5, s31, v29
	v_med3_f32 v4, v4, s31, v29
	v_cndmask_b32_e32 v10, 0, v10, vcc
	v_cmp_nlt_f32_e32 vcc, s30, v2
	v_pk_add_f32 v[4:5], v[4:5], 1.0 op_sel_hi:[1,0]
	s_nop 0
	v_cndmask_b32_e32 v2, v28, v10, vcc
	v_cvt_f32_f16_e32 v10, v11
	v_cvt_f32_f16_sdwa v11, v11 dst_sel:DWORD dst_unused:UNUSED_PAD src0_sel:WORD_1
	v_add_f32_e32 v2, 1.0, v2
	v_rcp_f32_e32 v17, v2
	v_pk_add_f32 v[10:11], v[14:15], v[10:11]
	s_nop 0
	v_min_f32_e32 v10, 0x40e00000, v10
	v_mul_f32_e32 v2, 0xbfd9db23, v10
	v_mul_f32_e32 v12, 0x3fb8aa3b, v2
	v_fma_f32 v13, v2, s28, -v12
	v_rndne_f32_e32 v14, v12
	v_fmac_f32_e32 v13, 0x32a5705f, v2
	v_sub_f32_e32 v12, v12, v14
	v_add_f32_e32 v12, v12, v13
	v_exp_f32_e32 v12, v12
	v_cvt_i32_f32_e32 v13, v14
	v_pk_mul_f32 v[0:1], v[0:1], v[16:17]
	v_min_f32_e32 v11, 0x40e00000, v11
	v_pk_mul_f32 v[0:1], v[4:5], v[0:1]
	v_ldexp_f32 v4, v12, v13
	v_cmp_ngt_f32_e32 vcc, s29, v2
	v_mul_f32_e32 v12, 0xbfd9db23, v11
	v_cvt_f16_f32_e32 v0, v0
	v_cndmask_b32_e32 v4, 0, v4, vcc
	v_cmp_nlt_f32_e32 vcc, s30, v2
	s_nop 1
	v_cndmask_b32_e32 v2, v28, v4, vcc
	v_mul_f32_e32 v4, 0x3fb8aa3b, v12
	v_fma_f32 v5, v12, s28, -v4
	v_rndne_f32_e32 v13, v4
	v_fmac_f32_e32 v5, 0x32a5705f, v12
	v_sub_f32_e32 v4, v4, v13
	v_add_f32_e32 v4, v4, v5
	v_exp_f32_e32 v14, v4
	v_cvt_i32_f32_e32 v13, v13
	v_cvt_f32_f16_e32 v4, v3
	v_cvt_f32_f16_sdwa v5, v3 dst_sel:DWORD dst_unused:UNUSED_PAD src0_sel:WORD_1
	v_cmp_ngt_f32_e32 vcc, s29, v12
	v_ldexp_f32 v3, v14, v13
	v_add_f32_e32 v2, 1.0, v2
	v_cndmask_b32_e32 v3, 0, v3, vcc
	v_cmp_nlt_f32_e32 vcc, s30, v12
	v_rcp_f32_e32 v2, v2
	v_pk_add_f32 v[4:5], v[6:7], v[4:5]
	v_cndmask_b32_e32 v3, v28, v3, vcc
	v_add_f32_e32 v3, 1.0, v3
	v_rcp_f32_e32 v3, v3
	v_med3_f32 v5, v5, s31, v29
	v_med3_f32 v4, v4, s31, v29
	v_pk_add_f32 v[4:5], v[4:5], 1.0 op_sel_hi:[1,0]
	v_pk_mul_f32 v[2:3], v[10:11], v[2:3]
	v_cmp_le_i64_e32 vcc, s[20:21], v[24:25]
	v_pk_mul_f32 v[2:3], v[4:5], v[2:3]
	v_cvt_f16_f32_e32 v4, v1
	v_cvt_f16_f32_e32 v3, v3
	;; [unrolled: 1-line block ×4, first 2 shown]
	v_pack_b32_f16 v1, v19, v18
	s_or_b64 s[24:25], vcc, s[24:25]
	v_pack_b32_f16 v3, v2, v3
	v_pack_b32_f16 v2, v0, v4
	;; [unrolled: 1-line block ×3, first 2 shown]
	buffer_store_dwordx4 v[0:3], v27, s[4:7], 0 offen
	v_add_u32_e32 v27, s27, v27
	s_andn2_b64 exec, exec, s[24:25]
	s_cbranch_execnz .LBB342_8
.LBB342_9:
	s_endpgm
	.section	.rodata,"a",@progbits
	.p2align	6, 0x0
	.amdhsa_kernel _ZN5aiter30swiglu_act_and_mul_bias_kernelIDF16_DF16_lfLi8EEEvPT0_PKT_PKT1_PKT2_il
		.amdhsa_group_segment_fixed_size 0
		.amdhsa_private_segment_fixed_size 0
		.amdhsa_kernarg_size 304
		.amdhsa_user_sgpr_count 2
		.amdhsa_user_sgpr_dispatch_ptr 0
		.amdhsa_user_sgpr_queue_ptr 0
		.amdhsa_user_sgpr_kernarg_segment_ptr 1
		.amdhsa_user_sgpr_dispatch_id 0
		.amdhsa_user_sgpr_kernarg_preload_length 0
		.amdhsa_user_sgpr_kernarg_preload_offset 0
		.amdhsa_user_sgpr_private_segment_size 0
		.amdhsa_uses_dynamic_stack 0
		.amdhsa_enable_private_segment 0
		.amdhsa_system_sgpr_workgroup_id_x 1
		.amdhsa_system_sgpr_workgroup_id_y 0
		.amdhsa_system_sgpr_workgroup_id_z 0
		.amdhsa_system_sgpr_workgroup_info 0
		.amdhsa_system_vgpr_workitem_id 0
		.amdhsa_next_free_vgpr 42
		.amdhsa_next_free_sgpr 32
		.amdhsa_accum_offset 44
		.amdhsa_reserve_vcc 1
		.amdhsa_float_round_mode_32 0
		.amdhsa_float_round_mode_16_64 0
		.amdhsa_float_denorm_mode_32 3
		.amdhsa_float_denorm_mode_16_64 3
		.amdhsa_dx10_clamp 1
		.amdhsa_ieee_mode 1
		.amdhsa_fp16_overflow 0
		.amdhsa_tg_split 0
		.amdhsa_exception_fp_ieee_invalid_op 0
		.amdhsa_exception_fp_denorm_src 0
		.amdhsa_exception_fp_ieee_div_zero 0
		.amdhsa_exception_fp_ieee_overflow 0
		.amdhsa_exception_fp_ieee_underflow 0
		.amdhsa_exception_fp_ieee_inexact 0
		.amdhsa_exception_int_div_zero 0
	.end_amdhsa_kernel
	.section	.text._ZN5aiter30swiglu_act_and_mul_bias_kernelIDF16_DF16_lfLi8EEEvPT0_PKT_PKT1_PKT2_il,"axG",@progbits,_ZN5aiter30swiglu_act_and_mul_bias_kernelIDF16_DF16_lfLi8EEEvPT0_PKT_PKT1_PKT2_il,comdat
.Lfunc_end342:
	.size	_ZN5aiter30swiglu_act_and_mul_bias_kernelIDF16_DF16_lfLi8EEEvPT0_PKT_PKT1_PKT2_il, .Lfunc_end342-_ZN5aiter30swiglu_act_and_mul_bias_kernelIDF16_DF16_lfLi8EEEvPT0_PKT_PKT1_PKT2_il
                                        ; -- End function
	.section	.AMDGPU.csdata,"",@progbits
; Kernel info:
; codeLenInByte = 1848
; NumSgprs: 38
; NumVgprs: 42
; NumAgprs: 0
; TotalNumVgprs: 42
; ScratchSize: 0
; MemoryBound: 0
; FloatMode: 240
; IeeeMode: 1
; LDSByteSize: 0 bytes/workgroup (compile time only)
; SGPRBlocks: 4
; VGPRBlocks: 5
; NumSGPRsForWavesPerEU: 38
; NumVGPRsForWavesPerEU: 42
; AccumOffset: 44
; Occupancy: 8
; WaveLimiterHint : 0
; COMPUTE_PGM_RSRC2:SCRATCH_EN: 0
; COMPUTE_PGM_RSRC2:USER_SGPR: 2
; COMPUTE_PGM_RSRC2:TRAP_HANDLER: 0
; COMPUTE_PGM_RSRC2:TGID_X_EN: 1
; COMPUTE_PGM_RSRC2:TGID_Y_EN: 0
; COMPUTE_PGM_RSRC2:TGID_Z_EN: 0
; COMPUTE_PGM_RSRC2:TIDIG_COMP_CNT: 0
; COMPUTE_PGM_RSRC3_GFX90A:ACCUM_OFFSET: 10
; COMPUTE_PGM_RSRC3_GFX90A:TG_SPLIT: 0
	.section	.text._ZN5aiter30swiglu_act_and_mul_bias_kernelIDF16_DF16_lfLi4EEEvPT0_PKT_PKT1_PKT2_il,"axG",@progbits,_ZN5aiter30swiglu_act_and_mul_bias_kernelIDF16_DF16_lfLi4EEEvPT0_PKT_PKT1_PKT2_il,comdat
	.protected	_ZN5aiter30swiglu_act_and_mul_bias_kernelIDF16_DF16_lfLi4EEEvPT0_PKT_PKT1_PKT2_il ; -- Begin function _ZN5aiter30swiglu_act_and_mul_bias_kernelIDF16_DF16_lfLi4EEEvPT0_PKT_PKT1_PKT2_il
	.globl	_ZN5aiter30swiglu_act_and_mul_bias_kernelIDF16_DF16_lfLi4EEEvPT0_PKT_PKT1_PKT2_il
	.p2align	8
	.type	_ZN5aiter30swiglu_act_and_mul_bias_kernelIDF16_DF16_lfLi4EEEvPT0_PKT_PKT1_PKT2_il,@function
_ZN5aiter30swiglu_act_and_mul_bias_kernelIDF16_DF16_lfLi4EEEvPT0_PKT_PKT1_PKT2_il: ; @_ZN5aiter30swiglu_act_and_mul_bias_kernelIDF16_DF16_lfLi4EEEvPT0_PKT_PKT1_PKT2_il
; %bb.0:
	s_load_dword s20, s[0:1], 0x20
	s_load_dwordx2 s[4:5], s[0:1], 0x0
	s_load_dwordx2 s[6:7], s[0:1], 0x10
	;; [unrolled: 1-line block ×3, first 2 shown]
	s_mov_b32 s3, 0
	s_waitcnt lgkmcnt(0)
	s_ashr_i32 s21, s20, 31
	s_lshl_b64 s[8:9], s[2:3], 3
	s_add_u32 s6, s6, s8
	s_addc_u32 s7, s7, s9
	s_add_i32 s3, s20, 1
	s_load_dwordx2 s[8:9], s[6:7], 0x0
	s_lshr_b32 s6, s3, 31
	s_add_i32 s3, s3, s6
	s_lshl_b32 s3, s3, 1
	s_and_b32 s6, s3, -4
	s_mul_hi_u32 s3, s20, s2
	s_mul_i32 s7, s21, s2
	s_add_i32 s11, s3, s7
	s_mul_i32 s10, s20, s2
	s_lshl_b64 s[10:11], s[10:11], 1
	v_mov_b64_e32 v[2:3], s[12:13]
	s_add_u32 s4, s4, s10
	s_waitcnt lgkmcnt(0)
	v_cmp_gt_i64_e64 s[14:15], s[8:9], -1
	v_cmp_lt_i64_e32 vcc, s[8:9], v[2:3]
	s_addc_u32 s3, s5, s11
	s_and_b64 s[12:13], s[14:15], vcc
	s_and_b32 s5, s3, 0xffff
	s_mov_b64 s[10:11], -1
	s_and_b64 vcc, exec, s[12:13]
	v_lshlrev_b32_e32 v8, 2, v0
	s_cbranch_vccnz .LBB343_5
; %bb.1:
	v_cmp_gt_i32_e32 vcc, s20, v8
	s_and_saveexec_b64 s[10:11], vcc
	s_cbranch_execz .LBB343_4
; %bb.2:
	s_load_dword s3, s[0:1], 0x3c
	v_mov_b32_e32 v9, 0
	s_mov_b32 s13, 0
	v_lshlrev_b32_e32 v1, 3, v0
	s_mov_b64 s[14:15], 0
	s_waitcnt lgkmcnt(0)
	s_and_b32 s3, s3, 0xffff
	s_lshl_b32 s12, s3, 2
	s_lshl_b32 s3, s3, 3
	s_mov_b32 s7, 0x20000
	v_mov_b32_e32 v2, v9
	v_mov_b32_e32 v3, v9
	v_mov_b64_e32 v[4:5], v[8:9]
.LBB343_3:                              ; =>This Inner Loop Header: Depth=1
	v_lshl_add_u64 v[4:5], s[12:13], 0, v[4:5]
	v_cmp_le_i64_e32 vcc, s[20:21], v[4:5]
	buffer_store_dwordx2 v[2:3], v1, s[4:7], 0 offen
	s_or_b64 s[14:15], vcc, s[14:15]
	v_add_u32_e32 v1, s3, v1
	s_andn2_b64 exec, exec, s[14:15]
	s_cbranch_execnz .LBB343_3
.LBB343_4:
	s_or_b64 exec, exec, s[10:11]
	s_mov_b64 s[10:11], 0
.LBB343_5:
	s_andn2_b64 vcc, exec, s[10:11]
	s_cbranch_vccnz .LBB343_9
; %bb.6:
	v_cmp_gt_i32_e32 vcc, s20, v8
	s_and_saveexec_b64 s[10:11], vcc
	s_cbranch_execz .LBB343_9
; %bb.7:
	s_load_dwordx2 s[12:13], s[0:1], 0x8
	s_load_dwordx2 s[10:11], s[0:1], 0x18
	s_mul_i32 s3, s20, s9
	s_mul_hi_u32 s7, s20, s8
	s_add_i32 s3, s7, s3
	s_mul_i32 s7, s21, s8
	s_add_i32 s9, s3, s7
	s_mul_i32 s8, s20, s8
	s_lshl_b64 s[8:9], s[8:9], 3
	s_waitcnt lgkmcnt(0)
	s_add_u32 s8, s10, s8
	s_load_dword s14, s[0:1], 0x3c
	s_addc_u32 s3, s11, s9
	s_lshl_b64 s[0:1], s[20:21], 2
	s_add_u32 s0, s8, s0
	s_addc_u32 s1, s3, s1
	s_and_b32 s9, s3, 0xffff
	s_mul_i32 s3, s2, s21
	s_mul_hi_u32 s15, s2, s20
	s_add_i32 s3, s15, s3
	s_mul_i32 s2, s2, s20
	s_lshl_b32 s10, s20, 2
	s_and_b32 s1, s1, 0xffff
	s_lshl_b64 s[2:3], s[2:3], 2
	s_add_u32 s12, s12, s2
	s_addc_u32 s13, s13, s3
	s_lshl_b64 s[2:3], s[20:21], 1
	s_add_u32 s16, s12, s2
	s_addc_u32 s2, s13, s3
	s_mov_b32 s7, 0x20000
	s_and_b32 s17, s2, 0xffff
	s_waitcnt lgkmcnt(0)
	s_and_b32 s2, s14, 0xffff
	s_mov_b32 s11, s7
	s_and_b32 s13, s13, 0xffff
	s_mov_b32 s23, 0
	v_mov_b32_e32 v9, 0
	s_lshl_b32 s22, s2, 2
	v_lshlrev_b32_e32 v14, 4, v0
	s_lshl_b32 s26, s2, 4
	v_lshlrev_b32_e32 v15, 3, v0
	s_lshl_b32 s27, s2, 3
	s_mov_b64 s[24:25], 0
	s_mov_b32 s28, 0x3fb8aa3b
	s_mov_b32 s29, 0xc2ce8ed0
	s_mov_b32 s30, 0x42b17218
	v_mov_b32_e32 v16, 0x7f800000
	s_mov_b32 s31, 0xc0e00000
	v_mov_b32_e32 v17, 0x40e00000
	s_mov_b32 s14, s6
	s_mov_b32 s15, s7
	;; [unrolled: 1-line block ×4, first 2 shown]
.LBB343_8:                              ; =>This Inner Loop Header: Depth=1
	buffer_load_dwordx2 v[12:13], v15, s[12:15], 0 offen
	buffer_load_dwordx2 v[10:11], v15, s[16:19], 0 offen
	s_mov_b32 s2, s10
	s_mov_b32 s3, s11
	buffer_load_dwordx4 v[0:3], v14, s[8:11], 0 offen
	buffer_load_dwordx4 v[4:7], v14, s[0:3], 0 offen
	v_lshl_add_u64 v[8:9], s[22:23], 0, v[8:9]
	v_add_u32_e32 v14, s26, v14
	s_waitcnt vmcnt(3)
	v_cvt_f32_f16_e32 v18, v12
	v_cvt_f32_f16_sdwa v19, v12 dst_sel:DWORD dst_unused:UNUSED_PAD src0_sel:WORD_1
	s_waitcnt vmcnt(2)
	v_cvt_f32_f16_e32 v20, v10
	v_cvt_f32_f16_sdwa v21, v10 dst_sel:DWORD dst_unused:UNUSED_PAD src0_sel:WORD_1
	v_cvt_f32_f16_e32 v12, v13
	v_cvt_f32_f16_sdwa v13, v13 dst_sel:DWORD dst_unused:UNUSED_PAD src0_sel:WORD_1
	;; [unrolled: 2-line block ×3, first 2 shown]
	s_waitcnt vmcnt(1)
	v_pk_add_f32 v[0:1], v[0:1], v[18:19]
	v_pk_add_f32 v[2:3], v[2:3], v[12:13]
	v_min_f32_e32 v0, 0x40e00000, v0
	s_waitcnt vmcnt(0)
	v_pk_add_f32 v[6:7], v[6:7], v[10:11]
	v_min_f32_e32 v1, 0x40e00000, v1
	v_mul_f32_e32 v10, 0xbfd9db23, v0
	v_min_f32_e32 v2, 0x40e00000, v2
	v_mul_f32_e32 v11, 0xbfd9db23, v1
	v_mul_f32_e32 v18, 0x3fb8aa3b, v10
	v_min_f32_e32 v3, 0x40e00000, v3
	v_mul_f32_e32 v12, 0xbfd9db23, v2
	v_mul_f32_e32 v19, 0x3fb8aa3b, v11
	v_fma_f32 v22, v10, s28, -v18
	v_rndne_f32_e32 v23, v18
	v_pk_add_f32 v[4:5], v[4:5], v[20:21]
	v_mul_f32_e32 v13, 0xbfd9db23, v3
	v_mul_f32_e32 v20, 0x3fb8aa3b, v12
	v_fma_f32 v24, v11, s28, -v19
	v_rndne_f32_e32 v25, v19
	v_fmac_f32_e32 v22, 0x32a5705f, v10
	v_sub_f32_e32 v18, v18, v23
	v_mul_f32_e32 v21, 0x3fb8aa3b, v13
	v_fma_f32 v26, v12, s28, -v20
	v_rndne_f32_e32 v27, v20
	v_fmac_f32_e32 v24, 0x32a5705f, v11
	v_sub_f32_e32 v19, v19, v25
	v_add_f32_e32 v18, v18, v22
	v_fma_f32 v28, v13, s28, -v21
	v_rndne_f32_e32 v29, v21
	v_cvt_i32_f32_e32 v23, v23
	v_fmac_f32_e32 v26, 0x32a5705f, v12
	v_sub_f32_e32 v20, v20, v27
	v_add_f32_e32 v19, v19, v24
	v_exp_f32_e32 v18, v18
	v_cvt_i32_f32_e32 v25, v25
	v_fmac_f32_e32 v28, 0x32a5705f, v13
	v_sub_f32_e32 v21, v21, v29
	v_add_f32_e32 v20, v20, v26
	v_exp_f32_e32 v19, v19
	v_cvt_i32_f32_e32 v27, v27
	v_add_f32_e32 v21, v21, v28
	v_exp_f32_e32 v20, v20
	v_cvt_i32_f32_e32 v29, v29
	v_exp_f32_e32 v21, v21
	v_ldexp_f32 v18, v18, v23
	v_cmp_ngt_f32_e32 vcc, s29, v10
	v_ldexp_f32 v19, v19, v25
	v_ldexp_f32 v20, v20, v27
	v_cndmask_b32_e32 v18, 0, v18, vcc
	v_cmp_ngt_f32_e32 vcc, s29, v11
	v_ldexp_f32 v21, v21, v29
	v_med3_f32 v5, v5, s31, v17
	v_cndmask_b32_e32 v19, 0, v19, vcc
	v_cmp_ngt_f32_e32 vcc, s29, v12
	v_med3_f32 v4, v4, s31, v17
	v_med3_f32 v7, v7, s31, v17
	v_cndmask_b32_e32 v20, 0, v20, vcc
	v_cmp_ngt_f32_e32 vcc, s29, v13
	v_med3_f32 v6, v6, s31, v17
	v_pk_add_f32 v[4:5], v[4:5], 1.0 op_sel_hi:[1,0]
	v_cndmask_b32_e32 v21, 0, v21, vcc
	v_cmp_nlt_f32_e32 vcc, s30, v10
	v_pk_add_f32 v[6:7], v[6:7], 1.0 op_sel_hi:[1,0]
	s_nop 0
	v_cndmask_b32_e32 v10, v16, v18, vcc
	v_cmp_nlt_f32_e32 vcc, s30, v11
	v_add_f32_e32 v10, 1.0, v10
	v_rcp_f32_e32 v10, v10
	v_cndmask_b32_e32 v11, v16, v19, vcc
	v_cmp_nlt_f32_e32 vcc, s30, v12
	v_add_f32_e32 v11, 1.0, v11
	v_rcp_f32_e32 v11, v11
	;; [unrolled: 4-line block ×3, first 2 shown]
	v_cndmask_b32_e32 v13, v16, v21, vcc
	v_add_f32_e32 v13, 1.0, v13
	v_rcp_f32_e32 v13, v13
	v_pk_mul_f32 v[0:1], v[0:1], v[10:11]
	v_cmp_le_i64_e32 vcc, s[20:21], v[8:9]
	v_pk_mul_f32 v[0:1], v[4:5], v[0:1]
	v_pk_mul_f32 v[2:3], v[2:3], v[12:13]
	v_cvt_f16_f32_e32 v4, v1
	v_pk_mul_f32 v[2:3], v[6:7], v[2:3]
	v_cvt_f16_f32_e32 v0, v0
	v_cvt_f16_f32_e32 v1, v3
	;; [unrolled: 1-line block ×3, first 2 shown]
	s_or_b64 s[24:25], vcc, s[24:25]
	v_pack_b32_f16 v0, v0, v4
	v_pack_b32_f16 v1, v2, v1
	buffer_store_dwordx2 v[0:1], v15, s[4:7], 0 offen
	v_add_u32_e32 v15, s27, v15
	s_andn2_b64 exec, exec, s[24:25]
	s_cbranch_execnz .LBB343_8
.LBB343_9:
	s_endpgm
	.section	.rodata,"a",@progbits
	.p2align	6, 0x0
	.amdhsa_kernel _ZN5aiter30swiglu_act_and_mul_bias_kernelIDF16_DF16_lfLi4EEEvPT0_PKT_PKT1_PKT2_il
		.amdhsa_group_segment_fixed_size 0
		.amdhsa_private_segment_fixed_size 0
		.amdhsa_kernarg_size 304
		.amdhsa_user_sgpr_count 2
		.amdhsa_user_sgpr_dispatch_ptr 0
		.amdhsa_user_sgpr_queue_ptr 0
		.amdhsa_user_sgpr_kernarg_segment_ptr 1
		.amdhsa_user_sgpr_dispatch_id 0
		.amdhsa_user_sgpr_kernarg_preload_length 0
		.amdhsa_user_sgpr_kernarg_preload_offset 0
		.amdhsa_user_sgpr_private_segment_size 0
		.amdhsa_uses_dynamic_stack 0
		.amdhsa_enable_private_segment 0
		.amdhsa_system_sgpr_workgroup_id_x 1
		.amdhsa_system_sgpr_workgroup_id_y 0
		.amdhsa_system_sgpr_workgroup_id_z 0
		.amdhsa_system_sgpr_workgroup_info 0
		.amdhsa_system_vgpr_workitem_id 0
		.amdhsa_next_free_vgpr 30
		.amdhsa_next_free_sgpr 32
		.amdhsa_accum_offset 32
		.amdhsa_reserve_vcc 1
		.amdhsa_float_round_mode_32 0
		.amdhsa_float_round_mode_16_64 0
		.amdhsa_float_denorm_mode_32 3
		.amdhsa_float_denorm_mode_16_64 3
		.amdhsa_dx10_clamp 1
		.amdhsa_ieee_mode 1
		.amdhsa_fp16_overflow 0
		.amdhsa_tg_split 0
		.amdhsa_exception_fp_ieee_invalid_op 0
		.amdhsa_exception_fp_denorm_src 0
		.amdhsa_exception_fp_ieee_div_zero 0
		.amdhsa_exception_fp_ieee_overflow 0
		.amdhsa_exception_fp_ieee_underflow 0
		.amdhsa_exception_fp_ieee_inexact 0
		.amdhsa_exception_int_div_zero 0
	.end_amdhsa_kernel
	.section	.text._ZN5aiter30swiglu_act_and_mul_bias_kernelIDF16_DF16_lfLi4EEEvPT0_PKT_PKT1_PKT2_il,"axG",@progbits,_ZN5aiter30swiglu_act_and_mul_bias_kernelIDF16_DF16_lfLi4EEEvPT0_PKT_PKT1_PKT2_il,comdat
.Lfunc_end343:
	.size	_ZN5aiter30swiglu_act_and_mul_bias_kernelIDF16_DF16_lfLi4EEEvPT0_PKT_PKT1_PKT2_il, .Lfunc_end343-_ZN5aiter30swiglu_act_and_mul_bias_kernelIDF16_DF16_lfLi4EEEvPT0_PKT_PKT1_PKT2_il
                                        ; -- End function
	.section	.AMDGPU.csdata,"",@progbits
; Kernel info:
; codeLenInByte = 1236
; NumSgprs: 38
; NumVgprs: 30
; NumAgprs: 0
; TotalNumVgprs: 30
; ScratchSize: 0
; MemoryBound: 0
; FloatMode: 240
; IeeeMode: 1
; LDSByteSize: 0 bytes/workgroup (compile time only)
; SGPRBlocks: 4
; VGPRBlocks: 3
; NumSGPRsForWavesPerEU: 38
; NumVGPRsForWavesPerEU: 30
; AccumOffset: 32
; Occupancy: 8
; WaveLimiterHint : 0
; COMPUTE_PGM_RSRC2:SCRATCH_EN: 0
; COMPUTE_PGM_RSRC2:USER_SGPR: 2
; COMPUTE_PGM_RSRC2:TRAP_HANDLER: 0
; COMPUTE_PGM_RSRC2:TGID_X_EN: 1
; COMPUTE_PGM_RSRC2:TGID_Y_EN: 0
; COMPUTE_PGM_RSRC2:TGID_Z_EN: 0
; COMPUTE_PGM_RSRC2:TIDIG_COMP_CNT: 0
; COMPUTE_PGM_RSRC3_GFX90A:ACCUM_OFFSET: 7
; COMPUTE_PGM_RSRC3_GFX90A:TG_SPLIT: 0
	.section	.text._ZN5aiter30swiglu_act_and_mul_bias_kernelIDF16_DF16_lfLi2EEEvPT0_PKT_PKT1_PKT2_il,"axG",@progbits,_ZN5aiter30swiglu_act_and_mul_bias_kernelIDF16_DF16_lfLi2EEEvPT0_PKT_PKT1_PKT2_il,comdat
	.protected	_ZN5aiter30swiglu_act_and_mul_bias_kernelIDF16_DF16_lfLi2EEEvPT0_PKT_PKT1_PKT2_il ; -- Begin function _ZN5aiter30swiglu_act_and_mul_bias_kernelIDF16_DF16_lfLi2EEEvPT0_PKT_PKT1_PKT2_il
	.globl	_ZN5aiter30swiglu_act_and_mul_bias_kernelIDF16_DF16_lfLi2EEEvPT0_PKT_PKT1_PKT2_il
	.p2align	8
	.type	_ZN5aiter30swiglu_act_and_mul_bias_kernelIDF16_DF16_lfLi2EEEvPT0_PKT_PKT1_PKT2_il,@function
_ZN5aiter30swiglu_act_and_mul_bias_kernelIDF16_DF16_lfLi2EEEvPT0_PKT_PKT1_PKT2_il: ; @_ZN5aiter30swiglu_act_and_mul_bias_kernelIDF16_DF16_lfLi2EEEvPT0_PKT_PKT1_PKT2_il
; %bb.0:
	s_load_dword s20, s[0:1], 0x20
	s_load_dwordx2 s[4:5], s[0:1], 0x0
	s_load_dwordx2 s[6:7], s[0:1], 0x10
	;; [unrolled: 1-line block ×3, first 2 shown]
	s_mov_b32 s3, 0
	s_waitcnt lgkmcnt(0)
	s_ashr_i32 s21, s20, 31
	s_lshl_b64 s[8:9], s[2:3], 3
	s_add_u32 s6, s6, s8
	s_addc_u32 s7, s7, s9
	s_add_i32 s3, s20, 1
	s_load_dwordx2 s[8:9], s[6:7], 0x0
	s_lshr_b32 s6, s3, 31
	s_add_i32 s3, s3, s6
	s_lshl_b32 s3, s3, 1
	s_and_b32 s6, s3, -4
	s_mul_hi_u32 s3, s20, s2
	s_mul_i32 s7, s21, s2
	s_add_i32 s11, s3, s7
	s_mul_i32 s10, s20, s2
	s_lshl_b64 s[10:11], s[10:11], 1
	v_mov_b64_e32 v[2:3], s[12:13]
	s_add_u32 s4, s4, s10
	s_waitcnt lgkmcnt(0)
	v_cmp_gt_i64_e64 s[14:15], s[8:9], -1
	v_cmp_lt_i64_e32 vcc, s[8:9], v[2:3]
	s_addc_u32 s3, s5, s11
	s_and_b64 s[12:13], s[14:15], vcc
	s_and_b32 s5, s3, 0xffff
	s_mov_b64 s[10:11], -1
	s_and_b64 vcc, exec, s[12:13]
	v_lshlrev_b32_e32 v2, 1, v0
	s_cbranch_vccnz .LBB344_5
; %bb.1:
	v_cmp_gt_i32_e32 vcc, s20, v2
	s_and_saveexec_b64 s[10:11], vcc
	s_cbranch_execz .LBB344_4
; %bb.2:
	s_load_dword s3, s[0:1], 0x3c
	v_mov_b32_e32 v3, 0
	s_mov_b32 s13, 0
	v_lshlrev_b32_e32 v1, 2, v0
	s_mov_b64 s[14:15], 0
	s_waitcnt lgkmcnt(0)
	s_and_b32 s3, s3, 0xffff
	s_lshl_b32 s12, s3, 1
	s_lshl_b32 s3, s3, 2
	s_mov_b32 s7, 0x20000
	v_mov_b64_e32 v[4:5], v[2:3]
.LBB344_3:                              ; =>This Inner Loop Header: Depth=1
	v_lshl_add_u64 v[4:5], s[12:13], 0, v[4:5]
	v_cmp_le_i64_e32 vcc, s[20:21], v[4:5]
	buffer_store_dword v3, v1, s[4:7], 0 offen
	s_or_b64 s[14:15], vcc, s[14:15]
	v_add_u32_e32 v1, s3, v1
	s_andn2_b64 exec, exec, s[14:15]
	s_cbranch_execnz .LBB344_3
.LBB344_4:
	s_or_b64 exec, exec, s[10:11]
	s_mov_b64 s[10:11], 0
.LBB344_5:
	s_andn2_b64 vcc, exec, s[10:11]
	s_cbranch_vccnz .LBB344_9
; %bb.6:
	v_cmp_gt_i32_e32 vcc, s20, v2
	s_and_saveexec_b64 s[10:11], vcc
	s_cbranch_execz .LBB344_9
; %bb.7:
	s_load_dwordx2 s[12:13], s[0:1], 0x8
	s_load_dwordx2 s[10:11], s[0:1], 0x18
	s_mul_i32 s3, s20, s9
	s_mul_hi_u32 s7, s20, s8
	s_add_i32 s3, s7, s3
	s_mul_i32 s7, s21, s8
	s_add_i32 s9, s3, s7
	s_mul_i32 s8, s20, s8
	s_lshl_b64 s[8:9], s[8:9], 3
	s_waitcnt lgkmcnt(0)
	s_add_u32 s8, s10, s8
	s_load_dword s14, s[0:1], 0x3c
	s_addc_u32 s3, s11, s9
	s_lshl_b64 s[0:1], s[20:21], 2
	s_add_u32 s0, s8, s0
	s_addc_u32 s1, s3, s1
	s_and_b32 s9, s3, 0xffff
	s_mul_i32 s3, s2, s21
	s_mul_hi_u32 s15, s2, s20
	s_add_i32 s3, s15, s3
	s_mul_i32 s2, s2, s20
	s_lshl_b32 s10, s20, 2
	s_and_b32 s1, s1, 0xffff
	s_lshl_b64 s[2:3], s[2:3], 2
	s_add_u32 s12, s12, s2
	s_addc_u32 s13, s13, s3
	s_lshl_b64 s[2:3], s[20:21], 1
	s_add_u32 s16, s12, s2
	s_addc_u32 s2, s13, s3
	s_mov_b32 s7, 0x20000
	s_and_b32 s17, s2, 0xffff
	s_waitcnt lgkmcnt(0)
	s_and_b32 s2, s14, 0xffff
	s_mov_b32 s11, s7
	s_and_b32 s13, s13, 0xffff
	s_mov_b32 s23, 0
	v_mov_b32_e32 v3, 0
	s_lshl_b32 s22, s2, 1
	v_lshlrev_b32_e32 v1, 3, v0
	s_lshl_b32 s26, s2, 3
	v_lshlrev_b32_e32 v0, 2, v0
	s_lshl_b32 s27, s2, 2
	s_mov_b64 s[24:25], 0
	s_mov_b32 s28, 0x3fb8aa3b
	s_mov_b32 s29, 0xc2ce8ed0
	;; [unrolled: 1-line block ×3, first 2 shown]
	v_mov_b32_e32 v4, 0x7f800000
	s_mov_b32 s31, 0xc0e00000
	v_mov_b32_e32 v5, 0x40e00000
	s_mov_b32 s14, s6
	s_mov_b32 s15, s7
	;; [unrolled: 1-line block ×4, first 2 shown]
.LBB344_8:                              ; =>This Inner Loop Header: Depth=1
	buffer_load_dword v11, v0, s[12:15], 0 offen
	buffer_load_dword v13, v0, s[16:19], 0 offen
	buffer_load_dwordx2 v[6:7], v1, s[8:11], 0 offen
	s_mov_b32 s2, s10
	s_mov_b32 s3, s11
	buffer_load_dwordx2 v[8:9], v1, s[0:3], 0 offen
	v_lshl_add_u64 v[2:3], s[22:23], 0, v[2:3]
	v_add_u32_e32 v1, s26, v1
	s_waitcnt vmcnt(3)
	v_cvt_f32_f16_e32 v10, v11
	v_cvt_f32_f16_sdwa v11, v11 dst_sel:DWORD dst_unused:UNUSED_PAD src0_sel:WORD_1
	s_waitcnt vmcnt(2)
	v_cvt_f32_f16_e32 v12, v13
	v_cvt_f32_f16_sdwa v13, v13 dst_sel:DWORD dst_unused:UNUSED_PAD src0_sel:WORD_1
	s_waitcnt vmcnt(1)
	v_pk_add_f32 v[6:7], v[6:7], v[10:11]
	s_nop 0
	v_min_f32_e32 v6, 0x40e00000, v6
	v_min_f32_e32 v7, 0x40e00000, v7
	v_mul_f32_e32 v10, 0xbfd9db23, v6
	v_mul_f32_e32 v11, 0xbfd9db23, v7
	;; [unrolled: 1-line block ×4, first 2 shown]
	v_fma_f32 v16, v10, s28, -v14
	v_rndne_f32_e32 v17, v14
	v_fma_f32 v18, v11, s28, -v15
	v_rndne_f32_e32 v19, v15
	v_fmac_f32_e32 v16, 0x32a5705f, v10
	v_sub_f32_e32 v14, v14, v17
	v_fmac_f32_e32 v18, 0x32a5705f, v11
	v_sub_f32_e32 v15, v15, v19
	v_add_f32_e32 v14, v14, v16
	v_cvt_i32_f32_e32 v17, v17
	v_add_f32_e32 v15, v15, v18
	v_exp_f32_e32 v14, v14
	v_cvt_i32_f32_e32 v19, v19
	v_exp_f32_e32 v15, v15
	s_waitcnt vmcnt(0)
	v_pk_add_f32 v[8:9], v[8:9], v[12:13]
	v_ldexp_f32 v12, v14, v17
	v_cmp_ngt_f32_e32 vcc, s29, v10
	v_ldexp_f32 v13, v15, v19
	v_med3_f32 v9, v9, s31, v5
	v_cndmask_b32_e32 v12, 0, v12, vcc
	v_cmp_ngt_f32_e32 vcc, s29, v11
	v_med3_f32 v8, v8, s31, v5
	v_pk_add_f32 v[8:9], v[8:9], 1.0 op_sel_hi:[1,0]
	v_cndmask_b32_e32 v13, 0, v13, vcc
	v_cmp_nlt_f32_e32 vcc, s30, v10
	s_nop 1
	v_cndmask_b32_e32 v10, v4, v12, vcc
	v_cmp_nlt_f32_e32 vcc, s30, v11
	v_add_f32_e32 v10, 1.0, v10
	v_rcp_f32_e32 v10, v10
	v_cndmask_b32_e32 v11, v4, v13, vcc
	v_add_f32_e32 v11, 1.0, v11
	v_rcp_f32_e32 v11, v11
	v_cmp_le_i64_e32 vcc, s[20:21], v[2:3]
	s_or_b64 s[24:25], vcc, s[24:25]
	v_pk_mul_f32 v[6:7], v[6:7], v[10:11]
	s_nop 0
	v_pk_mul_f32 v[6:7], v[8:9], v[6:7]
	s_nop 0
	v_cvt_f16_f32_e32 v7, v7
	v_cvt_f16_f32_e32 v6, v6
	v_pack_b32_f16 v6, v6, v7
	buffer_store_dword v6, v0, s[4:7], 0 offen
	v_add_u32_e32 v0, s27, v0
	s_andn2_b64 exec, exec, s[24:25]
	s_cbranch_execnz .LBB344_8
.LBB344_9:
	s_endpgm
	.section	.rodata,"a",@progbits
	.p2align	6, 0x0
	.amdhsa_kernel _ZN5aiter30swiglu_act_and_mul_bias_kernelIDF16_DF16_lfLi2EEEvPT0_PKT_PKT1_PKT2_il
		.amdhsa_group_segment_fixed_size 0
		.amdhsa_private_segment_fixed_size 0
		.amdhsa_kernarg_size 304
		.amdhsa_user_sgpr_count 2
		.amdhsa_user_sgpr_dispatch_ptr 0
		.amdhsa_user_sgpr_queue_ptr 0
		.amdhsa_user_sgpr_kernarg_segment_ptr 1
		.amdhsa_user_sgpr_dispatch_id 0
		.amdhsa_user_sgpr_kernarg_preload_length 0
		.amdhsa_user_sgpr_kernarg_preload_offset 0
		.amdhsa_user_sgpr_private_segment_size 0
		.amdhsa_uses_dynamic_stack 0
		.amdhsa_enable_private_segment 0
		.amdhsa_system_sgpr_workgroup_id_x 1
		.amdhsa_system_sgpr_workgroup_id_y 0
		.amdhsa_system_sgpr_workgroup_id_z 0
		.amdhsa_system_sgpr_workgroup_info 0
		.amdhsa_system_vgpr_workitem_id 0
		.amdhsa_next_free_vgpr 20
		.amdhsa_next_free_sgpr 32
		.amdhsa_accum_offset 20
		.amdhsa_reserve_vcc 1
		.amdhsa_float_round_mode_32 0
		.amdhsa_float_round_mode_16_64 0
		.amdhsa_float_denorm_mode_32 3
		.amdhsa_float_denorm_mode_16_64 3
		.amdhsa_dx10_clamp 1
		.amdhsa_ieee_mode 1
		.amdhsa_fp16_overflow 0
		.amdhsa_tg_split 0
		.amdhsa_exception_fp_ieee_invalid_op 0
		.amdhsa_exception_fp_denorm_src 0
		.amdhsa_exception_fp_ieee_div_zero 0
		.amdhsa_exception_fp_ieee_overflow 0
		.amdhsa_exception_fp_ieee_underflow 0
		.amdhsa_exception_fp_ieee_inexact 0
		.amdhsa_exception_int_div_zero 0
	.end_amdhsa_kernel
	.section	.text._ZN5aiter30swiglu_act_and_mul_bias_kernelIDF16_DF16_lfLi2EEEvPT0_PKT_PKT1_PKT2_il,"axG",@progbits,_ZN5aiter30swiglu_act_and_mul_bias_kernelIDF16_DF16_lfLi2EEEvPT0_PKT_PKT1_PKT2_il,comdat
.Lfunc_end344:
	.size	_ZN5aiter30swiglu_act_and_mul_bias_kernelIDF16_DF16_lfLi2EEEvPT0_PKT_PKT1_PKT2_il, .Lfunc_end344-_ZN5aiter30swiglu_act_and_mul_bias_kernelIDF16_DF16_lfLi2EEEvPT0_PKT_PKT1_PKT2_il
                                        ; -- End function
	.section	.AMDGPU.csdata,"",@progbits
; Kernel info:
; codeLenInByte = 960
; NumSgprs: 38
; NumVgprs: 20
; NumAgprs: 0
; TotalNumVgprs: 20
; ScratchSize: 0
; MemoryBound: 0
; FloatMode: 240
; IeeeMode: 1
; LDSByteSize: 0 bytes/workgroup (compile time only)
; SGPRBlocks: 4
; VGPRBlocks: 2
; NumSGPRsForWavesPerEU: 38
; NumVGPRsForWavesPerEU: 20
; AccumOffset: 20
; Occupancy: 8
; WaveLimiterHint : 0
; COMPUTE_PGM_RSRC2:SCRATCH_EN: 0
; COMPUTE_PGM_RSRC2:USER_SGPR: 2
; COMPUTE_PGM_RSRC2:TRAP_HANDLER: 0
; COMPUTE_PGM_RSRC2:TGID_X_EN: 1
; COMPUTE_PGM_RSRC2:TGID_Y_EN: 0
; COMPUTE_PGM_RSRC2:TGID_Z_EN: 0
; COMPUTE_PGM_RSRC2:TIDIG_COMP_CNT: 0
; COMPUTE_PGM_RSRC3_GFX90A:ACCUM_OFFSET: 4
; COMPUTE_PGM_RSRC3_GFX90A:TG_SPLIT: 0
	.section	.text._ZN5aiter30swiglu_act_and_mul_bias_kernelIDF16_DF16_lfLi1EEEvPT0_PKT_PKT1_PKT2_il,"axG",@progbits,_ZN5aiter30swiglu_act_and_mul_bias_kernelIDF16_DF16_lfLi1EEEvPT0_PKT_PKT1_PKT2_il,comdat
	.protected	_ZN5aiter30swiglu_act_and_mul_bias_kernelIDF16_DF16_lfLi1EEEvPT0_PKT_PKT1_PKT2_il ; -- Begin function _ZN5aiter30swiglu_act_and_mul_bias_kernelIDF16_DF16_lfLi1EEEvPT0_PKT_PKT1_PKT2_il
	.globl	_ZN5aiter30swiglu_act_and_mul_bias_kernelIDF16_DF16_lfLi1EEEvPT0_PKT_PKT1_PKT2_il
	.p2align	8
	.type	_ZN5aiter30swiglu_act_and_mul_bias_kernelIDF16_DF16_lfLi1EEEvPT0_PKT_PKT1_PKT2_il,@function
_ZN5aiter30swiglu_act_and_mul_bias_kernelIDF16_DF16_lfLi1EEEvPT0_PKT_PKT1_PKT2_il: ; @_ZN5aiter30swiglu_act_and_mul_bias_kernelIDF16_DF16_lfLi1EEEvPT0_PKT_PKT1_PKT2_il
; %bb.0:
	s_load_dword s20, s[0:1], 0x20
	s_load_dwordx2 s[4:5], s[0:1], 0x0
	s_load_dwordx2 s[6:7], s[0:1], 0x10
	;; [unrolled: 1-line block ×3, first 2 shown]
	s_mov_b32 s3, 0
	s_waitcnt lgkmcnt(0)
	s_ashr_i32 s21, s20, 31
	s_lshl_b64 s[8:9], s[2:3], 3
	s_add_u32 s6, s6, s8
	s_addc_u32 s7, s7, s9
	s_add_i32 s3, s20, 1
	s_lshr_b32 s8, s3, 31
	s_add_i32 s3, s3, s8
	s_load_dwordx2 s[6:7], s[6:7], 0x0
	s_lshl_b32 s3, s3, 1
	s_and_b32 s10, s3, -4
	s_mul_hi_u32 s3, s20, s2
	s_mul_i32 s8, s21, s2
	s_add_i32 s9, s3, s8
	s_mul_i32 s8, s20, s2
	s_lshl_b64 s[8:9], s[8:9], 1
	s_add_u32 s8, s4, s8
	v_mov_b64_e32 v[2:3], s[14:15]
	s_addc_u32 s3, s5, s9
	s_waitcnt lgkmcnt(0)
	v_cmp_gt_i64_e64 s[4:5], s[6:7], -1
	v_cmp_lt_i64_e32 vcc, s[6:7], v[2:3]
	s_and_b64 s[4:5], s[4:5], vcc
	s_and_b32 s9, s3, 0xffff
	s_mov_b64 s[12:13], -1
	s_and_b64 vcc, exec, s[4:5]
	v_cmp_gt_i32_e64 s[4:5], s20, v0
	s_cbranch_vccnz .LBB345_5
; %bb.1:
	s_and_saveexec_b64 s[12:13], s[4:5]
	s_cbranch_execz .LBB345_4
; %bb.2:
	s_load_dword s3, s[0:1], 0x3c
	v_mov_b32_e32 v1, 0
	s_mov_b32 s5, 0
	v_lshlrev_b32_e32 v4, 1, v0
	s_mov_b64 s[14:15], 0
	s_waitcnt lgkmcnt(0)
	s_and_b32 s4, s3, 0xffff
	s_lshl_b32 s3, s4, 1
	s_mov_b32 s11, 0x20000
	v_mov_b64_e32 v[2:3], v[0:1]
.LBB345_3:                              ; =>This Inner Loop Header: Depth=1
	v_lshl_add_u64 v[2:3], v[2:3], 0, s[4:5]
	v_cmp_le_i64_e32 vcc, s[20:21], v[2:3]
	buffer_store_short v1, v4, s[8:11], 0 offen
	s_or_b64 s[14:15], vcc, s[14:15]
	v_add_u32_e32 v4, s3, v4
	s_andn2_b64 exec, exec, s[14:15]
	s_cbranch_execnz .LBB345_3
.LBB345_4:
	s_or_b64 exec, exec, s[12:13]
	s_mov_b64 s[12:13], 0
.LBB345_5:
	s_andn2_b64 vcc, exec, s[12:13]
	s_cbranch_vccnz .LBB345_9
; %bb.6:
	v_cmp_gt_i32_e32 vcc, s20, v0
	s_and_saveexec_b64 s[4:5], vcc
	s_cbranch_execz .LBB345_9
; %bb.7:
	s_mul_i32 s3, s20, s7
	s_mul_hi_u32 s4, s20, s6
	s_add_i32 s3, s4, s3
	s_load_dwordx2 s[12:13], s[0:1], 0x8
	s_load_dwordx2 s[4:5], s[0:1], 0x18
	s_mul_i32 s7, s21, s6
	s_add_i32 s7, s3, s7
	s_mul_i32 s6, s20, s6
	s_lshl_b64 s[6:7], s[6:7], 3
	s_waitcnt lgkmcnt(0)
	s_add_u32 s4, s4, s6
	s_load_dword s14, s[0:1], 0x3c
	s_addc_u32 s3, s5, s7
	s_lshl_b64 s[0:1], s[20:21], 2
	s_add_u32 s0, s4, s0
	s_addc_u32 s1, s3, s1
	s_and_b32 s5, s3, 0xffff
	s_mul_i32 s3, s2, s21
	s_mul_hi_u32 s15, s2, s20
	s_add_i32 s3, s15, s3
	s_mul_i32 s2, s2, s20
	s_lshl_b32 s6, s20, 2
	s_and_b32 s1, s1, 0xffff
	s_lshl_b64 s[2:3], s[2:3], 2
	s_add_u32 s12, s12, s2
	s_addc_u32 s13, s13, s3
	s_lshl_b64 s[2:3], s[20:21], 1
	s_add_u32 s16, s12, s2
	s_mov_b32 s11, 0x20000
	s_addc_u32 s2, s13, s3
	s_waitcnt lgkmcnt(0)
	s_and_b32 s22, s14, 0xffff
	s_mov_b32 s7, s11
	s_and_b32 s13, s13, 0xffff
	s_and_b32 s17, s2, 0xffff
	s_mov_b32 s23, 0
	v_mov_b32_e32 v1, 0
	v_lshlrev_b32_e32 v2, 2, v0
	s_lshl_b32 s26, s22, 2
	v_lshlrev_b32_e32 v3, 1, v0
	s_lshl_b32 s27, s22, 1
	s_mov_b64 s[24:25], 0
	s_mov_b32 s28, 0x3fb8aa3b
	s_mov_b32 s29, 0xc2ce8ed0
	;; [unrolled: 1-line block ×3, first 2 shown]
	v_mov_b32_e32 v4, 0x7f800000
	s_mov_b32 s14, s10
	s_mov_b32 s15, s11
	;; [unrolled: 1-line block ×4, first 2 shown]
.LBB345_8:                              ; =>This Inner Loop Header: Depth=1
	buffer_load_ushort v5, v3, s[12:15], 0 offen
	buffer_load_ushort v6, v3, s[16:19], 0 offen
	buffer_load_dword v7, v2, s[4:7], 0 offen
	s_mov_b32 s2, s6
	s_mov_b32 s3, s7
	buffer_load_dword v8, v2, s[0:3], 0 offen
	v_lshl_add_u64 v[0:1], v[0:1], 0, s[22:23]
	v_cmp_le_i64_e32 vcc, s[20:21], v[0:1]
	s_or_b64 s[24:25], vcc, s[24:25]
	v_add_u32_e32 v2, s26, v2
	s_waitcnt vmcnt(3)
	v_cvt_f32_f16_e32 v5, v5
	s_waitcnt vmcnt(2)
	v_cvt_f32_f16_e32 v6, v6
	s_waitcnt vmcnt(1)
	v_add_f32_e32 v5, v5, v7
	v_min_f32_e32 v5, 0x40e00000, v5
	v_mul_f32_e32 v7, 0xbfd9db23, v5
	v_mul_f32_e32 v9, 0x3fb8aa3b, v7
	v_fma_f32 v10, v7, s28, -v9
	v_rndne_f32_e32 v11, v9
	v_fmac_f32_e32 v10, 0x32a5705f, v7
	v_sub_f32_e32 v9, v9, v11
	v_add_f32_e32 v9, v9, v10
	v_cvt_i32_f32_e32 v11, v11
	v_exp_f32_e32 v9, v9
	s_waitcnt vmcnt(0)
	v_add_f32_e32 v6, v6, v8
	v_cmp_ngt_f32_e32 vcc, s29, v7
	v_max_f32_e32 v6, 0xc0e00000, v6
	v_ldexp_f32 v8, v9, v11
	v_cndmask_b32_e32 v8, 0, v8, vcc
	v_cmp_nlt_f32_e32 vcc, s30, v7
	v_min_f32_e32 v6, 0x40e00000, v6
	v_add_f32_e32 v6, 1.0, v6
	v_cndmask_b32_e32 v7, v4, v8, vcc
	v_add_f32_e32 v7, 1.0, v7
	v_rcp_f32_e32 v7, v7
	s_nop 0
	v_mul_f32_e32 v5, v5, v7
	v_fma_mixlo_f16 v5, v6, v5, 0
	buffer_store_short v5, v3, s[8:11], 0 offen
	v_add_u32_e32 v3, s27, v3
	s_andn2_b64 exec, exec, s[24:25]
	s_cbranch_execnz .LBB345_8
.LBB345_9:
	s_endpgm
	.section	.rodata,"a",@progbits
	.p2align	6, 0x0
	.amdhsa_kernel _ZN5aiter30swiglu_act_and_mul_bias_kernelIDF16_DF16_lfLi1EEEvPT0_PKT_PKT1_PKT2_il
		.amdhsa_group_segment_fixed_size 0
		.amdhsa_private_segment_fixed_size 0
		.amdhsa_kernarg_size 304
		.amdhsa_user_sgpr_count 2
		.amdhsa_user_sgpr_dispatch_ptr 0
		.amdhsa_user_sgpr_queue_ptr 0
		.amdhsa_user_sgpr_kernarg_segment_ptr 1
		.amdhsa_user_sgpr_dispatch_id 0
		.amdhsa_user_sgpr_kernarg_preload_length 0
		.amdhsa_user_sgpr_kernarg_preload_offset 0
		.amdhsa_user_sgpr_private_segment_size 0
		.amdhsa_uses_dynamic_stack 0
		.amdhsa_enable_private_segment 0
		.amdhsa_system_sgpr_workgroup_id_x 1
		.amdhsa_system_sgpr_workgroup_id_y 0
		.amdhsa_system_sgpr_workgroup_id_z 0
		.amdhsa_system_sgpr_workgroup_info 0
		.amdhsa_system_vgpr_workitem_id 0
		.amdhsa_next_free_vgpr 12
		.amdhsa_next_free_sgpr 31
		.amdhsa_accum_offset 12
		.amdhsa_reserve_vcc 1
		.amdhsa_float_round_mode_32 0
		.amdhsa_float_round_mode_16_64 0
		.amdhsa_float_denorm_mode_32 3
		.amdhsa_float_denorm_mode_16_64 3
		.amdhsa_dx10_clamp 1
		.amdhsa_ieee_mode 1
		.amdhsa_fp16_overflow 0
		.amdhsa_tg_split 0
		.amdhsa_exception_fp_ieee_invalid_op 0
		.amdhsa_exception_fp_denorm_src 0
		.amdhsa_exception_fp_ieee_div_zero 0
		.amdhsa_exception_fp_ieee_overflow 0
		.amdhsa_exception_fp_ieee_underflow 0
		.amdhsa_exception_fp_ieee_inexact 0
		.amdhsa_exception_int_div_zero 0
	.end_amdhsa_kernel
	.section	.text._ZN5aiter30swiglu_act_and_mul_bias_kernelIDF16_DF16_lfLi1EEEvPT0_PKT_PKT1_PKT2_il,"axG",@progbits,_ZN5aiter30swiglu_act_and_mul_bias_kernelIDF16_DF16_lfLi1EEEvPT0_PKT_PKT1_PKT2_il,comdat
.Lfunc_end345:
	.size	_ZN5aiter30swiglu_act_and_mul_bias_kernelIDF16_DF16_lfLi1EEEvPT0_PKT_PKT1_PKT2_il, .Lfunc_end345-_ZN5aiter30swiglu_act_and_mul_bias_kernelIDF16_DF16_lfLi1EEEvPT0_PKT_PKT1_PKT2_il
                                        ; -- End function
	.section	.AMDGPU.csdata,"",@progbits
; Kernel info:
; codeLenInByte = 784
; NumSgprs: 37
; NumVgprs: 12
; NumAgprs: 0
; TotalNumVgprs: 12
; ScratchSize: 0
; MemoryBound: 0
; FloatMode: 240
; IeeeMode: 1
; LDSByteSize: 0 bytes/workgroup (compile time only)
; SGPRBlocks: 4
; VGPRBlocks: 1
; NumSGPRsForWavesPerEU: 37
; NumVGPRsForWavesPerEU: 12
; AccumOffset: 12
; Occupancy: 8
; WaveLimiterHint : 0
; COMPUTE_PGM_RSRC2:SCRATCH_EN: 0
; COMPUTE_PGM_RSRC2:USER_SGPR: 2
; COMPUTE_PGM_RSRC2:TRAP_HANDLER: 0
; COMPUTE_PGM_RSRC2:TGID_X_EN: 1
; COMPUTE_PGM_RSRC2:TGID_Y_EN: 0
; COMPUTE_PGM_RSRC2:TGID_Z_EN: 0
; COMPUTE_PGM_RSRC2:TIDIG_COMP_CNT: 0
; COMPUTE_PGM_RSRC3_GFX90A:ACCUM_OFFSET: 2
; COMPUTE_PGM_RSRC3_GFX90A:TG_SPLIT: 0
	.section	.text._ZN5aiter30swiglu_act_and_mul_bias_kernelIttlfLi32EEEvPT0_PKT_PKT1_PKT2_il,"axG",@progbits,_ZN5aiter30swiglu_act_and_mul_bias_kernelIttlfLi32EEEvPT0_PKT_PKT1_PKT2_il,comdat
	.protected	_ZN5aiter30swiglu_act_and_mul_bias_kernelIttlfLi32EEEvPT0_PKT_PKT1_PKT2_il ; -- Begin function _ZN5aiter30swiglu_act_and_mul_bias_kernelIttlfLi32EEEvPT0_PKT_PKT1_PKT2_il
	.globl	_ZN5aiter30swiglu_act_and_mul_bias_kernelIttlfLi32EEEvPT0_PKT_PKT1_PKT2_il
	.p2align	8
	.type	_ZN5aiter30swiglu_act_and_mul_bias_kernelIttlfLi32EEEvPT0_PKT_PKT1_PKT2_il,@function
_ZN5aiter30swiglu_act_and_mul_bias_kernelIttlfLi32EEEvPT0_PKT_PKT1_PKT2_il: ; @_ZN5aiter30swiglu_act_and_mul_bias_kernelIttlfLi32EEEvPT0_PKT_PKT1_PKT2_il
; %bb.0:
	s_load_dword s6, s[0:1], 0x20
	s_load_dwordx2 s[8:9], s[0:1], 0x0
	s_load_dwordx2 s[4:5], s[0:1], 0x10
	;; [unrolled: 1-line block ×3, first 2 shown]
	s_mov_b32 s3, 0
	s_waitcnt lgkmcnt(0)
	s_ashr_i32 s7, s6, 31
	s_lshl_b64 s[10:11], s[2:3], 3
	s_add_u32 s4, s4, s10
	s_addc_u32 s5, s5, s11
	s_add_i32 s3, s6, 1
	s_lshr_b32 s10, s3, 31
	s_load_dwordx2 s[4:5], s[4:5], 0x0
	s_add_i32 s3, s3, s10
	s_lshl_b32 s3, s3, 1
	s_and_b32 s10, s3, -4
	s_mul_hi_u32 s3, s6, s2
	s_mul_i32 s11, s7, s2
	s_add_i32 s13, s3, s11
	s_mul_i32 s12, s6, s2
	s_lshl_b64 s[12:13], s[12:13], 1
	v_mov_b64_e32 v[2:3], s[14:15]
	s_add_u32 s8, s8, s12
	s_waitcnt lgkmcnt(0)
	v_cmp_gt_i64_e64 s[16:17], s[4:5], -1
	v_cmp_lt_i64_e32 vcc, s[4:5], v[2:3]
	s_addc_u32 s3, s9, s13
	s_and_b64 s[14:15], s[16:17], vcc
	s_and_b32 s9, s3, 0xffff
	s_mov_b64 s[12:13], -1
	s_and_b64 vcc, exec, s[14:15]
	v_lshlrev_b32_e32 v20, 5, v0
	s_cbranch_vccnz .LBB346_5
; %bb.1:
	v_cmp_gt_i32_e32 vcc, s6, v20
	s_and_saveexec_b64 s[12:13], vcc
	s_cbranch_execz .LBB346_4
; %bb.2:
	s_load_dword s3, s[0:1], 0x3c
	s_mov_b32 s15, 0
	s_mov_b32 s20, s15
	s_mov_b32 s21, s15
	v_mov_b32_e32 v21, 0
	s_waitcnt lgkmcnt(0)
	s_and_b32 s3, s3, 0xffff
	s_mov_b32 s22, s15
	s_mov_b32 s23, s15
	v_mov_b64_e32 v[2:3], s[20:21]
	v_lshlrev_b32_e32 v1, 6, v0
	s_lshl_b32 s14, s3, 5
	s_lshl_b32 s3, s3, 6
	s_mov_b64 s[16:17], 0
	s_mov_b32 s11, 0x20000
	v_mov_b64_e32 v[4:5], s[22:23]
	v_mov_b64_e32 v[6:7], v[20:21]
.LBB346_3:                              ; =>This Inner Loop Header: Depth=1
	v_lshl_add_u64 v[6:7], s[14:15], 0, v[6:7]
	v_cmp_le_i64_e32 vcc, s[6:7], v[6:7]
	buffer_store_dwordx4 v[2:5], v1, s[8:11], 0 offen
	buffer_store_dwordx4 v[2:5], v1, s[8:11], 16 offen
	;; [unrolled: 1-line block ×4, first 2 shown]
	s_or_b64 s[16:17], vcc, s[16:17]
	v_add_u32_e32 v1, s3, v1
	s_andn2_b64 exec, exec, s[16:17]
	s_cbranch_execnz .LBB346_3
.LBB346_4:
	s_or_b64 exec, exec, s[12:13]
	s_mov_b64 s[12:13], 0
.LBB346_5:
	s_andn2_b64 vcc, exec, s[12:13]
	s_cbranch_vccnz .LBB346_9
; %bb.6:
	v_cmp_gt_i32_e32 vcc, s6, v20
	s_and_saveexec_b64 s[12:13], vcc
	s_cbranch_execz .LBB346_9
; %bb.7:
	s_load_dwordx2 s[18:19], s[0:1], 0x8
	s_load_dwordx2 s[12:13], s[0:1], 0x18
	s_mul_i32 s3, s6, s5
	s_mul_hi_u32 s5, s6, s4
	s_add_i32 s3, s5, s3
	s_mul_i32 s5, s7, s4
	s_add_i32 s5, s3, s5
	s_mul_i32 s4, s6, s4
	s_lshl_b64 s[4:5], s[4:5], 3
	s_waitcnt lgkmcnt(0)
	s_add_u32 s12, s12, s4
	s_load_dword s3, s[0:1], 0x3c
	s_addc_u32 s4, s13, s5
	s_lshl_b64 s[0:1], s[6:7], 2
	s_add_u32 s16, s12, s0
	s_addc_u32 s0, s4, s1
	s_and_b32 s17, s0, 0xffff
	s_mul_i32 s0, s2, s7
	s_mul_hi_u32 s1, s2, s6
	s_add_i32 s1, s1, s0
	s_mul_i32 s0, s2, s6
	s_lshl_b32 s14, s6, 2
	s_and_b32 s13, s4, 0xffff
	s_lshl_b64 s[0:1], s[0:1], 2
	s_add_u32 s20, s18, s0
	s_addc_u32 s2, s19, s1
	s_lshl_b64 s[0:1], s[6:7], 1
	s_add_u32 s24, s20, s0
	s_addc_u32 s0, s2, s1
	s_mov_b32 s11, 0x20000
	s_and_b32 s25, s0, 0xffff
	s_waitcnt lgkmcnt(0)
	s_and_b32 s0, s3, 0xffff
	s_mov_b32 s15, s11
	s_and_b32 s21, s2, 0xffff
	s_mov_b64 s[26:27], s[10:11]
	s_mov_b32 s29, 0
	v_mov_b32_e32 v21, 0
	s_lshl_b32 s28, s0, 5
	v_lshlrev_b32_e32 v52, 7, v0
	s_lshl_b32 s33, s0, 7
	v_lshlrev_b32_e32 v53, 6, v0
	s_lshl_b32 s34, s0, 6
	s_mov_b64 s[30:31], 0
	s_movk_i32 s35, 0x50
	s_movk_i32 s36, 0x60
	s_movk_i32 s37, 0x70
	s_mov_b32 s38, 0x3fb8aa3b
	s_mov_b32 s39, 0xc2ce8ed0
	;; [unrolled: 1-line block ×3, first 2 shown]
	v_mov_b32_e32 v54, 0x7f800000
	s_mov_b32 s41, 0xc0e00000
	v_mov_b32_e32 v55, 0x40e00000
	s_mov_b32 s42, 0x7060302
	s_mov_b32 s22, s10
	;; [unrolled: 1-line block ×3, first 2 shown]
.LBB346_8:                              ; =>This Inner Loop Header: Depth=1
	buffer_load_dwordx4 v[16:19], v53, s[20:23], 0 offen
	buffer_load_dwordx4 v[12:15], v53, s[20:23], 16 offen
	;; [unrolled: 1-line block ×5, first 2 shown]
	s_mov_b32 s18, s14
	s_mov_b32 s19, s15
	v_lshl_add_u64 v[20:21], s[28:29], 0, v[20:21]
	s_waitcnt vmcnt(4)
	v_and_b32_e32 v23, 0xffff0000, v16
	v_lshlrev_b32_e32 v22, 16, v16
	v_and_b32_e32 v25, 0xffff0000, v17
	v_lshlrev_b32_e32 v24, 16, v17
	s_waitcnt vmcnt(0)
	v_and_b32_e32 v45, 0xffff0000, v2
	v_lshlrev_b32_e32 v44, 16, v2
	v_and_b32_e32 v49, 0xffff0000, v0
	v_lshlrev_b32_e32 v48, 16, v0
	;; [unrolled: 2-line block ×4, first 2 shown]
	buffer_load_dwordx4 v[0:3], v52, s[12:15], 0 offen
	v_and_b32_e32 v17, 0xffff0000, v18
	v_lshlrev_b32_e32 v16, 16, v18
	v_and_b32_e32 v27, 0xffff0000, v19
	v_lshlrev_b32_e32 v26, 16, v19
	;; [unrolled: 2-line block ×14, first 2 shown]
	s_waitcnt vmcnt(0)
	v_pk_add_f32 v[58:59], v[0:1], v[22:23]
	v_pk_add_f32 v[42:43], v[2:3], v[24:25]
	buffer_load_dwordx4 v[0:3], v52, s[12:15], 16 offen
	s_waitcnt vmcnt(0)
	v_pk_add_f32 v[24:25], v[0:1], v[16:17]
	v_pk_add_f32 v[22:23], v[2:3], v[26:27]
	buffer_load_dwordx4 v[0:3], v52, s[12:15], 32 offen
	s_waitcnt vmcnt(0)
	v_pk_add_f32 v[18:19], v[0:1], v[18:19]
	v_pk_add_f32 v[0:1], v[2:3], v[28:29]
	buffer_load_dwordx4 v[26:29], v52, s[12:15], 48 offen
	s_waitcnt vmcnt(0)
	v_pk_add_f32 v[36:37], v[26:27], v[12:13]
	v_pk_add_f32 v[2:3], v[28:29], v[30:31]
	buffer_load_dwordx4 v[26:29], v52, s[12:15], 64 offen
	s_waitcnt vmcnt(0)
	v_pk_add_f32 v[38:39], v[26:27], v[14:15]
	buffer_load_dwordx4 v[14:17], v52, s[12:15], s35 offen
	v_pk_add_f32 v[32:33], v[28:29], v[32:33]
	buffer_load_dwordx4 v[26:29], v52, s[16:19], 0 offen
	s_waitcnt vmcnt(1)
	v_pk_add_f32 v[14:15], v[14:15], v[8:9]
	buffer_load_dwordx4 v[6:9], v52, s[12:15], s36 offen
	v_pk_add_f32 v[12:13], v[16:17], v[34:35]
	s_waitcnt vmcnt(1)
	v_pk_add_f32 v[34:35], v[28:29], v[56:57]
	s_waitcnt vmcnt(0)
	v_pk_add_f32 v[16:17], v[6:7], v[10:11]
	v_pk_add_f32 v[10:11], v[8:9], v[40:41]
	buffer_load_dwordx4 v[6:9], v52, s[12:15], s37 offen
	v_pk_add_f32 v[40:41], v[26:27], v[48:49]
	buffer_load_dwordx4 v[26:29], v52, s[16:19], 16 offen
	v_min_f32_e32 v10, 0x40e00000, v10
	v_min_f32_e32 v11, 0x40e00000, v11
	s_waitcnt vmcnt(1)
	v_pk_add_f32 v[6:7], v[6:7], v[4:5]
	v_pk_add_f32 v[4:5], v[8:9], v[46:47]
	s_waitcnt vmcnt(0)
	v_pk_add_f32 v[48:49], v[26:27], v[44:45]
	v_min_f32_e32 v44, 0x40e00000, v58
	v_mul_f32_e32 v8, 0xbfd9db23, v44
	v_min_f32_e32 v45, 0x40e00000, v59
	v_mul_f32_e32 v26, 0x3fb8aa3b, v8
	v_pk_add_f32 v[50:51], v[28:29], v[50:51]
	v_mul_f32_e32 v9, 0xbfd9db23, v45
	v_fma_f32 v28, v8, s38, -v26
	v_rndne_f32_e32 v29, v26
	v_mul_f32_e32 v27, 0x3fb8aa3b, v9
	v_fmac_f32_e32 v28, 0x32a5705f, v8
	v_sub_f32_e32 v26, v26, v29
	v_add_f32_e32 v26, v26, v28
	v_fma_f32 v28, v9, s38, -v27
	v_rndne_f32_e32 v30, v27
	v_fmac_f32_e32 v28, 0x32a5705f, v9
	v_sub_f32_e32 v27, v27, v30
	v_add_f32_e32 v27, v27, v28
	v_exp_f32_e32 v26, v26
	v_cvt_i32_f32_e32 v28, v29
	v_exp_f32_e32 v27, v27
	v_cvt_i32_f32_e32 v29, v30
	v_cmp_ngt_f32_e32 vcc, s39, v8
	v_ldexp_f32 v26, v26, v28
	v_min_f32_e32 v28, 0x40e00000, v42
	v_mul_f32_e32 v30, 0xbfd9db23, v28
	v_mul_f32_e32 v31, 0x3fb8aa3b, v30
	v_ldexp_f32 v27, v27, v29
	v_min_f32_e32 v29, 0x40e00000, v43
	v_fma_f32 v42, v30, s38, -v31
	v_rndne_f32_e32 v43, v31
	v_cndmask_b32_e32 v26, 0, v26, vcc
	v_cmp_nlt_f32_e32 vcc, s40, v8
	v_fmac_f32_e32 v42, 0x32a5705f, v30
	v_sub_f32_e32 v31, v31, v43
	v_cndmask_b32_e32 v8, v54, v26, vcc
	v_add_f32_e32 v31, v31, v42
	v_add_f32_e32 v8, 1.0, v8
	v_cmp_ngt_f32_e32 vcc, s39, v9
	v_rcp_f32_e32 v46, v8
	v_exp_f32_e32 v8, v31
	v_cndmask_b32_e32 v26, 0, v27, vcc
	v_cmp_nlt_f32_e32 vcc, s40, v9
	v_cvt_i32_f32_e32 v9, v43
	v_min_f32_e32 v6, 0x40e00000, v6
	v_cndmask_b32_e32 v26, v54, v26, vcc
	v_add_f32_e32 v26, 1.0, v26
	v_ldexp_f32 v8, v8, v9
	v_mul_f32_e32 v9, 0xbfd9db23, v29
	v_rcp_f32_e32 v47, v26
	v_mul_f32_e32 v26, 0x3fb8aa3b, v9
	v_fma_f32 v27, v9, s38, -v26
	v_rndne_f32_e32 v31, v26
	v_fmac_f32_e32 v27, 0x32a5705f, v9
	v_sub_f32_e32 v26, v26, v31
	v_add_f32_e32 v26, v26, v27
	v_exp_f32_e32 v26, v26
	v_cvt_i32_f32_e32 v27, v31
	v_cmp_ngt_f32_e32 vcc, s39, v30
	v_min_f32_e32 v31, 0x40e00000, v23
	v_min_f32_e32 v23, 0x40e00000, v1
	v_cndmask_b32_e32 v8, 0, v8, vcc
	v_cmp_nlt_f32_e32 vcc, s40, v30
	v_ldexp_f32 v26, v26, v27
	v_min_f32_e32 v30, 0x40e00000, v22
	v_cndmask_b32_e32 v8, v54, v8, vcc
	v_add_f32_e32 v8, 1.0, v8
	v_cmp_ngt_f32_e32 vcc, s39, v9
	v_rcp_f32_e32 v42, v8
	v_min_f32_e32 v22, 0x40e00000, v0
	v_cndmask_b32_e32 v8, 0, v26, vcc
	v_min_f32_e32 v26, 0x40e00000, v24
	v_mul_f32_e32 v56, 0xbfd9db23, v26
	v_min_f32_e32 v0, 0x40e00000, v32
	v_med3_f32 v32, v34, s41, v55
	v_med3_f32 v34, v40, s41, v55
	v_mul_f32_e32 v40, 0x3fb8aa3b, v56
	v_min_f32_e32 v24, 0x40e00000, v18
	v_min_f32_e32 v18, 0x40e00000, v36
	;; [unrolled: 1-line block ×3, first 2 shown]
	v_med3_f32 v33, v35, s41, v55
	v_med3_f32 v35, v41, s41, v55
	;; [unrolled: 1-line block ×3, first 2 shown]
	v_fma_f32 v41, v56, s38, -v40
	v_rndne_f32_e32 v48, v40
	v_min_f32_e32 v27, 0x40e00000, v25
	v_fmac_f32_e32 v41, 0x32a5705f, v56
	v_sub_f32_e32 v40, v40, v48
	v_min_f32_e32 v25, 0x40e00000, v19
	v_min_f32_e32 v19, 0x40e00000, v37
	v_med3_f32 v37, v49, s41, v55
	v_add_f32_e32 v49, v40, v41
	v_pk_mul_f32 v[40:41], v[44:45], v[46:47]
	v_mul_f32_e32 v44, 0xbfd9db23, v27
	v_mul_f32_e32 v45, 0x3fb8aa3b, v44
	v_fma_f32 v46, v44, s38, -v45
	v_rndne_f32_e32 v47, v45
	v_fmac_f32_e32 v46, 0x32a5705f, v44
	v_sub_f32_e32 v45, v45, v47
	v_add_f32_e32 v45, v45, v46
	v_exp_f32_e32 v45, v45
	v_cvt_i32_f32_e32 v47, v47
	v_exp_f32_e32 v46, v49
	v_cvt_i32_f32_e32 v48, v48
	v_cmp_nlt_f32_e32 vcc, s40, v9
	v_ldexp_f32 v45, v45, v47
	v_mul_f32_e32 v47, 0xbfd9db23, v30
	v_cndmask_b32_e32 v8, v54, v8, vcc
	v_add_f32_e32 v8, 1.0, v8
	v_ldexp_f32 v46, v46, v48
	v_mul_f32_e32 v48, 0x3fb8aa3b, v47
	v_cmp_ngt_f32_e32 vcc, s39, v56
	v_cmp_ngt_f32_e64 s[2:3], s39, v44
	v_rcp_f32_e32 v43, v8
	v_min_f32_e32 v8, 0x40e00000, v2
	v_min_f32_e32 v2, 0x40e00000, v38
	v_med3_f32 v38, v50, s41, v55
	v_fma_f32 v49, v47, s38, -v48
	v_rndne_f32_e32 v50, v48
	v_cmp_nlt_f32_e64 s[0:1], s40, v56
	v_cmp_nlt_f32_e64 s[4:5], s40, v44
	v_cndmask_b32_e32 v44, 0, v46, vcc
	v_cndmask_b32_e64 v45, 0, v45, s[2:3]
	v_fmac_f32_e32 v49, 0x32a5705f, v47
	v_sub_f32_e32 v48, v48, v50
	v_cndmask_b32_e64 v44, v54, v44, s[0:1]
	v_cndmask_b32_e64 v45, v54, v45, s[4:5]
	v_min_f32_e32 v9, 0x40e00000, v3
	v_min_f32_e32 v3, 0x40e00000, v39
	v_med3_f32 v39, v51, s41, v55
	v_add_f32_e32 v51, v48, v49
	v_add_f32_e32 v44, 1.0, v44
	v_add_f32_e32 v45, 1.0, v45
	v_rcp_f32_e32 v48, v44
	v_rcp_f32_e32 v49, v45
	v_exp_f32_e32 v44, v51
	v_cvt_i32_f32_e32 v45, v50
	v_cmp_ngt_f32_e32 vcc, s39, v47
	v_cmp_nlt_f32_e64 s[0:1], s40, v47
	v_pk_add_f32 v[32:33], v[32:33], 1.0 op_sel_hi:[1,0]
	v_ldexp_f32 v44, v44, v45
	v_mul_f32_e32 v45, 0xbfd9db23, v31
	v_mul_f32_e32 v46, 0x3fb8aa3b, v45
	v_fma_f32 v50, v45, s38, -v46
	v_rndne_f32_e32 v51, v46
	v_fmac_f32_e32 v50, 0x32a5705f, v45
	v_sub_f32_e32 v46, v46, v51
	v_add_f32_e32 v46, v46, v50
	v_exp_f32_e32 v46, v46
	v_cvt_i32_f32_e32 v47, v51
	v_cndmask_b32_e32 v44, 0, v44, vcc
	v_cndmask_b32_e64 v44, v54, v44, s[0:1]
	v_add_f32_e32 v44, 1.0, v44
	v_ldexp_f32 v47, v46, v47
	v_cmp_ngt_f32_e32 vcc, s39, v45
	v_cmp_nlt_f32_e64 s[0:1], s40, v45
	v_rcp_f32_e32 v46, v44
	v_cndmask_b32_e32 v44, 0, v47, vcc
	v_cndmask_b32_e64 v44, v54, v44, s[0:1]
	v_add_f32_e32 v44, 1.0, v44
	v_mul_f32_e32 v50, 0xbfd9db23, v24
	v_rcp_f32_e32 v47, v44
	v_pk_mul_f32 v[44:45], v[28:29], v[42:43]
	v_mul_f32_e32 v28, 0x3fb8aa3b, v50
	v_fma_f32 v29, v50, s38, -v28
	v_rndne_f32_e32 v42, v28
	v_fmac_f32_e32 v29, 0x32a5705f, v50
	v_sub_f32_e32 v28, v28, v42
	v_add_f32_e32 v28, v28, v29
	v_exp_f32_e32 v28, v28
	v_cvt_i32_f32_e32 v29, v42
	v_pk_mul_f32 v[46:47], v[30:31], v[46:47]
	v_pk_mul_f32 v[44:45], v[32:33], v[44:45]
	v_pk_add_f32 v[38:39], v[38:39], 1.0 op_sel_hi:[1,0]
	v_ldexp_f32 v28, v28, v29
	v_mul_f32_e32 v29, 0xbfd9db23, v25
	v_mul_f32_e32 v42, 0x3fb8aa3b, v29
	v_fma_f32 v43, v29, s38, -v42
	v_rndne_f32_e32 v51, v42
	v_fmac_f32_e32 v43, 0x32a5705f, v29
	v_sub_f32_e32 v42, v42, v51
	v_add_f32_e32 v42, v42, v43
	v_exp_f32_e32 v42, v42
	v_cvt_i32_f32_e32 v43, v51
	v_cmp_ngt_f32_e32 vcc, s39, v29
	v_cmp_nlt_f32_e64 s[0:1], s40, v29
	v_pk_mul_f32 v[38:39], v[38:39], v[46:47]
	v_ldexp_f32 v42, v42, v43
	v_cndmask_b32_e32 v29, 0, v42, vcc
	v_cmp_ngt_f32_e32 vcc, s39, v50
	v_pk_mul_f32 v[42:43], v[26:27], v[48:49]
	v_cndmask_b32_e64 v29, v54, v29, s[0:1]
	v_cndmask_b32_e32 v28, 0, v28, vcc
	v_cmp_nlt_f32_e32 vcc, s40, v50
	v_mul_f32_e32 v50, 0xbfd9db23, v22
	v_mul_f32_e32 v26, 0x3fb8aa3b, v50
	v_fma_f32 v27, v50, s38, -v26
	v_rndne_f32_e32 v48, v26
	v_fmac_f32_e32 v27, 0x32a5705f, v50
	v_sub_f32_e32 v26, v26, v48
	v_add_f32_e32 v26, v26, v27
	v_exp_f32_e32 v26, v26
	v_cvt_i32_f32_e32 v27, v48
	v_cndmask_b32_e32 v28, v54, v28, vcc
	v_pk_add_f32 v[36:37], v[36:37], 1.0 op_sel_hi:[1,0]
	v_pk_add_f32 v[34:35], v[34:35], 1.0 op_sel_hi:[1,0]
	v_ldexp_f32 v26, v26, v27
	v_mul_f32_e32 v27, 0xbfd9db23, v23
	v_mul_f32_e32 v48, 0x3fb8aa3b, v27
	v_fma_f32 v49, v27, s38, -v48
	v_rndne_f32_e32 v51, v48
	v_fmac_f32_e32 v49, 0x32a5705f, v27
	v_sub_f32_e32 v48, v48, v51
	v_add_f32_e32 v48, v48, v49
	v_exp_f32_e32 v48, v48
	v_cvt_i32_f32_e32 v49, v51
	v_cmp_ngt_f32_e32 vcc, s39, v27
	v_cmp_nlt_f32_e64 s[0:1], s40, v27
	v_pk_mul_f32 v[42:43], v[36:37], v[42:43]
	v_ldexp_f32 v48, v48, v49
	v_cndmask_b32_e32 v27, 0, v48, vcc
	v_mul_f32_e32 v48, 0xbfd9db23, v18
	v_mul_f32_e32 v30, 0x3fb8aa3b, v48
	v_fma_f32 v31, v48, s38, -v30
	v_rndne_f32_e32 v49, v30
	v_fmac_f32_e32 v31, 0x32a5705f, v48
	v_sub_f32_e32 v30, v30, v49
	v_add_f32_e32 v30, v30, v31
	v_exp_f32_e32 v30, v30
	v_cvt_i32_f32_e32 v31, v49
	v_cmp_ngt_f32_e32 vcc, s39, v50
	v_cndmask_b32_e64 v27, v54, v27, s[0:1]
	v_perm_b32 v37, v39, v38, s42
	v_ldexp_f32 v30, v30, v31
	v_mul_f32_e32 v31, 0xbfd9db23, v19
	v_mul_f32_e32 v49, 0x3fb8aa3b, v31
	v_cndmask_b32_e32 v26, 0, v26, vcc
	v_cmp_nlt_f32_e32 vcc, s40, v50
	v_fma_f32 v50, v31, s38, -v49
	v_rndne_f32_e32 v51, v49
	v_fmac_f32_e32 v50, 0x32a5705f, v31
	v_sub_f32_e32 v49, v49, v51
	v_add_f32_e32 v49, v49, v50
	v_exp_f32_e32 v49, v49
	v_cvt_i32_f32_e32 v50, v51
	v_cndmask_b32_e32 v26, v54, v26, vcc
	v_cmp_ngt_f32_e32 vcc, s39, v31
	v_cmp_nlt_f32_e64 s[0:1], s40, v31
	v_ldexp_f32 v49, v49, v50
	v_cndmask_b32_e32 v31, 0, v49, vcc
	v_cmp_ngt_f32_e32 vcc, s39, v48
	v_cndmask_b32_e64 v31, v54, v31, s[0:1]
	v_perm_b32 v36, v43, v42, s42
	v_cndmask_b32_e32 v30, 0, v30, vcc
	v_cmp_nlt_f32_e32 vcc, s40, v48
	v_mul_f32_e32 v48, 0xbfd9db23, v8
	v_mul_f32_e32 v32, 0x3fb8aa3b, v48
	v_fma_f32 v33, v48, s38, -v32
	v_rndne_f32_e32 v49, v32
	v_fmac_f32_e32 v33, 0x32a5705f, v48
	v_sub_f32_e32 v32, v32, v49
	v_add_f32_e32 v32, v32, v33
	v_exp_f32_e32 v32, v32
	v_cvt_i32_f32_e32 v33, v49
	v_cndmask_b32_e32 v30, v54, v30, vcc
	v_add_f32_e32 v28, 1.0, v28
	v_add_f32_e32 v29, 1.0, v29
	v_ldexp_f32 v32, v32, v33
	v_mul_f32_e32 v33, 0xbfd9db23, v9
	v_mul_f32_e32 v49, 0x3fb8aa3b, v33
	v_fma_f32 v50, v33, s38, -v49
	v_rndne_f32_e32 v51, v49
	v_fmac_f32_e32 v50, 0x32a5705f, v33
	v_sub_f32_e32 v49, v49, v51
	v_add_f32_e32 v49, v49, v50
	v_exp_f32_e32 v49, v49
	v_cvt_i32_f32_e32 v50, v51
	v_cmp_ngt_f32_e32 vcc, s39, v33
	v_cmp_nlt_f32_e64 s[0:1], s40, v33
	v_rcp_f32_e32 v28, v28
	v_ldexp_f32 v49, v49, v50
	v_cndmask_b32_e32 v33, 0, v49, vcc
	v_cmp_ngt_f32_e32 vcc, s39, v48
	v_cndmask_b32_e64 v33, v54, v33, s[0:1]
	v_rcp_f32_e32 v29, v29
	v_cndmask_b32_e32 v32, 0, v32, vcc
	v_cmp_nlt_f32_e32 vcc, s40, v48
	v_mul_f32_e32 v48, 0xbfd9db23, v2
	v_mul_f32_e32 v46, 0x3fb8aa3b, v48
	v_fma_f32 v47, v48, s38, -v46
	v_rndne_f32_e32 v49, v46
	v_fmac_f32_e32 v47, 0x32a5705f, v48
	v_sub_f32_e32 v46, v46, v49
	v_add_f32_e32 v46, v46, v47
	v_exp_f32_e32 v46, v46
	v_cvt_i32_f32_e32 v47, v49
	v_cndmask_b32_e32 v32, v54, v32, vcc
	v_pk_mul_f32 v[28:29], v[24:25], v[28:29]
	v_add_f32_e32 v26, 1.0, v26
	v_ldexp_f32 v49, v46, v47
	v_mul_f32_e32 v46, 0xbfd9db23, v3
	v_mul_f32_e32 v47, 0x3fb8aa3b, v46
	v_fma_f32 v50, v46, s38, -v47
	v_rndne_f32_e32 v51, v47
	v_fmac_f32_e32 v50, 0x32a5705f, v46
	v_sub_f32_e32 v47, v47, v51
	v_add_f32_e32 v47, v47, v50
	v_exp_f32_e32 v47, v47
	v_cvt_i32_f32_e32 v50, v51
	v_cmp_ngt_f32_e32 vcc, s39, v46
	v_cmp_nlt_f32_e64 s[0:1], s40, v46
	v_add_f32_e32 v27, 1.0, v27
	v_ldexp_f32 v50, v47, v50
	v_pk_mul_f32 v[46:47], v[34:35], v[40:41]
	v_perm_b32 v35, v45, v44, s42
	buffer_load_dwordx4 v[38:41], v53, s[24:27], 16 offen
	v_perm_b32 v34, v47, v46, s42
	buffer_store_dwordx4 v[34:37], v53, s[8:11], 0 offen
	buffer_load_dwordx4 v[34:37], v52, s[16:19], 32 offen
	v_rcp_f32_e32 v26, v26
	v_rcp_f32_e32 v27, v27
	v_add_f32_e32 v30, 1.0, v30
	v_add_f32_e32 v31, 1.0, v31
	v_rcp_f32_e32 v30, v30
	v_rcp_f32_e32 v31, v31
	v_pk_mul_f32 v[26:27], v[22:23], v[26:27]
	v_add_f32_e32 v32, 1.0, v32
	v_add_f32_e32 v33, 1.0, v33
	v_rcp_f32_e32 v32, v32
	v_rcp_f32_e32 v33, v33
	v_min_f32_e32 v7, 0x40e00000, v7
	v_min_f32_e32 v4, 0x40e00000, v4
	;; [unrolled: 1-line block ×3, first 2 shown]
	s_waitcnt vmcnt(2)
	v_and_b32_e32 v43, 0xffff0000, v40
	v_lshlrev_b32_e32 v42, 16, v40
	v_and_b32_e32 v45, 0xffff0000, v38
	v_lshlrev_b32_e32 v44, 16, v38
	;; [unrolled: 2-line block ×4, first 2 shown]
	s_waitcnt vmcnt(0)
	v_pk_add_f32 v[40:41], v[36:37], v[40:41]
	v_pk_add_f32 v[44:45], v[34:35], v[44:45]
	buffer_load_dwordx4 v[34:37], v52, s[16:19], 48 offen
	v_cndmask_b32_e32 v38, 0, v50, vcc
	v_cmp_ngt_f32_e32 vcc, s39, v48
	v_mul_f32_e32 v50, 0xbfd9db23, v0
	v_cndmask_b32_e64 v38, v54, v38, s[0:1]
	v_cndmask_b32_e32 v39, 0, v49, vcc
	v_cmp_nlt_f32_e32 vcc, s40, v48
	s_waitcnt vmcnt(0)
	v_pk_add_f32 v[48:49], v[34:35], v[42:43]
	v_mul_f32_e32 v34, 0x3fb8aa3b, v50
	v_pk_add_f32 v[46:47], v[36:37], v[46:47]
	v_fma_f32 v35, v50, s38, -v34
	v_rndne_f32_e32 v36, v34
	v_fmac_f32_e32 v35, 0x32a5705f, v50
	v_sub_f32_e32 v34, v34, v36
	v_add_f32_e32 v34, v34, v35
	v_exp_f32_e32 v37, v34
	v_cvt_i32_f32_e32 v36, v36
	v_cndmask_b32_e32 v39, v54, v39, vcc
	v_add_f32_e32 v39, 1.0, v39
	v_add_f32_e32 v35, 1.0, v38
	v_ldexp_f32 v36, v37, v36
	v_mul_f32_e32 v37, 0xbfd9db23, v1
	v_mul_f32_e32 v38, 0x3fb8aa3b, v37
	v_rcp_f32_e32 v34, v39
	v_fma_f32 v39, v37, s38, -v38
	v_rndne_f32_e32 v42, v38
	v_fmac_f32_e32 v39, 0x32a5705f, v37
	v_sub_f32_e32 v38, v38, v42
	v_add_f32_e32 v38, v38, v39
	v_exp_f32_e32 v38, v38
	v_cvt_i32_f32_e32 v39, v42
	v_cmp_ngt_f32_e32 vcc, s39, v50
	v_med3_f32 v42, v40, s41, v55
	v_med3_f32 v40, v44, s41, v55
	v_cndmask_b32_e32 v36, 0, v36, vcc
	v_cmp_nlt_f32_e32 vcc, s40, v50
	v_ldexp_f32 v38, v38, v39
	v_min_f32_e32 v39, 0x40e00000, v15
	v_cndmask_b32_e32 v36, v54, v36, vcc
	v_cmp_ngt_f32_e32 vcc, s39, v37
	v_min_f32_e32 v15, 0x40e00000, v13
	v_min_f32_e32 v13, 0x40e00000, v17
	v_cndmask_b32_e32 v38, 0, v38, vcc
	v_cmp_nlt_f32_e32 vcc, s40, v37
	v_med3_f32 v44, v48, s41, v55
	v_med3_f32 v43, v41, s41, v55
	v_cndmask_b32_e32 v37, v54, v38, vcc
	v_min_f32_e32 v38, 0x40e00000, v14
	v_mul_f32_e32 v50, 0xbfd9db23, v38
	v_min_f32_e32 v14, 0x40e00000, v12
	v_min_f32_e32 v12, 0x40e00000, v16
	v_mul_f32_e32 v16, 0x3fb8aa3b, v50
	v_fma_f32 v17, v50, s38, -v16
	v_rndne_f32_e32 v48, v16
	v_fmac_f32_e32 v17, 0x32a5705f, v50
	v_sub_f32_e32 v16, v16, v48
	v_add_f32_e32 v16, v16, v17
	v_mul_f32_e32 v17, 0xbfd9db23, v39
	v_mul_f32_e32 v24, 0x3fb8aa3b, v17
	v_med3_f32 v41, v45, s41, v55
	v_med3_f32 v45, v49, s41, v55
	v_fma_f32 v25, v17, s38, -v24
	v_rndne_f32_e32 v49, v24
	v_fmac_f32_e32 v25, 0x32a5705f, v17
	v_sub_f32_e32 v24, v24, v49
	v_add_f32_e32 v24, v24, v25
	v_exp_f32_e32 v16, v16
	v_cvt_i32_f32_e32 v25, v48
	v_exp_f32_e32 v24, v24
	v_cmp_ngt_f32_e64 s[2:3], s39, v17
	v_cmp_nlt_f32_e64 s[4:5], s40, v17
	v_ldexp_f32 v16, v16, v25
	v_cvt_i32_f32_e32 v25, v49
	v_cmp_ngt_f32_e32 vcc, s39, v50
	v_cmp_nlt_f32_e64 s[0:1], s40, v50
	v_med3_f32 v47, v47, s41, v55
	v_ldexp_f32 v24, v24, v25
	v_mul_f32_e32 v25, 0xbfd9db23, v14
	v_mul_f32_e32 v48, 0x3fb8aa3b, v25
	v_fma_f32 v49, v25, s38, -v48
	v_rndne_f32_e32 v51, v48
	v_fmac_f32_e32 v49, 0x32a5705f, v25
	v_sub_f32_e32 v48, v48, v51
	v_add_f32_e32 v48, v48, v49
	v_cndmask_b32_e64 v17, 0, v24, s[2:3]
	v_exp_f32_e32 v24, v48
	v_cvt_i32_f32_e32 v48, v51
	v_cndmask_b32_e32 v16, 0, v16, vcc
	v_cndmask_b32_e64 v16, v54, v16, s[0:1]
	v_cmp_ngt_f32_e32 vcc, s39, v25
	v_ldexp_f32 v24, v24, v48
	v_mul_f32_e32 v48, 0xbfd9db23, v15
	v_mul_f32_e32 v49, 0x3fb8aa3b, v48
	v_fma_f32 v50, v48, s38, -v49
	v_rndne_f32_e32 v51, v49
	v_fmac_f32_e32 v50, 0x32a5705f, v48
	v_sub_f32_e32 v49, v49, v51
	v_add_f32_e32 v49, v49, v50
	v_cmp_nlt_f32_e64 s[0:1], s40, v25
	v_exp_f32_e32 v25, v49
	v_cvt_i32_f32_e32 v49, v51
	v_mul_f32_e32 v50, 0xbfd9db23, v12
	v_cndmask_b32_e32 v24, 0, v24, vcc
	v_mul_f32_e32 v22, 0x3fb8aa3b, v50
	v_ldexp_f32 v25, v25, v49
	v_cndmask_b32_e64 v24, v54, v24, s[0:1]
	v_cmp_ngt_f32_e32 vcc, s39, v48
	v_cmp_nlt_f32_e64 s[0:1], s40, v48
	v_fma_f32 v23, v50, s38, -v22
	v_rndne_f32_e32 v51, v22
	v_pk_mul_f32 v[48:49], v[18:19], v[30:31]
	v_mul_f32_e32 v18, 0xbfd9db23, v13
	v_fmac_f32_e32 v23, 0x32a5705f, v50
	v_sub_f32_e32 v22, v22, v51
	v_mul_f32_e32 v19, 0x3fb8aa3b, v18
	v_add_f32_e32 v22, v22, v23
	v_fma_f32 v23, v18, s38, -v19
	v_rndne_f32_e32 v30, v19
	v_fmac_f32_e32 v23, 0x32a5705f, v18
	v_sub_f32_e32 v19, v19, v30
	v_add_f32_e32 v19, v19, v23
	v_exp_f32_e32 v22, v22
	v_cvt_i32_f32_e32 v23, v51
	v_exp_f32_e32 v19, v19
	v_cndmask_b32_e32 v25, 0, v25, vcc
	v_cmp_ngt_f32_e32 vcc, s39, v50
	v_ldexp_f32 v22, v22, v23
	v_cvt_i32_f32_e32 v23, v30
	v_cndmask_b32_e64 v17, v54, v17, s[4:5]
	v_cmp_ngt_f32_e64 s[2:3], s39, v18
	v_cmp_nlt_f32_e64 s[4:5], s40, v18
	v_ldexp_f32 v19, v19, v23
	v_mul_f32_e32 v23, 0xbfd9db23, v10
	v_mul_f32_e32 v30, 0x3fb8aa3b, v23
	v_fma_f32 v31, v23, s38, -v30
	v_rndne_f32_e32 v51, v30
	v_fmac_f32_e32 v31, 0x32a5705f, v23
	v_sub_f32_e32 v30, v30, v51
	v_add_f32_e32 v30, v30, v31
	v_cndmask_b32_e32 v18, 0, v22, vcc
	v_exp_f32_e32 v22, v30
	v_cvt_i32_f32_e32 v30, v51
	v_cndmask_b32_e64 v25, v54, v25, s[0:1]
	v_cmp_nlt_f32_e64 s[0:1], s40, v50
	v_cmp_ngt_f32_e32 vcc, s39, v23
	v_ldexp_f32 v22, v22, v30
	v_mul_f32_e32 v30, 0xbfd9db23, v11
	v_mul_f32_e32 v31, 0x3fb8aa3b, v30
	v_fma_f32 v50, v30, s38, -v31
	v_rndne_f32_e32 v51, v31
	v_fmac_f32_e32 v50, 0x32a5705f, v30
	v_sub_f32_e32 v31, v31, v51
	v_add_f32_e32 v31, v31, v50
	v_cndmask_b32_e64 v18, v54, v18, s[0:1]
	v_cmp_nlt_f32_e64 s[0:1], s40, v23
	v_exp_f32_e32 v23, v31
	v_cvt_i32_f32_e32 v31, v51
	v_cndmask_b32_e32 v22, 0, v22, vcc
	v_mul_f32_e32 v50, 0xbfd9db23, v6
	v_cndmask_b32_e64 v22, v54, v22, s[0:1]
	v_ldexp_f32 v23, v23, v31
	v_cmp_ngt_f32_e32 vcc, s39, v30
	v_cmp_nlt_f32_e64 s[0:1], s40, v30
	v_pk_mul_f32 v[30:31], v[8:9], v[32:33]
	v_mul_f32_e32 v8, 0x3fb8aa3b, v50
	v_fma_f32 v9, v50, s38, -v8
	v_rndne_f32_e32 v32, v8
	v_fmac_f32_e32 v9, 0x32a5705f, v50
	v_sub_f32_e32 v8, v8, v32
	v_add_f32_e32 v8, v8, v9
	v_exp_f32_e32 v8, v8
	v_cvt_i32_f32_e32 v9, v32
	v_cndmask_b32_e32 v23, 0, v23, vcc
	v_cndmask_b32_e64 v23, v54, v23, s[0:1]
	v_med3_f32 v46, v46, s41, v55
	v_ldexp_f32 v8, v8, v9
	v_mul_f32_e32 v9, 0xbfd9db23, v7
	v_mul_f32_e32 v32, 0x3fb8aa3b, v9
	v_fma_f32 v33, v9, s38, -v32
	v_rndne_f32_e32 v51, v32
	v_fmac_f32_e32 v33, 0x32a5705f, v9
	v_sub_f32_e32 v32, v32, v51
	v_add_f32_e32 v32, v32, v33
	v_exp_f32_e32 v32, v32
	v_cvt_i32_f32_e32 v33, v51
	v_cmp_ngt_f32_e32 vcc, s39, v9
	v_cmp_nlt_f32_e64 s[0:1], s40, v9
	v_pk_add_f32 v[42:43], v[42:43], 1.0 op_sel_hi:[1,0]
	v_ldexp_f32 v32, v32, v33
	v_cndmask_b32_e32 v9, 0, v32, vcc
	v_mul_f32_e32 v32, 0xbfd9db23, v4
	v_cmp_ngt_f32_e32 vcc, s39, v50
	v_mul_f32_e32 v33, 0x3fb8aa3b, v32
	v_rndne_f32_e32 v51, v33
	v_cndmask_b32_e32 v8, 0, v8, vcc
	v_cmp_nlt_f32_e32 vcc, s40, v50
	v_fma_f32 v50, v32, s38, -v33
	v_fmac_f32_e32 v50, 0x32a5705f, v32
	v_sub_f32_e32 v33, v33, v51
	v_add_f32_e32 v33, v33, v50
	v_exp_f32_e32 v33, v33
	v_cvt_i32_f32_e32 v50, v51
	v_cndmask_b32_e32 v8, v54, v8, vcc
	v_cndmask_b32_e64 v9, v54, v9, s[0:1]
	v_cmp_ngt_f32_e32 vcc, s39, v32
	v_ldexp_f32 v50, v33, v50
	v_cmp_nlt_f32_e64 s[0:1], s40, v32
	v_pk_add_f32 v[32:33], v[46:47], 1.0 op_sel_hi:[1,0]
	v_pk_add_f32 v[44:45], v[44:45], 1.0 op_sel_hi:[1,0]
	;; [unrolled: 1-line block ×3, first 2 shown]
	v_pk_mul_f32 v[26:27], v[42:43], v[26:27]
	v_pk_mul_f32 v[42:43], v[32:33], v[30:31]
	buffer_load_dwordx4 v[30:33], v53, s[24:27], 32 offen
	v_pk_mul_f32 v[46:47], v[40:41], v[28:29]
	v_pk_mul_f32 v[40:41], v[44:45], v[48:49]
	v_perm_b32 v29, v43, v42, s42
	v_perm_b32 v28, v41, v40, s42
	buffer_load_dwordx4 v[40:43], v52, s[16:19], 64 offen
	v_perm_b32 v27, v27, v26, s42
	v_perm_b32 v26, v47, v46, s42
	buffer_store_dwordx4 v[26:29], v53, s[8:11], 16 offen
	buffer_load_dwordx4 v[26:29], v52, s[16:19], s35 offen
	v_mul_f32_e32 v51, 0xbfd9db23, v5
	v_add_f32_e32 v36, 1.0, v36
	v_add_f32_e32 v37, 1.0, v37
	v_rcp_f32_e32 v35, v35
	v_rcp_f32_e32 v36, v36
	;; [unrolled: 1-line block ×3, first 2 shown]
	v_add_f32_e32 v16, 1.0, v16
	v_pk_mul_f32 v[34:35], v[2:3], v[34:35]
	v_add_f32_e32 v17, 1.0, v17
	v_pk_mul_f32 v[36:37], v[0:1], v[36:37]
	buffer_load_dwordx4 v[0:3], v52, s[16:19], s37 offen
	v_rcp_f32_e32 v16, v16
	v_rcp_f32_e32 v17, v17
	v_add_f32_e32 v24, 1.0, v24
	v_add_f32_e32 v25, 1.0, v25
	v_rcp_f32_e32 v24, v24
	v_rcp_f32_e32 v25, v25
	v_pk_mul_f32 v[16:17], v[38:39], v[16:17]
	v_cndmask_b32_e32 v38, 0, v50, vcc
	v_cmp_ngt_f32_e32 vcc, s39, v51
	v_cndmask_b32_e64 v19, 0, v19, s[2:3]
	v_cndmask_b32_e64 v38, v54, v38, s[0:1]
	v_cmp_nlt_f32_e64 s[0:1], s40, v51
	v_cndmask_b32_e64 v19, v54, v19, s[4:5]
	v_pk_mul_f32 v[14:15], v[14:15], v[24:25]
	v_add_f32_e32 v18, 1.0, v18
	v_add_f32_e32 v19, 1.0, v19
	;; [unrolled: 1-line block ×7, first 2 shown]
	v_rcp_f32_e32 v18, v18
	v_rcp_f32_e32 v19, v19
	;; [unrolled: 1-line block ×7, first 2 shown]
	v_pk_mul_f32 v[12:13], v[12:13], v[18:19]
	v_pk_mul_f32 v[10:11], v[10:11], v[22:23]
	;; [unrolled: 1-line block ×3, first 2 shown]
	s_waitcnt vmcnt(4)
	v_and_b32_e32 v45, 0xffff0000, v32
	v_lshlrev_b32_e32 v44, 16, v32
	v_and_b32_e32 v47, 0xffff0000, v30
	v_lshlrev_b32_e32 v46, 16, v30
	;; [unrolled: 2-line block ×4, first 2 shown]
	s_waitcnt vmcnt(3)
	v_pk_add_f32 v[30:31], v[42:43], v[32:33]
	v_pk_add_f32 v[32:33], v[40:41], v[46:47]
	v_mul_f32_e32 v40, 0x3fb8aa3b, v51
	v_fma_f32 v41, v51, s38, -v40
	v_rndne_f32_e32 v42, v40
	v_fmac_f32_e32 v41, 0x32a5705f, v51
	v_sub_f32_e32 v40, v40, v42
	v_add_f32_e32 v40, v40, v41
	v_exp_f32_e32 v46, v40
	v_cvt_i32_f32_e32 v47, v42
	s_waitcnt vmcnt(1)
	v_pk_add_f32 v[40:41], v[28:29], v[48:49]
	v_pk_add_f32 v[42:43], v[26:27], v[44:45]
	buffer_load_dwordx4 v[26:29], v53, s[24:27], 48 offen
	v_ldexp_f32 v48, v46, v47
	v_med3_f32 v45, v31, s41, v55
	v_med3_f32 v44, v30, s41, v55
	;; [unrolled: 1-line block ×4, first 2 shown]
	buffer_load_dwordx4 v[30:33], v52, s[16:19], s36 offen
	v_med3_f32 v41, v41, s41, v55
	v_med3_f32 v40, v40, s41, v55
	;; [unrolled: 1-line block ×4, first 2 shown]
	v_cndmask_b32_e32 v39, 0, v48, vcc
	v_cndmask_b32_e64 v39, v54, v39, s[0:1]
	v_pk_add_f32 v[40:41], v[40:41], 1.0 op_sel_hi:[1,0]
	v_pk_add_f32 v[44:45], v[44:45], 1.0 op_sel_hi:[1,0]
	;; [unrolled: 1-line block ×4, first 2 shown]
	v_add_f32_e32 v39, 1.0, v39
	v_pk_mul_f32 v[24:25], v[44:45], v[36:37]
	v_pk_mul_f32 v[14:15], v[40:41], v[14:15]
	;; [unrolled: 1-line block ×4, first 2 shown]
	v_rcp_f32_e32 v39, v39
	v_perm_b32 v17, v15, v14, s42
	v_perm_b32 v15, v25, v24, s42
	;; [unrolled: 1-line block ×4, first 2 shown]
	buffer_store_dwordx4 v[14:17], v53, s[8:11], 32 offen
	v_pk_mul_f32 v[4:5], v[4:5], v[38:39]
	v_cmp_le_i64_e32 vcc, s[6:7], v[20:21]
	v_add_u32_e32 v52, s33, v52
	s_or_b64 s[30:31], vcc, s[30:31]
	s_waitcnt vmcnt(2)
	v_and_b32_e32 v15, 0xffff0000, v28
	v_lshlrev_b32_e32 v14, 16, v28
	v_and_b32_e32 v17, 0xffff0000, v26
	v_lshlrev_b32_e32 v16, 16, v26
	;; [unrolled: 2-line block ×4, first 2 shown]
	s_waitcnt vmcnt(1)
	v_pk_add_f32 v[26:27], v[32:33], v[28:29]
	v_pk_add_f32 v[2:3], v[2:3], v[24:25]
	;; [unrolled: 1-line block ×4, first 2 shown]
	v_med3_f32 v15, v27, s41, v55
	v_med3_f32 v14, v26, s41, v55
	;; [unrolled: 1-line block ×8, first 2 shown]
	v_pk_add_f32 v[2:3], v[2:3], 1.0 op_sel_hi:[1,0]
	v_pk_add_f32 v[14:15], v[14:15], 1.0 op_sel_hi:[1,0]
	;; [unrolled: 1-line block ×4, first 2 shown]
	v_pk_mul_f32 v[8:9], v[14:15], v[10:11]
	v_pk_mul_f32 v[2:3], v[2:3], v[4:5]
	;; [unrolled: 1-line block ×4, first 2 shown]
	v_perm_b32 v3, v3, v2, s42
	v_perm_b32 v1, v9, v8, s42
	;; [unrolled: 1-line block ×4, first 2 shown]
	buffer_store_dwordx4 v[0:3], v53, s[8:11], 48 offen
	v_add_u32_e32 v53, s34, v53
	s_andn2_b64 exec, exec, s[30:31]
	s_cbranch_execnz .LBB346_8
.LBB346_9:
	s_endpgm
	.section	.rodata,"a",@progbits
	.p2align	6, 0x0
	.amdhsa_kernel _ZN5aiter30swiglu_act_and_mul_bias_kernelIttlfLi32EEEvPT0_PKT_PKT1_PKT2_il
		.amdhsa_group_segment_fixed_size 0
		.amdhsa_private_segment_fixed_size 0
		.amdhsa_kernarg_size 304
		.amdhsa_user_sgpr_count 2
		.amdhsa_user_sgpr_dispatch_ptr 0
		.amdhsa_user_sgpr_queue_ptr 0
		.amdhsa_user_sgpr_kernarg_segment_ptr 1
		.amdhsa_user_sgpr_dispatch_id 0
		.amdhsa_user_sgpr_kernarg_preload_length 0
		.amdhsa_user_sgpr_kernarg_preload_offset 0
		.amdhsa_user_sgpr_private_segment_size 0
		.amdhsa_uses_dynamic_stack 0
		.amdhsa_enable_private_segment 0
		.amdhsa_system_sgpr_workgroup_id_x 1
		.amdhsa_system_sgpr_workgroup_id_y 0
		.amdhsa_system_sgpr_workgroup_id_z 0
		.amdhsa_system_sgpr_workgroup_info 0
		.amdhsa_system_vgpr_workitem_id 0
		.amdhsa_next_free_vgpr 60
		.amdhsa_next_free_sgpr 43
		.amdhsa_accum_offset 60
		.amdhsa_reserve_vcc 1
		.amdhsa_float_round_mode_32 0
		.amdhsa_float_round_mode_16_64 0
		.amdhsa_float_denorm_mode_32 3
		.amdhsa_float_denorm_mode_16_64 3
		.amdhsa_dx10_clamp 1
		.amdhsa_ieee_mode 1
		.amdhsa_fp16_overflow 0
		.amdhsa_tg_split 0
		.amdhsa_exception_fp_ieee_invalid_op 0
		.amdhsa_exception_fp_denorm_src 0
		.amdhsa_exception_fp_ieee_div_zero 0
		.amdhsa_exception_fp_ieee_overflow 0
		.amdhsa_exception_fp_ieee_underflow 0
		.amdhsa_exception_fp_ieee_inexact 0
		.amdhsa_exception_int_div_zero 0
	.end_amdhsa_kernel
	.section	.text._ZN5aiter30swiglu_act_and_mul_bias_kernelIttlfLi32EEEvPT0_PKT_PKT1_PKT2_il,"axG",@progbits,_ZN5aiter30swiglu_act_and_mul_bias_kernelIttlfLi32EEEvPT0_PKT_PKT1_PKT2_il,comdat
.Lfunc_end346:
	.size	_ZN5aiter30swiglu_act_and_mul_bias_kernelIttlfLi32EEEvPT0_PKT_PKT1_PKT2_il, .Lfunc_end346-_ZN5aiter30swiglu_act_and_mul_bias_kernelIttlfLi32EEEvPT0_PKT_PKT1_PKT2_il
                                        ; -- End function
	.section	.AMDGPU.csdata,"",@progbits
; Kernel info:
; codeLenInByte = 5512
; NumSgprs: 49
; NumVgprs: 60
; NumAgprs: 0
; TotalNumVgprs: 60
; ScratchSize: 0
; MemoryBound: 0
; FloatMode: 240
; IeeeMode: 1
; LDSByteSize: 0 bytes/workgroup (compile time only)
; SGPRBlocks: 6
; VGPRBlocks: 7
; NumSGPRsForWavesPerEU: 49
; NumVGPRsForWavesPerEU: 60
; AccumOffset: 60
; Occupancy: 8
; WaveLimiterHint : 0
; COMPUTE_PGM_RSRC2:SCRATCH_EN: 0
; COMPUTE_PGM_RSRC2:USER_SGPR: 2
; COMPUTE_PGM_RSRC2:TRAP_HANDLER: 0
; COMPUTE_PGM_RSRC2:TGID_X_EN: 1
; COMPUTE_PGM_RSRC2:TGID_Y_EN: 0
; COMPUTE_PGM_RSRC2:TGID_Z_EN: 0
; COMPUTE_PGM_RSRC2:TIDIG_COMP_CNT: 0
; COMPUTE_PGM_RSRC3_GFX90A:ACCUM_OFFSET: 14
; COMPUTE_PGM_RSRC3_GFX90A:TG_SPLIT: 0
	.section	.text._ZN5aiter30swiglu_act_and_mul_bias_kernelIttlfLi16EEEvPT0_PKT_PKT1_PKT2_il,"axG",@progbits,_ZN5aiter30swiglu_act_and_mul_bias_kernelIttlfLi16EEEvPT0_PKT_PKT1_PKT2_il,comdat
	.protected	_ZN5aiter30swiglu_act_and_mul_bias_kernelIttlfLi16EEEvPT0_PKT_PKT1_PKT2_il ; -- Begin function _ZN5aiter30swiglu_act_and_mul_bias_kernelIttlfLi16EEEvPT0_PKT_PKT1_PKT2_il
	.globl	_ZN5aiter30swiglu_act_and_mul_bias_kernelIttlfLi16EEEvPT0_PKT_PKT1_PKT2_il
	.p2align	8
	.type	_ZN5aiter30swiglu_act_and_mul_bias_kernelIttlfLi16EEEvPT0_PKT_PKT1_PKT2_il,@function
_ZN5aiter30swiglu_act_and_mul_bias_kernelIttlfLi16EEEvPT0_PKT_PKT1_PKT2_il: ; @_ZN5aiter30swiglu_act_and_mul_bias_kernelIttlfLi16EEEvPT0_PKT_PKT1_PKT2_il
; %bb.0:
	s_load_dword s20, s[0:1], 0x20
	s_load_dwordx2 s[4:5], s[0:1], 0x0
	s_load_dwordx2 s[6:7], s[0:1], 0x10
	;; [unrolled: 1-line block ×3, first 2 shown]
	s_mov_b32 s3, 0
	s_waitcnt lgkmcnt(0)
	s_ashr_i32 s21, s20, 31
	s_lshl_b64 s[8:9], s[2:3], 3
	s_add_u32 s6, s6, s8
	s_addc_u32 s7, s7, s9
	s_add_i32 s3, s20, 1
	s_load_dwordx2 s[8:9], s[6:7], 0x0
	s_lshr_b32 s6, s3, 31
	s_add_i32 s3, s3, s6
	s_lshl_b32 s3, s3, 1
	s_and_b32 s6, s3, -4
	s_mul_hi_u32 s3, s20, s2
	s_mul_i32 s7, s21, s2
	s_add_i32 s11, s3, s7
	s_mul_i32 s10, s20, s2
	s_lshl_b64 s[10:11], s[10:11], 1
	v_mov_b64_e32 v[2:3], s[12:13]
	s_add_u32 s4, s4, s10
	s_waitcnt lgkmcnt(0)
	v_cmp_gt_i64_e64 s[14:15], s[8:9], -1
	v_cmp_lt_i64_e32 vcc, s[8:9], v[2:3]
	s_addc_u32 s3, s5, s11
	s_and_b64 s[12:13], s[14:15], vcc
	s_and_b32 s5, s3, 0xffff
	s_mov_b64 s[10:11], -1
	s_and_b64 vcc, exec, s[12:13]
	v_lshlrev_b32_e32 v32, 4, v0
	s_cbranch_vccnz .LBB347_5
; %bb.1:
	v_cmp_gt_i32_e32 vcc, s20, v32
	s_and_saveexec_b64 s[10:11], vcc
	s_cbranch_execz .LBB347_4
; %bb.2:
	s_load_dword s3, s[0:1], 0x3c
	s_mov_b32 s13, 0
	s_mov_b32 s16, s13
	;; [unrolled: 1-line block ×3, first 2 shown]
	v_mov_b32_e32 v33, 0
	s_waitcnt lgkmcnt(0)
	s_and_b32 s3, s3, 0xffff
	s_mov_b32 s18, s13
	s_mov_b32 s19, s13
	v_mov_b64_e32 v[2:3], s[16:17]
	v_lshlrev_b32_e32 v1, 5, v0
	s_lshl_b32 s12, s3, 4
	s_lshl_b32 s3, s3, 5
	s_mov_b64 s[14:15], 0
	s_mov_b32 s7, 0x20000
	v_mov_b64_e32 v[4:5], s[18:19]
	v_mov_b64_e32 v[6:7], v[32:33]
.LBB347_3:                              ; =>This Inner Loop Header: Depth=1
	v_lshl_add_u64 v[6:7], s[12:13], 0, v[6:7]
	v_cmp_le_i64_e32 vcc, s[20:21], v[6:7]
	buffer_store_dwordx4 v[2:5], v1, s[4:7], 0 offen
	buffer_store_dwordx4 v[2:5], v1, s[4:7], 16 offen
	s_or_b64 s[14:15], vcc, s[14:15]
	v_add_u32_e32 v1, s3, v1
	s_andn2_b64 exec, exec, s[14:15]
	s_cbranch_execnz .LBB347_3
.LBB347_4:
	s_or_b64 exec, exec, s[10:11]
	s_mov_b64 s[10:11], 0
.LBB347_5:
	s_andn2_b64 vcc, exec, s[10:11]
	s_cbranch_vccnz .LBB347_9
; %bb.6:
	v_cmp_gt_i32_e32 vcc, s20, v32
	s_and_saveexec_b64 s[10:11], vcc
	s_cbranch_execz .LBB347_9
; %bb.7:
	s_load_dwordx2 s[12:13], s[0:1], 0x8
	s_load_dwordx2 s[10:11], s[0:1], 0x18
	s_mul_i32 s3, s20, s9
	s_mul_hi_u32 s7, s20, s8
	s_add_i32 s3, s7, s3
	s_mul_i32 s7, s21, s8
	s_add_i32 s9, s3, s7
	s_mul_i32 s8, s20, s8
	s_lshl_b64 s[8:9], s[8:9], 3
	s_waitcnt lgkmcnt(0)
	s_add_u32 s8, s10, s8
	s_load_dword s14, s[0:1], 0x3c
	s_addc_u32 s3, s11, s9
	s_lshl_b64 s[0:1], s[20:21], 2
	s_add_u32 s0, s8, s0
	s_addc_u32 s1, s3, s1
	s_and_b32 s9, s3, 0xffff
	s_mul_i32 s3, s2, s21
	s_mul_hi_u32 s15, s2, s20
	s_add_i32 s3, s15, s3
	s_mul_i32 s2, s2, s20
	s_lshl_b32 s10, s20, 2
	s_and_b32 s1, s1, 0xffff
	s_lshl_b64 s[2:3], s[2:3], 2
	s_add_u32 s12, s12, s2
	s_addc_u32 s13, s13, s3
	s_lshl_b64 s[2:3], s[20:21], 1
	s_add_u32 s16, s12, s2
	s_addc_u32 s2, s13, s3
	s_mov_b32 s7, 0x20000
	s_and_b32 s17, s2, 0xffff
	s_waitcnt lgkmcnt(0)
	s_and_b32 s2, s14, 0xffff
	s_mov_b32 s11, s7
	s_and_b32 s13, s13, 0xffff
	s_mov_b32 s23, 0
	v_mov_b32_e32 v33, 0
	s_lshl_b32 s22, s2, 4
	v_lshlrev_b32_e32 v40, 6, v0
	s_lshl_b32 s26, s2, 6
	v_lshlrev_b32_e32 v41, 5, v0
	s_lshl_b32 s27, s2, 5
	s_mov_b64 s[24:25], 0
	s_mov_b32 s19, s7
	s_mov_b32 s18, s6
	;; [unrolled: 1-line block ×5, first 2 shown]
	v_mov_b32_e32 v42, 0x7f800000
	s_mov_b32 s31, 0xc0e00000
	v_mov_b32_e32 v43, 0x40e00000
	s_mov_b32 s33, 0x7060302
	s_mov_b32 s14, s6
	;; [unrolled: 1-line block ×3, first 2 shown]
.LBB347_8:                              ; =>This Inner Loop Header: Depth=1
	buffer_load_dwordx4 v[20:23], v41, s[12:15], 0 offen
	buffer_load_dwordx4 v[28:31], v40, s[8:11], 0 offen
	;; [unrolled: 1-line block ×8, first 2 shown]
	s_mov_b32 s2, s10
	s_mov_b32 s3, s11
	v_lshl_add_u64 v[32:33], s[22:23], 0, v[32:33]
	s_waitcnt vmcnt(7)
	v_and_b32_e32 v35, 0xffff0000, v20
	v_lshlrev_b32_e32 v34, 16, v20
	v_and_b32_e32 v37, 0xffff0000, v21
	v_lshlrev_b32_e32 v36, 16, v21
	;; [unrolled: 2-line block ×3, first 2 shown]
	s_waitcnt vmcnt(6)
	v_pk_add_f32 v[28:29], v[28:29], v[34:35]
	v_pk_add_f32 v[30:31], v[30:31], v[36:37]
	s_waitcnt vmcnt(5)
	v_pk_add_f32 v[36:37], v[24:25], v[20:21]
	v_min_f32_e32 v20, 0x40e00000, v28
	v_min_f32_e32 v21, 0x40e00000, v29
	v_mul_f32_e32 v22, 0xbfd9db23, v20
	v_min_f32_e32 v24, 0x40e00000, v30
	v_mul_f32_e32 v29, 0xbfd9db23, v21
	v_mul_f32_e32 v34, 0x3fb8aa3b, v22
	v_min_f32_e32 v25, 0x40e00000, v31
	v_mul_f32_e32 v30, 0xbfd9db23, v24
	v_mul_f32_e32 v35, 0x3fb8aa3b, v29
	v_fma_f32 v45, v22, s28, -v34
	v_rndne_f32_e32 v46, v34
	v_mul_f32_e32 v31, 0xbfd9db23, v25
	v_mul_f32_e32 v38, 0x3fb8aa3b, v30
	v_fma_f32 v47, v29, s28, -v35
	v_rndne_f32_e32 v48, v35
	v_fmac_f32_e32 v45, 0x32a5705f, v22
	v_sub_f32_e32 v34, v34, v46
	v_mul_f32_e32 v39, 0x3fb8aa3b, v31
	v_fma_f32 v49, v30, s28, -v38
	v_rndne_f32_e32 v50, v38
	v_add_f32_e32 v34, v34, v45
	v_fmac_f32_e32 v47, 0x32a5705f, v29
	v_sub_f32_e32 v35, v35, v48
	v_fma_f32 v51, v31, s28, -v39
	v_rndne_f32_e32 v52, v39
	v_add_f32_e32 v35, v35, v47
	v_cvt_i32_f32_e32 v46, v46
	v_fmac_f32_e32 v49, 0x32a5705f, v30
	v_sub_f32_e32 v38, v38, v50
	v_exp_f32_e32 v34, v34
	v_cvt_i32_f32_e32 v48, v48
	v_fmac_f32_e32 v51, 0x32a5705f, v31
	v_sub_f32_e32 v39, v39, v52
	v_add_f32_e32 v38, v38, v49
	v_exp_f32_e32 v35, v35
	v_cvt_i32_f32_e32 v50, v50
	v_add_f32_e32 v39, v39, v51
	v_exp_f32_e32 v38, v38
	v_cvt_i32_f32_e32 v52, v52
	v_exp_f32_e32 v39, v39
	v_ldexp_f32 v34, v34, v46
	v_cmp_ngt_f32_e32 vcc, s29, v22
	v_ldexp_f32 v35, v35, v48
	v_min_f32_e32 v28, 0x40e00000, v36
	v_cndmask_b32_e32 v34, 0, v34, vcc
	v_cmp_ngt_f32_e32 vcc, s29, v29
	v_ldexp_f32 v38, v38, v50
	v_mul_f32_e32 v36, 0xbfd9db23, v28
	v_cndmask_b32_e32 v35, 0, v35, vcc
	v_cmp_ngt_f32_e32 vcc, s29, v30
	v_ldexp_f32 v39, v39, v52
	v_mul_f32_e32 v44, 0x3fb8aa3b, v36
	v_cndmask_b32_e32 v38, 0, v38, vcc
	v_cmp_ngt_f32_e32 vcc, s29, v31
	v_fma_f32 v45, v36, s28, -v44
	v_rndne_f32_e32 v47, v44
	v_cndmask_b32_e32 v39, 0, v39, vcc
	v_cmp_nlt_f32_e32 vcc, s30, v22
	v_fmac_f32_e32 v45, 0x32a5705f, v36
	v_sub_f32_e32 v44, v44, v47
	v_cndmask_b32_e32 v22, v42, v34, vcc
	v_cmp_nlt_f32_e32 vcc, s30, v29
	v_add_f32_e32 v44, v44, v45
	v_cvt_i32_f32_e32 v47, v47
	v_cndmask_b32_e32 v29, v42, v35, vcc
	v_cmp_nlt_f32_e32 vcc, s30, v30
	v_exp_f32_e32 v44, v44
	v_add_f32_e32 v29, 1.0, v29
	v_cndmask_b32_e32 v30, v42, v38, vcc
	v_cmp_nlt_f32_e32 vcc, s30, v31
	v_add_f32_e32 v22, 1.0, v22
	v_add_f32_e32 v34, 1.0, v30
	v_cndmask_b32_e32 v31, v42, v39, vcc
	v_add_f32_e32 v35, 1.0, v31
	v_rcp_f32_e32 v31, v29
	v_min_f32_e32 v29, 0x40e00000, v37
	v_mul_f32_e32 v37, 0xbfd9db23, v29
	v_mul_f32_e32 v38, 0x3fb8aa3b, v37
	v_rcp_f32_e32 v30, v22
	v_ldexp_f32 v22, v44, v47
	v_fma_f32 v39, v37, s28, -v38
	v_rndne_f32_e32 v44, v38
	v_fmac_f32_e32 v39, 0x32a5705f, v37
	v_sub_f32_e32 v38, v38, v44
	v_add_f32_e32 v38, v38, v39
	v_exp_f32_e32 v38, v38
	v_cvt_i32_f32_e32 v39, v44
	v_cmp_ngt_f32_e32 vcc, s29, v36
	s_waitcnt vmcnt(3)
	v_and_b32_e32 v49, 0xffff0000, v6
	v_and_b32_e32 v51, 0xffff0000, v4
	v_cndmask_b32_e32 v22, 0, v22, vcc
	v_cmp_nlt_f32_e32 vcc, s30, v36
	v_ldexp_f32 v36, v38, v39
	v_lshlrev_b32_e32 v50, 16, v4
	v_cndmask_b32_e32 v22, v42, v22, vcc
	v_cmp_ngt_f32_e32 vcc, s29, v37
	v_and_b32_e32 v53, 0xffff0000, v7
	v_lshlrev_b32_e32 v52, 16, v7
	v_cndmask_b32_e32 v36, 0, v36, vcc
	v_cmp_nlt_f32_e32 vcc, s30, v37
	v_and_b32_e32 v37, 0xffff0000, v23
	v_and_b32_e32 v55, 0xffff0000, v5
	v_cndmask_b32_e32 v38, v42, v36, vcc
	v_lshlrev_b32_e32 v36, 16, v23
	v_pk_add_f32 v[26:27], v[26:27], v[36:37]
	v_lshlrev_b32_e32 v54, 16, v5
	v_min_f32_e32 v26, 0x40e00000, v26
	v_mul_f32_e32 v36, 0xbfd9db23, v26
	v_mul_f32_e32 v23, 0x3fb8aa3b, v36
	v_fma_f32 v37, v36, s28, -v23
	v_rndne_f32_e32 v39, v23
	v_fmac_f32_e32 v37, 0x32a5705f, v36
	v_sub_f32_e32 v23, v23, v39
	v_add_f32_e32 v23, v23, v37
	v_exp_f32_e32 v37, v23
	v_cvt_i32_f32_e32 v39, v39
	v_min_f32_e32 v27, 0x40e00000, v27
	v_add_f32_e32 v23, 1.0, v38
	v_mul_f32_e32 v38, 0xbfd9db23, v27
	v_ldexp_f32 v37, v37, v39
	v_mul_f32_e32 v39, 0x3fb8aa3b, v38
	v_fma_f32 v44, v38, s28, -v39
	v_rndne_f32_e32 v45, v39
	v_fmac_f32_e32 v44, 0x32a5705f, v38
	v_sub_f32_e32 v39, v39, v45
	v_add_f32_e32 v39, v39, v44
	v_exp_f32_e32 v39, v39
	v_cvt_i32_f32_e32 v44, v45
	v_cmp_ngt_f32_e32 vcc, s29, v36
	v_add_f32_e32 v22, 1.0, v22
	v_rcp_f32_e32 v34, v34
	v_cndmask_b32_e32 v37, 0, v37, vcc
	v_cmp_nlt_f32_e32 vcc, s30, v36
	v_rcp_f32_e32 v35, v35
	v_rcp_f32_e32 v22, v22
	v_cndmask_b32_e32 v36, v42, v37, vcc
	v_ldexp_f32 v37, v39, v44
	v_cmp_ngt_f32_e32 vcc, s29, v38
	v_and_b32_e32 v39, 0xffff0000, v8
	v_add_f32_e32 v36, 1.0, v36
	v_cndmask_b32_e32 v37, 0, v37, vcc
	v_cmp_nlt_f32_e32 vcc, s30, v38
	v_lshlrev_b32_e32 v38, 16, v8
	s_waitcnt vmcnt(1)
	v_pk_add_f32 v[16:17], v[16:17], v[38:39]
	v_cndmask_b32_e32 v37, v42, v37, vcc
	v_min_f32_e32 v16, 0x40e00000, v16
	v_mul_f32_e32 v8, 0xbfd9db23, v16
	v_mul_f32_e32 v38, 0x3fb8aa3b, v8
	v_fma_f32 v39, v8, s28, -v38
	v_rndne_f32_e32 v44, v38
	v_fmac_f32_e32 v39, 0x32a5705f, v8
	v_sub_f32_e32 v38, v38, v44
	v_add_f32_e32 v38, v38, v39
	v_exp_f32_e32 v38, v38
	v_cvt_i32_f32_e32 v39, v44
	v_min_f32_e32 v17, 0x40e00000, v17
	v_cmp_ngt_f32_e32 vcc, s29, v8
	v_add_f32_e32 v37, 1.0, v37
	v_ldexp_f32 v38, v38, v39
	v_mul_f32_e32 v39, 0xbfd9db23, v17
	v_mul_f32_e32 v44, 0x3fb8aa3b, v39
	v_fma_f32 v45, v39, s28, -v44
	v_rndne_f32_e32 v46, v44
	v_fmac_f32_e32 v45, 0x32a5705f, v39
	v_sub_f32_e32 v44, v44, v46
	v_add_f32_e32 v44, v44, v45
	v_exp_f32_e32 v44, v44
	v_cvt_i32_f32_e32 v45, v46
	v_cndmask_b32_e32 v38, 0, v38, vcc
	v_cmp_nlt_f32_e32 vcc, s30, v8
	v_rcp_f32_e32 v23, v23
	v_rcp_f32_e32 v36, v36
	v_cndmask_b32_e32 v8, v42, v38, vcc
	v_ldexp_f32 v38, v44, v45
	v_cmp_ngt_f32_e32 vcc, s29, v39
	v_rcp_f32_e32 v37, v37
	v_pk_mul_f32 v[20:21], v[20:21], v[30:31]
	v_cndmask_b32_e32 v38, 0, v38, vcc
	v_cmp_nlt_f32_e32 vcc, s30, v39
	v_and_b32_e32 v39, 0xffff0000, v9
	v_pk_mul_f32 v[24:25], v[24:25], v[34:35]
	v_cndmask_b32_e32 v44, v42, v38, vcc
	v_lshlrev_b32_e32 v38, 16, v9
	v_pk_add_f32 v[18:19], v[18:19], v[38:39]
	v_pk_mul_f32 v[22:23], v[28:29], v[22:23]
	v_min_f32_e32 v18, 0x40e00000, v18
	v_mul_f32_e32 v38, 0xbfd9db23, v18
	v_mul_f32_e32 v9, 0x3fb8aa3b, v38
	v_fma_f32 v39, v38, s28, -v9
	v_rndne_f32_e32 v45, v9
	v_fmac_f32_e32 v39, 0x32a5705f, v38
	v_sub_f32_e32 v9, v9, v45
	v_add_f32_e32 v9, v9, v39
	v_exp_f32_e32 v39, v9
	v_cvt_i32_f32_e32 v45, v45
	v_min_f32_e32 v19, 0x40e00000, v19
	v_add_f32_e32 v9, 1.0, v44
	v_mul_f32_e32 v44, 0xbfd9db23, v19
	v_ldexp_f32 v39, v39, v45
	v_mul_f32_e32 v45, 0x3fb8aa3b, v44
	v_fma_f32 v46, v44, s28, -v45
	v_rndne_f32_e32 v47, v45
	v_fmac_f32_e32 v46, 0x32a5705f, v44
	v_sub_f32_e32 v45, v45, v47
	v_add_f32_e32 v45, v45, v46
	v_exp_f32_e32 v45, v45
	v_cvt_i32_f32_e32 v46, v47
	v_cmp_ngt_f32_e32 vcc, s29, v38
	v_pk_mul_f32 v[26:27], v[26:27], v[36:37]
	v_add_f32_e32 v8, 1.0, v8
	v_cndmask_b32_e32 v39, 0, v39, vcc
	v_cmp_nlt_f32_e32 vcc, s30, v38
	v_rcp_f32_e32 v8, v8
	v_rcp_f32_e32 v9, v9
	v_cndmask_b32_e32 v38, v42, v39, vcc
	v_ldexp_f32 v39, v45, v46
	v_cmp_ngt_f32_e32 vcc, s29, v44
	v_and_b32_e32 v45, 0xffff0000, v10
	v_add_f32_e32 v38, 1.0, v38
	v_cndmask_b32_e32 v39, 0, v39, vcc
	v_cmp_nlt_f32_e32 vcc, s30, v44
	v_lshlrev_b32_e32 v44, 16, v10
	s_waitcnt vmcnt(0)
	v_pk_add_f32 v[12:13], v[12:13], v[44:45]
	v_cndmask_b32_e32 v39, v42, v39, vcc
	v_min_f32_e32 v12, 0x40e00000, v12
	v_mul_f32_e32 v10, 0xbfd9db23, v12
	v_mul_f32_e32 v44, 0x3fb8aa3b, v10
	v_fma_f32 v45, v10, s28, -v44
	v_rndne_f32_e32 v46, v44
	v_fmac_f32_e32 v45, 0x32a5705f, v10
	v_sub_f32_e32 v44, v44, v46
	v_add_f32_e32 v44, v44, v45
	v_exp_f32_e32 v44, v44
	v_cvt_i32_f32_e32 v45, v46
	v_min_f32_e32 v13, 0x40e00000, v13
	v_cmp_ngt_f32_e32 vcc, s29, v10
	v_add_f32_e32 v39, 1.0, v39
	v_ldexp_f32 v44, v44, v45
	v_mul_f32_e32 v45, 0xbfd9db23, v13
	v_mul_f32_e32 v46, 0x3fb8aa3b, v45
	v_fma_f32 v47, v45, s28, -v46
	v_rndne_f32_e32 v48, v46
	v_fmac_f32_e32 v47, 0x32a5705f, v45
	v_sub_f32_e32 v46, v46, v48
	v_add_f32_e32 v46, v46, v47
	v_exp_f32_e32 v46, v46
	v_cvt_i32_f32_e32 v47, v48
	v_cndmask_b32_e32 v44, 0, v44, vcc
	v_cmp_nlt_f32_e32 vcc, s30, v10
	v_lshlrev_b32_e32 v48, 16, v6
	v_rcp_f32_e32 v38, v38
	v_cndmask_b32_e32 v10, v42, v44, vcc
	v_ldexp_f32 v44, v46, v47
	v_cmp_ngt_f32_e32 vcc, s29, v45
	v_add_f32_e32 v10, 1.0, v10
	v_rcp_f32_e32 v39, v39
	v_cndmask_b32_e32 v44, 0, v44, vcc
	v_cmp_nlt_f32_e32 vcc, s30, v45
	v_and_b32_e32 v45, 0xffff0000, v11
	v_rcp_f32_e32 v10, v10
	v_cndmask_b32_e32 v46, v42, v44, vcc
	v_lshlrev_b32_e32 v44, 16, v11
	v_pk_add_f32 v[14:15], v[14:15], v[44:45]
	v_pk_mul_f32 v[8:9], v[16:17], v[8:9]
	v_min_f32_e32 v14, 0x40e00000, v14
	v_mul_f32_e32 v44, 0xbfd9db23, v14
	v_mul_f32_e32 v11, 0x3fb8aa3b, v44
	v_fma_f32 v45, v44, s28, -v11
	v_rndne_f32_e32 v47, v11
	v_fmac_f32_e32 v45, 0x32a5705f, v44
	v_sub_f32_e32 v11, v11, v47
	v_add_f32_e32 v11, v11, v45
	v_exp_f32_e32 v45, v11
	v_cvt_i32_f32_e32 v47, v47
	v_min_f32_e32 v15, 0x40e00000, v15
	v_cmp_ngt_f32_e32 vcc, s29, v44
	v_mul_f32_e32 v57, 0xbfd9db23, v15
	v_ldexp_f32 v45, v45, v47
	v_cndmask_b32_e32 v56, 0, v45, vcc
	v_cmp_nlt_f32_e32 vcc, s30, v44
	v_mul_f32_e32 v44, 0x3fb8aa3b, v57
	v_fma_f32 v45, v57, s28, -v44
	v_rndne_f32_e32 v58, v44
	v_fmac_f32_e32 v45, 0x32a5705f, v57
	v_sub_f32_e32 v44, v44, v58
	v_add_f32_e32 v11, 1.0, v46
	v_add_f32_e32 v59, v44, v45
	buffer_load_dwordx4 v[4:7], v40, s[0:3], 0 offen
	buffer_load_dwordx4 v[44:47], v40, s[0:3], 16 offen
	v_exp_f32_e32 v59, v59
	v_cvt_i32_f32_e32 v58, v58
	v_cndmask_b32_e32 v56, v42, v56, vcc
	v_cmp_ngt_f32_e32 vcc, s29, v57
	v_add_f32_e32 v56, 1.0, v56
	v_ldexp_f32 v58, v59, v58
	v_cndmask_b32_e32 v58, 0, v58, vcc
	v_cmp_nlt_f32_e32 vcc, s30, v57
	v_rcp_f32_e32 v11, v11
	v_rcp_f32_e32 v56, v56
	v_cndmask_b32_e32 v57, v42, v58, vcc
	v_add_f32_e32 v57, 1.0, v57
	v_rcp_f32_e32 v57, v57
	v_pk_mul_f32 v[16:17], v[18:19], v[38:39]
	v_pk_mul_f32 v[10:11], v[12:13], v[10:11]
	v_cmp_le_i64_e32 vcc, s[20:21], v[32:33]
	v_pk_mul_f32 v[12:13], v[14:15], v[56:57]
	s_or_b64 s[24:25], vcc, s[24:25]
	s_waitcnt vmcnt(1)
	v_pk_add_f32 v[54:55], v[6:7], v[54:55]
	s_waitcnt vmcnt(0)
	v_pk_add_f32 v[52:53], v[46:47], v[52:53]
	v_pk_add_f32 v[50:51], v[4:5], v[50:51]
	;; [unrolled: 1-line block ×3, first 2 shown]
	buffer_load_dwordx4 v[4:7], v40, s[0:3], 32 offen
	buffer_load_dwordx4 v[44:47], v40, s[0:3], 48 offen
	v_med3_f32 v55, v55, s31, v43
	v_med3_f32 v54, v54, s31, v43
	;; [unrolled: 1-line block ×8, first 2 shown]
	v_pk_add_f32 v[52:53], v[52:53], 1.0 op_sel_hi:[1,0]
	v_pk_add_f32 v[54:55], v[54:55], 1.0 op_sel_hi:[1,0]
	;; [unrolled: 1-line block ×4, first 2 shown]
	v_pk_mul_f32 v[24:25], v[54:55], v[24:25]
	v_pk_mul_f32 v[26:27], v[52:53], v[26:27]
	;; [unrolled: 1-line block ×4, first 2 shown]
	v_perm_b32 v23, v27, v26, s33
	v_perm_b32 v21, v25, v24, s33
	;; [unrolled: 1-line block ×4, first 2 shown]
	buffer_store_dwordx4 v[20:23], v41, s[4:7], 0 offen
	v_and_b32_e32 v25, 0xffff0000, v3
	v_lshlrev_b32_e32 v24, 16, v3
	v_and_b32_e32 v21, 0xffff0000, v2
	v_lshlrev_b32_e32 v20, 16, v2
	;; [unrolled: 2-line block ×4, first 2 shown]
	v_add_u32_e32 v40, s26, v40
	s_waitcnt vmcnt(2)
	v_pk_add_f32 v[0:1], v[6:7], v[2:3]
	s_waitcnt vmcnt(1)
	v_pk_add_f32 v[2:3], v[46:47], v[24:25]
	v_pk_add_f32 v[4:5], v[4:5], v[22:23]
	;; [unrolled: 1-line block ×3, first 2 shown]
	v_med3_f32 v1, v1, s31, v43
	v_med3_f32 v0, v0, s31, v43
	;; [unrolled: 1-line block ×8, first 2 shown]
	v_pk_add_f32 v[2:3], v[2:3], 1.0 op_sel_hi:[1,0]
	v_pk_add_f32 v[0:1], v[0:1], 1.0 op_sel_hi:[1,0]
	;; [unrolled: 1-line block ×4, first 2 shown]
	v_pk_mul_f32 v[0:1], v[0:1], v[16:17]
	v_pk_mul_f32 v[2:3], v[2:3], v[12:13]
	;; [unrolled: 1-line block ×4, first 2 shown]
	v_perm_b32 v3, v3, v2, s33
	v_perm_b32 v1, v1, v0, s33
	;; [unrolled: 1-line block ×4, first 2 shown]
	buffer_store_dwordx4 v[0:3], v41, s[4:7], 16 offen
	v_add_u32_e32 v41, s27, v41
	s_andn2_b64 exec, exec, s[24:25]
	s_cbranch_execnz .LBB347_8
.LBB347_9:
	s_endpgm
	.section	.rodata,"a",@progbits
	.p2align	6, 0x0
	.amdhsa_kernel _ZN5aiter30swiglu_act_and_mul_bias_kernelIttlfLi16EEEvPT0_PKT_PKT1_PKT2_il
		.amdhsa_group_segment_fixed_size 0
		.amdhsa_private_segment_fixed_size 0
		.amdhsa_kernarg_size 304
		.amdhsa_user_sgpr_count 2
		.amdhsa_user_sgpr_dispatch_ptr 0
		.amdhsa_user_sgpr_queue_ptr 0
		.amdhsa_user_sgpr_kernarg_segment_ptr 1
		.amdhsa_user_sgpr_dispatch_id 0
		.amdhsa_user_sgpr_kernarg_preload_length 0
		.amdhsa_user_sgpr_kernarg_preload_offset 0
		.amdhsa_user_sgpr_private_segment_size 0
		.amdhsa_uses_dynamic_stack 0
		.amdhsa_enable_private_segment 0
		.amdhsa_system_sgpr_workgroup_id_x 1
		.amdhsa_system_sgpr_workgroup_id_y 0
		.amdhsa_system_sgpr_workgroup_id_z 0
		.amdhsa_system_sgpr_workgroup_info 0
		.amdhsa_system_vgpr_workitem_id 0
		.amdhsa_next_free_vgpr 60
		.amdhsa_next_free_sgpr 34
		.amdhsa_accum_offset 60
		.amdhsa_reserve_vcc 1
		.amdhsa_float_round_mode_32 0
		.amdhsa_float_round_mode_16_64 0
		.amdhsa_float_denorm_mode_32 3
		.amdhsa_float_denorm_mode_16_64 3
		.amdhsa_dx10_clamp 1
		.amdhsa_ieee_mode 1
		.amdhsa_fp16_overflow 0
		.amdhsa_tg_split 0
		.amdhsa_exception_fp_ieee_invalid_op 0
		.amdhsa_exception_fp_denorm_src 0
		.amdhsa_exception_fp_ieee_div_zero 0
		.amdhsa_exception_fp_ieee_overflow 0
		.amdhsa_exception_fp_ieee_underflow 0
		.amdhsa_exception_fp_ieee_inexact 0
		.amdhsa_exception_int_div_zero 0
	.end_amdhsa_kernel
	.section	.text._ZN5aiter30swiglu_act_and_mul_bias_kernelIttlfLi16EEEvPT0_PKT_PKT1_PKT2_il,"axG",@progbits,_ZN5aiter30swiglu_act_and_mul_bias_kernelIttlfLi16EEEvPT0_PKT_PKT1_PKT2_il,comdat
.Lfunc_end347:
	.size	_ZN5aiter30swiglu_act_and_mul_bias_kernelIttlfLi16EEEvPT0_PKT_PKT1_PKT2_il, .Lfunc_end347-_ZN5aiter30swiglu_act_and_mul_bias_kernelIttlfLi16EEEvPT0_PKT_PKT1_PKT2_il
                                        ; -- End function
	.section	.AMDGPU.csdata,"",@progbits
; Kernel info:
; codeLenInByte = 2976
; NumSgprs: 40
; NumVgprs: 60
; NumAgprs: 0
; TotalNumVgprs: 60
; ScratchSize: 0
; MemoryBound: 0
; FloatMode: 240
; IeeeMode: 1
; LDSByteSize: 0 bytes/workgroup (compile time only)
; SGPRBlocks: 4
; VGPRBlocks: 7
; NumSGPRsForWavesPerEU: 40
; NumVGPRsForWavesPerEU: 60
; AccumOffset: 60
; Occupancy: 8
; WaveLimiterHint : 0
; COMPUTE_PGM_RSRC2:SCRATCH_EN: 0
; COMPUTE_PGM_RSRC2:USER_SGPR: 2
; COMPUTE_PGM_RSRC2:TRAP_HANDLER: 0
; COMPUTE_PGM_RSRC2:TGID_X_EN: 1
; COMPUTE_PGM_RSRC2:TGID_Y_EN: 0
; COMPUTE_PGM_RSRC2:TGID_Z_EN: 0
; COMPUTE_PGM_RSRC2:TIDIG_COMP_CNT: 0
; COMPUTE_PGM_RSRC3_GFX90A:ACCUM_OFFSET: 14
; COMPUTE_PGM_RSRC3_GFX90A:TG_SPLIT: 0
	.section	.text._ZN5aiter30swiglu_act_and_mul_bias_kernelIttlfLi8EEEvPT0_PKT_PKT1_PKT2_il,"axG",@progbits,_ZN5aiter30swiglu_act_and_mul_bias_kernelIttlfLi8EEEvPT0_PKT_PKT1_PKT2_il,comdat
	.protected	_ZN5aiter30swiglu_act_and_mul_bias_kernelIttlfLi8EEEvPT0_PKT_PKT1_PKT2_il ; -- Begin function _ZN5aiter30swiglu_act_and_mul_bias_kernelIttlfLi8EEEvPT0_PKT_PKT1_PKT2_il
	.globl	_ZN5aiter30swiglu_act_and_mul_bias_kernelIttlfLi8EEEvPT0_PKT_PKT1_PKT2_il
	.p2align	8
	.type	_ZN5aiter30swiglu_act_and_mul_bias_kernelIttlfLi8EEEvPT0_PKT_PKT1_PKT2_il,@function
_ZN5aiter30swiglu_act_and_mul_bias_kernelIttlfLi8EEEvPT0_PKT_PKT1_PKT2_il: ; @_ZN5aiter30swiglu_act_and_mul_bias_kernelIttlfLi8EEEvPT0_PKT_PKT1_PKT2_il
; %bb.0:
	s_load_dword s20, s[0:1], 0x20
	s_load_dwordx2 s[4:5], s[0:1], 0x0
	s_load_dwordx2 s[6:7], s[0:1], 0x10
	;; [unrolled: 1-line block ×3, first 2 shown]
	s_mov_b32 s3, 0
	s_waitcnt lgkmcnt(0)
	s_ashr_i32 s21, s20, 31
	s_lshl_b64 s[8:9], s[2:3], 3
	s_add_u32 s6, s6, s8
	s_addc_u32 s7, s7, s9
	s_add_i32 s3, s20, 1
	s_load_dwordx2 s[8:9], s[6:7], 0x0
	s_lshr_b32 s6, s3, 31
	s_add_i32 s3, s3, s6
	s_lshl_b32 s3, s3, 1
	s_and_b32 s6, s3, -4
	s_mul_hi_u32 s3, s20, s2
	s_mul_i32 s7, s21, s2
	s_add_i32 s11, s3, s7
	s_mul_i32 s10, s20, s2
	s_lshl_b64 s[10:11], s[10:11], 1
	v_mov_b64_e32 v[2:3], s[12:13]
	s_add_u32 s4, s4, s10
	s_waitcnt lgkmcnt(0)
	v_cmp_gt_i64_e64 s[14:15], s[8:9], -1
	v_cmp_lt_i64_e32 vcc, s[8:9], v[2:3]
	s_addc_u32 s3, s5, s11
	s_and_b64 s[12:13], s[14:15], vcc
	s_and_b32 s5, s3, 0xffff
	s_mov_b64 s[10:11], -1
	s_and_b64 vcc, exec, s[12:13]
	v_lshlrev_b32_e32 v20, 3, v0
	s_cbranch_vccnz .LBB348_5
; %bb.1:
	v_cmp_gt_i32_e32 vcc, s20, v20
	s_and_saveexec_b64 s[10:11], vcc
	s_cbranch_execz .LBB348_4
; %bb.2:
	s_load_dword s3, s[0:1], 0x3c
	v_mov_b32_e32 v21, 0
	s_mov_b32 s13, 0
	v_lshlrev_b32_e32 v1, 4, v0
	s_mov_b64 s[14:15], 0
	s_waitcnt lgkmcnt(0)
	s_and_b32 s3, s3, 0xffff
	s_lshl_b32 s12, s3, 3
	s_lshl_b32 s3, s3, 4
	s_mov_b32 s7, 0x20000
	v_mov_b32_e32 v2, v21
	v_mov_b32_e32 v3, v21
	v_mov_b32_e32 v4, v21
	v_mov_b32_e32 v5, v21
	v_mov_b64_e32 v[6:7], v[20:21]
.LBB348_3:                              ; =>This Inner Loop Header: Depth=1
	v_lshl_add_u64 v[6:7], s[12:13], 0, v[6:7]
	v_cmp_le_i64_e32 vcc, s[20:21], v[6:7]
	buffer_store_dwordx4 v[2:5], v1, s[4:7], 0 offen
	s_or_b64 s[14:15], vcc, s[14:15]
	v_add_u32_e32 v1, s3, v1
	s_andn2_b64 exec, exec, s[14:15]
	s_cbranch_execnz .LBB348_3
.LBB348_4:
	s_or_b64 exec, exec, s[10:11]
	s_mov_b64 s[10:11], 0
.LBB348_5:
	s_andn2_b64 vcc, exec, s[10:11]
	s_cbranch_vccnz .LBB348_9
; %bb.6:
	v_cmp_gt_i32_e32 vcc, s20, v20
	s_and_saveexec_b64 s[10:11], vcc
	s_cbranch_execz .LBB348_9
; %bb.7:
	s_load_dwordx2 s[12:13], s[0:1], 0x8
	s_load_dwordx2 s[10:11], s[0:1], 0x18
	s_mul_i32 s3, s20, s9
	s_mul_hi_u32 s7, s20, s8
	s_add_i32 s3, s7, s3
	s_mul_i32 s7, s21, s8
	s_add_i32 s9, s3, s7
	s_mul_i32 s8, s20, s8
	s_lshl_b64 s[8:9], s[8:9], 3
	s_waitcnt lgkmcnt(0)
	s_add_u32 s8, s10, s8
	s_load_dword s14, s[0:1], 0x3c
	s_addc_u32 s3, s11, s9
	s_lshl_b64 s[0:1], s[20:21], 2
	s_add_u32 s0, s8, s0
	s_addc_u32 s1, s3, s1
	s_and_b32 s9, s3, 0xffff
	s_mul_i32 s3, s2, s21
	s_mul_hi_u32 s15, s2, s20
	s_add_i32 s3, s15, s3
	s_mul_i32 s2, s2, s20
	s_lshl_b32 s10, s20, 2
	s_and_b32 s1, s1, 0xffff
	s_lshl_b64 s[2:3], s[2:3], 2
	s_add_u32 s12, s12, s2
	s_addc_u32 s13, s13, s3
	s_lshl_b64 s[2:3], s[20:21], 1
	s_add_u32 s16, s12, s2
	s_addc_u32 s2, s13, s3
	s_mov_b32 s7, 0x20000
	s_and_b32 s17, s2, 0xffff
	s_waitcnt lgkmcnt(0)
	s_and_b32 s2, s14, 0xffff
	s_mov_b32 s11, s7
	s_and_b32 s13, s13, 0xffff
	s_mov_b32 s23, 0
	v_mov_b32_e32 v21, 0
	s_lshl_b32 s22, s2, 3
	v_lshlrev_b32_e32 v28, 5, v0
	s_lshl_b32 s26, s2, 5
	v_lshlrev_b32_e32 v29, 4, v0
	s_lshl_b32 s27, s2, 4
	s_mov_b64 s[24:25], 0
	s_mov_b32 s28, 0x3fb8aa3b
	s_mov_b32 s29, 0xc2ce8ed0
	s_mov_b32 s30, 0x42b17218
	v_mov_b32_e32 v30, 0x7f800000
	s_mov_b32 s31, 0xc0e00000
	v_mov_b32_e32 v31, 0x40e00000
	s_mov_b32 s33, 0x7060302
	s_mov_b32 s19, s7
	;; [unrolled: 1-line block ×5, first 2 shown]
.LBB348_8:                              ; =>This Inner Loop Header: Depth=1
	buffer_load_dwordx4 v[12:15], v29, s[12:15], 0 offen
	buffer_load_dwordx4 v[22:25], v28, s[8:11], 0 offen
	;; [unrolled: 1-line block ×4, first 2 shown]
	s_mov_b32 s2, s10
	s_mov_b32 s3, s11
	buffer_load_dwordx4 v[0:3], v28, s[0:3], 0 offen
	buffer_load_dwordx4 v[4:7], v28, s[0:3], 16 offen
	v_lshl_add_u64 v[20:21], s[22:23], 0, v[20:21]
	v_add_u32_e32 v28, s26, v28
	s_waitcnt vmcnt(5)
	v_and_b32_e32 v27, 0xffff0000, v12
	v_lshlrev_b32_e32 v26, 16, v12
	v_and_b32_e32 v33, 0xffff0000, v13
	v_lshlrev_b32_e32 v32, 16, v13
	;; [unrolled: 2-line block ×3, first 2 shown]
	s_waitcnt vmcnt(4)
	v_pk_add_f32 v[22:23], v[22:23], v[26:27]
	s_waitcnt vmcnt(3)
	v_pk_add_f32 v[26:27], v[16:17], v[12:13]
	v_min_f32_e32 v12, 0x40e00000, v22
	v_pk_add_f32 v[24:25], v[24:25], v[32:33]
	v_min_f32_e32 v13, 0x40e00000, v23
	v_mul_f32_e32 v14, 0xbfd9db23, v12
	v_min_f32_e32 v16, 0x40e00000, v24
	v_min_f32_e32 v23, 0x40e00000, v27
	v_mul_f32_e32 v24, 0xbfd9db23, v13
	v_mul_f32_e32 v27, 0x3fb8aa3b, v14
	v_min_f32_e32 v17, 0x40e00000, v25
	v_mul_f32_e32 v25, 0xbfd9db23, v16
	v_mul_f32_e32 v33, 0x3fb8aa3b, v24
	v_fma_f32 v37, v14, s28, -v27
	v_rndne_f32_e32 v38, v27
	v_min_f32_e32 v22, 0x40e00000, v26
	v_mul_f32_e32 v26, 0xbfd9db23, v17
	v_mul_f32_e32 v34, 0x3fb8aa3b, v25
	v_fma_f32 v39, v24, s28, -v33
	v_rndne_f32_e32 v40, v33
	v_fmac_f32_e32 v37, 0x32a5705f, v14
	v_sub_f32_e32 v27, v27, v38
	v_mul_f32_e32 v35, 0x3fb8aa3b, v26
	v_fma_f32 v41, v25, s28, -v34
	v_rndne_f32_e32 v42, v34
	v_fmac_f32_e32 v39, 0x32a5705f, v24
	v_sub_f32_e32 v33, v33, v40
	v_add_f32_e32 v27, v27, v37
	v_fma_f32 v43, v26, s28, -v35
	v_rndne_f32_e32 v44, v35
	v_cvt_i32_f32_e32 v38, v38
	v_fmac_f32_e32 v41, 0x32a5705f, v25
	v_sub_f32_e32 v34, v34, v42
	v_add_f32_e32 v33, v33, v39
	v_exp_f32_e32 v27, v27
	v_cvt_i32_f32_e32 v40, v40
	v_fmac_f32_e32 v43, 0x32a5705f, v26
	v_sub_f32_e32 v35, v35, v44
	v_add_f32_e32 v34, v34, v41
	v_exp_f32_e32 v33, v33
	v_cvt_i32_f32_e32 v42, v42
	v_add_f32_e32 v35, v35, v43
	v_exp_f32_e32 v34, v34
	v_cvt_i32_f32_e32 v44, v44
	v_exp_f32_e32 v35, v35
	v_ldexp_f32 v27, v27, v38
	v_cmp_ngt_f32_e32 vcc, s29, v14
	v_mul_f32_e32 v32, 0xbfd9db23, v22
	v_ldexp_f32 v33, v33, v40
	v_cndmask_b32_e32 v27, 0, v27, vcc
	v_cmp_ngt_f32_e32 vcc, s29, v24
	v_mul_f32_e32 v36, 0x3fb8aa3b, v32
	v_ldexp_f32 v34, v34, v42
	v_cndmask_b32_e32 v33, 0, v33, vcc
	v_cmp_ngt_f32_e32 vcc, s29, v25
	v_fma_f32 v45, v32, s28, -v36
	v_rndne_f32_e32 v46, v36
	v_ldexp_f32 v35, v35, v44
	v_cndmask_b32_e32 v34, 0, v34, vcc
	v_cmp_ngt_f32_e32 vcc, s29, v26
	v_fmac_f32_e32 v45, 0x32a5705f, v32
	v_sub_f32_e32 v36, v36, v46
	v_cndmask_b32_e32 v35, 0, v35, vcc
	v_cmp_nlt_f32_e32 vcc, s30, v14
	v_add_f32_e32 v36, v36, v45
	v_cvt_i32_f32_e32 v46, v46
	v_cndmask_b32_e32 v14, v30, v27, vcc
	v_cmp_nlt_f32_e32 vcc, s30, v24
	v_exp_f32_e32 v36, v36
	v_add_f32_e32 v14, 1.0, v14
	v_cndmask_b32_e32 v24, v30, v33, vcc
	v_cmp_nlt_f32_e32 vcc, s30, v25
	v_add_f32_e32 v27, 1.0, v24
	v_ldexp_f32 v36, v36, v46
	v_cndmask_b32_e32 v25, v30, v34, vcc
	v_cmp_nlt_f32_e32 vcc, s30, v26
	v_add_f32_e32 v33, 1.0, v25
	v_rcp_f32_e32 v25, v27
	v_cndmask_b32_e32 v26, v30, v35, vcc
	v_add_f32_e32 v34, 1.0, v26
	v_rcp_f32_e32 v26, v33
	v_mul_f32_e32 v33, 0xbfd9db23, v23
	v_rcp_f32_e32 v27, v34
	v_cmp_ngt_f32_e32 vcc, s29, v32
	v_mul_f32_e32 v34, 0x3fb8aa3b, v33
	v_rcp_f32_e32 v24, v14
	v_cndmask_b32_e32 v14, 0, v36, vcc
	v_fma_f32 v35, v33, s28, -v34
	v_rndne_f32_e32 v36, v34
	v_fmac_f32_e32 v35, 0x32a5705f, v33
	v_sub_f32_e32 v34, v34, v36
	v_add_f32_e32 v34, v34, v35
	v_exp_f32_e32 v34, v34
	v_cvt_i32_f32_e32 v35, v36
	v_cmp_nlt_f32_e32 vcc, s30, v32
	s_waitcnt vmcnt(2)
	v_and_b32_e32 v39, 0xffff0000, v11
	v_lshlrev_b32_e32 v38, 16, v11
	v_cndmask_b32_e32 v14, v30, v14, vcc
	v_ldexp_f32 v32, v34, v35
	v_cmp_ngt_f32_e32 vcc, s29, v33
	v_add_f32_e32 v14, 1.0, v14
	v_rcp_f32_e32 v14, v14
	v_cndmask_b32_e32 v32, 0, v32, vcc
	v_cmp_nlt_f32_e32 vcc, s30, v33
	v_and_b32_e32 v33, 0xffff0000, v15
	v_and_b32_e32 v11, 0xffff0000, v9
	v_cndmask_b32_e32 v34, v30, v32, vcc
	v_lshlrev_b32_e32 v32, 16, v15
	v_pk_add_f32 v[18:19], v[18:19], v[32:33]
	s_waitcnt vmcnt(0)
	v_pk_add_f32 v[6:7], v[6:7], v[38:39]
	v_min_f32_e32 v18, 0x40e00000, v18
	v_mul_f32_e32 v32, 0xbfd9db23, v18
	v_mul_f32_e32 v15, 0x3fb8aa3b, v32
	v_fma_f32 v33, v32, s28, -v15
	v_rndne_f32_e32 v35, v15
	v_fmac_f32_e32 v33, 0x32a5705f, v32
	v_sub_f32_e32 v15, v15, v35
	v_add_f32_e32 v15, v15, v33
	v_exp_f32_e32 v33, v15
	v_cvt_i32_f32_e32 v35, v35
	v_min_f32_e32 v19, 0x40e00000, v19
	v_add_f32_e32 v15, 1.0, v34
	v_mul_f32_e32 v34, 0xbfd9db23, v19
	v_ldexp_f32 v33, v33, v35
	v_mul_f32_e32 v35, 0x3fb8aa3b, v34
	v_fma_f32 v36, v34, s28, -v35
	v_rndne_f32_e32 v37, v35
	v_fmac_f32_e32 v36, 0x32a5705f, v34
	v_sub_f32_e32 v35, v35, v37
	v_add_f32_e32 v35, v35, v36
	v_exp_f32_e32 v35, v35
	v_cvt_i32_f32_e32 v36, v37
	v_cmp_ngt_f32_e32 vcc, s29, v32
	v_rcp_f32_e32 v15, v15
	v_and_b32_e32 v37, 0xffff0000, v8
	v_cndmask_b32_e32 v33, 0, v33, vcc
	v_cmp_nlt_f32_e32 vcc, s30, v32
	v_med3_f32 v7, v7, s31, v31
	v_med3_f32 v6, v6, s31, v31
	v_cndmask_b32_e32 v32, v30, v33, vcc
	v_ldexp_f32 v33, v35, v36
	v_cmp_ngt_f32_e32 vcc, s29, v34
	v_add_f32_e32 v32, 1.0, v32
	v_rcp_f32_e32 v32, v32
	v_cndmask_b32_e32 v33, 0, v33, vcc
	v_cmp_nlt_f32_e32 vcc, s30, v34
	v_and_b32_e32 v35, 0xffff0000, v10
	v_lshlrev_b32_e32 v34, 16, v10
	v_cndmask_b32_e32 v33, v30, v33, vcc
	v_add_f32_e32 v33, 1.0, v33
	v_rcp_f32_e32 v33, v33
	v_lshlrev_b32_e32 v36, 16, v8
	v_lshlrev_b32_e32 v10, 16, v9
	v_pk_add_f32 v[2:3], v[2:3], v[10:11]
	v_pk_add_f32 v[0:1], v[0:1], v[36:37]
	;; [unrolled: 1-line block ×3, first 2 shown]
	v_med3_f32 v3, v3, s31, v31
	v_med3_f32 v2, v2, s31, v31
	;; [unrolled: 1-line block ×6, first 2 shown]
	v_pk_add_f32 v[6:7], v[6:7], 1.0 op_sel_hi:[1,0]
	v_pk_add_f32 v[2:3], v[2:3], 1.0 op_sel_hi:[1,0]
	v_pk_add_f32 v[4:5], v[4:5], 1.0 op_sel_hi:[1,0]
	v_pk_add_f32 v[0:1], v[0:1], 1.0 op_sel_hi:[1,0]
	v_pk_mul_f32 v[8:9], v[12:13], v[24:25]
	v_pk_mul_f32 v[10:11], v[16:17], v[26:27]
	;; [unrolled: 1-line block ×8, first 2 shown]
	v_perm_b32 v3, v3, v2, s33
	v_perm_b32 v1, v11, v10, s33
	v_perm_b32 v2, v5, v4, s33
	v_perm_b32 v0, v7, v6, s33
	v_cmp_le_i64_e32 vcc, s[20:21], v[20:21]
	buffer_store_dwordx4 v[0:3], v29, s[4:7], 0 offen
	s_or_b64 s[24:25], vcc, s[24:25]
	v_add_u32_e32 v29, s27, v29
	s_andn2_b64 exec, exec, s[24:25]
	s_cbranch_execnz .LBB348_8
.LBB348_9:
	s_endpgm
	.section	.rodata,"a",@progbits
	.p2align	6, 0x0
	.amdhsa_kernel _ZN5aiter30swiglu_act_and_mul_bias_kernelIttlfLi8EEEvPT0_PKT_PKT1_PKT2_il
		.amdhsa_group_segment_fixed_size 0
		.amdhsa_private_segment_fixed_size 0
		.amdhsa_kernarg_size 304
		.amdhsa_user_sgpr_count 2
		.amdhsa_user_sgpr_dispatch_ptr 0
		.amdhsa_user_sgpr_queue_ptr 0
		.amdhsa_user_sgpr_kernarg_segment_ptr 1
		.amdhsa_user_sgpr_dispatch_id 0
		.amdhsa_user_sgpr_kernarg_preload_length 0
		.amdhsa_user_sgpr_kernarg_preload_offset 0
		.amdhsa_user_sgpr_private_segment_size 0
		.amdhsa_uses_dynamic_stack 0
		.amdhsa_enable_private_segment 0
		.amdhsa_system_sgpr_workgroup_id_x 1
		.amdhsa_system_sgpr_workgroup_id_y 0
		.amdhsa_system_sgpr_workgroup_id_z 0
		.amdhsa_system_sgpr_workgroup_info 0
		.amdhsa_system_vgpr_workitem_id 0
		.amdhsa_next_free_vgpr 47
		.amdhsa_next_free_sgpr 34
		.amdhsa_accum_offset 48
		.amdhsa_reserve_vcc 1
		.amdhsa_float_round_mode_32 0
		.amdhsa_float_round_mode_16_64 0
		.amdhsa_float_denorm_mode_32 3
		.amdhsa_float_denorm_mode_16_64 3
		.amdhsa_dx10_clamp 1
		.amdhsa_ieee_mode 1
		.amdhsa_fp16_overflow 0
		.amdhsa_tg_split 0
		.amdhsa_exception_fp_ieee_invalid_op 0
		.amdhsa_exception_fp_denorm_src 0
		.amdhsa_exception_fp_ieee_div_zero 0
		.amdhsa_exception_fp_ieee_overflow 0
		.amdhsa_exception_fp_ieee_underflow 0
		.amdhsa_exception_fp_ieee_inexact 0
		.amdhsa_exception_int_div_zero 0
	.end_amdhsa_kernel
	.section	.text._ZN5aiter30swiglu_act_and_mul_bias_kernelIttlfLi8EEEvPT0_PKT_PKT1_PKT2_il,"axG",@progbits,_ZN5aiter30swiglu_act_and_mul_bias_kernelIttlfLi8EEEvPT0_PKT_PKT1_PKT2_il,comdat
.Lfunc_end348:
	.size	_ZN5aiter30swiglu_act_and_mul_bias_kernelIttlfLi8EEEvPT0_PKT_PKT1_PKT2_il, .Lfunc_end348-_ZN5aiter30swiglu_act_and_mul_bias_kernelIttlfLi8EEEvPT0_PKT_PKT1_PKT2_il
                                        ; -- End function
	.section	.AMDGPU.csdata,"",@progbits
; Kernel info:
; codeLenInByte = 1796
; NumSgprs: 40
; NumVgprs: 47
; NumAgprs: 0
; TotalNumVgprs: 47
; ScratchSize: 0
; MemoryBound: 0
; FloatMode: 240
; IeeeMode: 1
; LDSByteSize: 0 bytes/workgroup (compile time only)
; SGPRBlocks: 4
; VGPRBlocks: 5
; NumSGPRsForWavesPerEU: 40
; NumVGPRsForWavesPerEU: 47
; AccumOffset: 48
; Occupancy: 8
; WaveLimiterHint : 0
; COMPUTE_PGM_RSRC2:SCRATCH_EN: 0
; COMPUTE_PGM_RSRC2:USER_SGPR: 2
; COMPUTE_PGM_RSRC2:TRAP_HANDLER: 0
; COMPUTE_PGM_RSRC2:TGID_X_EN: 1
; COMPUTE_PGM_RSRC2:TGID_Y_EN: 0
; COMPUTE_PGM_RSRC2:TGID_Z_EN: 0
; COMPUTE_PGM_RSRC2:TIDIG_COMP_CNT: 0
; COMPUTE_PGM_RSRC3_GFX90A:ACCUM_OFFSET: 11
; COMPUTE_PGM_RSRC3_GFX90A:TG_SPLIT: 0
	.section	.text._ZN5aiter30swiglu_act_and_mul_bias_kernelIttlfLi4EEEvPT0_PKT_PKT1_PKT2_il,"axG",@progbits,_ZN5aiter30swiglu_act_and_mul_bias_kernelIttlfLi4EEEvPT0_PKT_PKT1_PKT2_il,comdat
	.protected	_ZN5aiter30swiglu_act_and_mul_bias_kernelIttlfLi4EEEvPT0_PKT_PKT1_PKT2_il ; -- Begin function _ZN5aiter30swiglu_act_and_mul_bias_kernelIttlfLi4EEEvPT0_PKT_PKT1_PKT2_il
	.globl	_ZN5aiter30swiglu_act_and_mul_bias_kernelIttlfLi4EEEvPT0_PKT_PKT1_PKT2_il
	.p2align	8
	.type	_ZN5aiter30swiglu_act_and_mul_bias_kernelIttlfLi4EEEvPT0_PKT_PKT1_PKT2_il,@function
_ZN5aiter30swiglu_act_and_mul_bias_kernelIttlfLi4EEEvPT0_PKT_PKT1_PKT2_il: ; @_ZN5aiter30swiglu_act_and_mul_bias_kernelIttlfLi4EEEvPT0_PKT_PKT1_PKT2_il
; %bb.0:
	s_load_dword s20, s[0:1], 0x20
	s_load_dwordx2 s[4:5], s[0:1], 0x0
	s_load_dwordx2 s[6:7], s[0:1], 0x10
	;; [unrolled: 1-line block ×3, first 2 shown]
	s_mov_b32 s3, 0
	s_waitcnt lgkmcnt(0)
	s_ashr_i32 s21, s20, 31
	s_lshl_b64 s[8:9], s[2:3], 3
	s_add_u32 s6, s6, s8
	s_addc_u32 s7, s7, s9
	s_add_i32 s3, s20, 1
	s_load_dwordx2 s[8:9], s[6:7], 0x0
	s_lshr_b32 s6, s3, 31
	s_add_i32 s3, s3, s6
	s_lshl_b32 s3, s3, 1
	s_and_b32 s6, s3, -4
	s_mul_hi_u32 s3, s20, s2
	s_mul_i32 s7, s21, s2
	s_add_i32 s11, s3, s7
	s_mul_i32 s10, s20, s2
	s_lshl_b64 s[10:11], s[10:11], 1
	v_mov_b64_e32 v[2:3], s[12:13]
	s_add_u32 s4, s4, s10
	s_waitcnt lgkmcnt(0)
	v_cmp_gt_i64_e64 s[14:15], s[8:9], -1
	v_cmp_lt_i64_e32 vcc, s[8:9], v[2:3]
	s_addc_u32 s3, s5, s11
	s_and_b64 s[12:13], s[14:15], vcc
	s_and_b32 s5, s3, 0xffff
	s_mov_b64 s[10:11], -1
	s_and_b64 vcc, exec, s[12:13]
	v_lshlrev_b32_e32 v8, 2, v0
	s_cbranch_vccnz .LBB349_5
; %bb.1:
	v_cmp_gt_i32_e32 vcc, s20, v8
	s_and_saveexec_b64 s[10:11], vcc
	s_cbranch_execz .LBB349_4
; %bb.2:
	s_load_dword s3, s[0:1], 0x3c
	v_mov_b32_e32 v9, 0
	s_mov_b32 s13, 0
	v_lshlrev_b32_e32 v1, 3, v0
	s_mov_b64 s[14:15], 0
	s_waitcnt lgkmcnt(0)
	s_and_b32 s3, s3, 0xffff
	s_lshl_b32 s12, s3, 2
	s_lshl_b32 s3, s3, 3
	s_mov_b32 s7, 0x20000
	v_mov_b32_e32 v2, v9
	v_mov_b32_e32 v3, v9
	v_mov_b64_e32 v[4:5], v[8:9]
.LBB349_3:                              ; =>This Inner Loop Header: Depth=1
	v_lshl_add_u64 v[4:5], s[12:13], 0, v[4:5]
	v_cmp_le_i64_e32 vcc, s[20:21], v[4:5]
	buffer_store_dwordx2 v[2:3], v1, s[4:7], 0 offen
	s_or_b64 s[14:15], vcc, s[14:15]
	v_add_u32_e32 v1, s3, v1
	s_andn2_b64 exec, exec, s[14:15]
	s_cbranch_execnz .LBB349_3
.LBB349_4:
	s_or_b64 exec, exec, s[10:11]
	s_mov_b64 s[10:11], 0
.LBB349_5:
	s_andn2_b64 vcc, exec, s[10:11]
	s_cbranch_vccnz .LBB349_9
; %bb.6:
	v_cmp_gt_i32_e32 vcc, s20, v8
	s_and_saveexec_b64 s[10:11], vcc
	s_cbranch_execz .LBB349_9
; %bb.7:
	s_load_dwordx2 s[12:13], s[0:1], 0x8
	s_load_dwordx2 s[10:11], s[0:1], 0x18
	s_mul_i32 s3, s20, s9
	s_mul_hi_u32 s7, s20, s8
	s_add_i32 s3, s7, s3
	s_mul_i32 s7, s21, s8
	s_add_i32 s9, s3, s7
	s_mul_i32 s8, s20, s8
	s_lshl_b64 s[8:9], s[8:9], 3
	s_waitcnt lgkmcnt(0)
	s_add_u32 s8, s10, s8
	s_load_dword s14, s[0:1], 0x3c
	s_addc_u32 s3, s11, s9
	s_lshl_b64 s[0:1], s[20:21], 2
	s_add_u32 s0, s8, s0
	s_addc_u32 s1, s3, s1
	s_and_b32 s9, s3, 0xffff
	s_mul_i32 s3, s2, s21
	s_mul_hi_u32 s15, s2, s20
	s_add_i32 s3, s15, s3
	s_mul_i32 s2, s2, s20
	s_lshl_b32 s10, s20, 2
	s_and_b32 s1, s1, 0xffff
	s_lshl_b64 s[2:3], s[2:3], 2
	s_add_u32 s12, s12, s2
	s_addc_u32 s13, s13, s3
	s_lshl_b64 s[2:3], s[20:21], 1
	s_add_u32 s16, s12, s2
	s_addc_u32 s2, s13, s3
	s_mov_b32 s7, 0x20000
	s_and_b32 s17, s2, 0xffff
	s_waitcnt lgkmcnt(0)
	s_and_b32 s2, s14, 0xffff
	s_mov_b32 s11, s7
	s_and_b32 s13, s13, 0xffff
	s_mov_b32 s23, 0
	v_mov_b32_e32 v9, 0
	s_lshl_b32 s22, s2, 2
	v_lshlrev_b32_e32 v14, 4, v0
	s_lshl_b32 s26, s2, 4
	v_lshlrev_b32_e32 v15, 3, v0
	s_lshl_b32 s27, s2, 3
	s_mov_b64 s[24:25], 0
	s_mov_b32 s19, s7
	s_mov_b32 s18, s6
	;; [unrolled: 1-line block ×5, first 2 shown]
	v_mov_b32_e32 v16, 0x7f800000
	s_mov_b32 s31, 0xc0e00000
	v_mov_b32_e32 v17, 0x40e00000
	s_mov_b32 s33, 0x7060302
	s_mov_b32 s14, s6
	;; [unrolled: 1-line block ×3, first 2 shown]
.LBB349_8:                              ; =>This Inner Loop Header: Depth=1
	buffer_load_dwordx2 v[10:11], v15, s[12:15], 0 offen
	buffer_load_dwordx2 v[12:13], v15, s[16:19], 0 offen
	buffer_load_dwordx4 v[0:3], v14, s[8:11], 0 offen
	s_mov_b32 s2, s10
	s_mov_b32 s3, s11
	buffer_load_dwordx4 v[4:7], v14, s[0:3], 0 offen
	v_lshl_add_u64 v[8:9], s[22:23], 0, v[8:9]
	v_cmp_le_i64_e32 vcc, s[20:21], v[8:9]
	s_or_b64 s[24:25], vcc, s[24:25]
	v_add_u32_e32 v14, s26, v14
	s_waitcnt vmcnt(3)
	v_and_b32_e32 v19, 0xffff0000, v10
	v_lshlrev_b32_e32 v18, 16, v10
	s_waitcnt vmcnt(1)
	v_pk_add_f32 v[0:1], v[0:1], v[18:19]
	v_and_b32_e32 v21, 0xffff0000, v11
	v_lshlrev_b32_e32 v20, 16, v11
	v_and_b32_e32 v11, 0xffff0000, v12
	v_lshlrev_b32_e32 v10, 16, v12
	v_min_f32_e32 v0, 0x40e00000, v0
	v_pk_add_f32 v[2:3], v[2:3], v[20:21]
	s_waitcnt vmcnt(0)
	v_pk_add_f32 v[4:5], v[4:5], v[10:11]
	v_min_f32_e32 v1, 0x40e00000, v1
	v_mul_f32_e32 v10, 0xbfd9db23, v0
	v_and_b32_e32 v23, 0xffff0000, v13
	v_lshlrev_b32_e32 v22, 16, v13
	v_min_f32_e32 v2, 0x40e00000, v2
	v_mul_f32_e32 v11, 0xbfd9db23, v1
	v_mul_f32_e32 v18, 0x3fb8aa3b, v10
	v_pk_add_f32 v[6:7], v[6:7], v[22:23]
	v_min_f32_e32 v3, 0x40e00000, v3
	v_mul_f32_e32 v12, 0xbfd9db23, v2
	v_mul_f32_e32 v19, 0x3fb8aa3b, v11
	v_fma_f32 v22, v10, s28, -v18
	v_rndne_f32_e32 v23, v18
	v_mul_f32_e32 v13, 0xbfd9db23, v3
	v_mul_f32_e32 v20, 0x3fb8aa3b, v12
	v_fma_f32 v24, v11, s28, -v19
	v_rndne_f32_e32 v25, v19
	v_fmac_f32_e32 v22, 0x32a5705f, v10
	v_sub_f32_e32 v18, v18, v23
	v_mul_f32_e32 v21, 0x3fb8aa3b, v13
	v_fma_f32 v26, v12, s28, -v20
	v_rndne_f32_e32 v27, v20
	v_fmac_f32_e32 v24, 0x32a5705f, v11
	v_sub_f32_e32 v19, v19, v25
	v_add_f32_e32 v18, v18, v22
	v_fma_f32 v28, v13, s28, -v21
	v_rndne_f32_e32 v29, v21
	v_cvt_i32_f32_e32 v23, v23
	v_fmac_f32_e32 v26, 0x32a5705f, v12
	v_sub_f32_e32 v20, v20, v27
	v_add_f32_e32 v19, v19, v24
	v_exp_f32_e32 v18, v18
	v_cvt_i32_f32_e32 v25, v25
	v_fmac_f32_e32 v28, 0x32a5705f, v13
	v_sub_f32_e32 v21, v21, v29
	v_add_f32_e32 v20, v20, v26
	v_exp_f32_e32 v19, v19
	v_cvt_i32_f32_e32 v27, v27
	v_add_f32_e32 v21, v21, v28
	v_exp_f32_e32 v20, v20
	v_cvt_i32_f32_e32 v29, v29
	v_exp_f32_e32 v21, v21
	v_ldexp_f32 v18, v18, v23
	v_cmp_ngt_f32_e32 vcc, s29, v10
	v_ldexp_f32 v19, v19, v25
	v_ldexp_f32 v20, v20, v27
	v_cndmask_b32_e32 v18, 0, v18, vcc
	v_cmp_ngt_f32_e32 vcc, s29, v11
	v_ldexp_f32 v21, v21, v29
	v_med3_f32 v7, v7, s31, v17
	v_cndmask_b32_e32 v19, 0, v19, vcc
	v_cmp_ngt_f32_e32 vcc, s29, v12
	v_med3_f32 v6, v6, s31, v17
	v_med3_f32 v5, v5, s31, v17
	v_cndmask_b32_e32 v20, 0, v20, vcc
	v_cmp_ngt_f32_e32 vcc, s29, v13
	v_med3_f32 v4, v4, s31, v17
	v_pk_add_f32 v[6:7], v[6:7], 1.0 op_sel_hi:[1,0]
	v_cndmask_b32_e32 v21, 0, v21, vcc
	v_cmp_nlt_f32_e32 vcc, s30, v10
	v_pk_add_f32 v[4:5], v[4:5], 1.0 op_sel_hi:[1,0]
	s_nop 0
	v_cndmask_b32_e32 v10, v16, v18, vcc
	v_cmp_nlt_f32_e32 vcc, s30, v11
	v_add_f32_e32 v10, 1.0, v10
	v_rcp_f32_e32 v10, v10
	v_cndmask_b32_e32 v11, v16, v19, vcc
	v_cmp_nlt_f32_e32 vcc, s30, v12
	v_add_f32_e32 v11, 1.0, v11
	v_rcp_f32_e32 v11, v11
	;; [unrolled: 4-line block ×3, first 2 shown]
	v_cndmask_b32_e32 v13, v16, v21, vcc
	v_add_f32_e32 v13, 1.0, v13
	v_rcp_f32_e32 v13, v13
	v_pk_mul_f32 v[0:1], v[0:1], v[10:11]
	v_pk_mul_f32 v[2:3], v[2:3], v[12:13]
	s_nop 0
	v_pk_mul_f32 v[2:3], v[6:7], v[2:3]
	v_pk_mul_f32 v[0:1], v[4:5], v[0:1]
	v_perm_b32 v3, v3, v2, s33
	v_perm_b32 v2, v1, v0, s33
	buffer_store_dwordx2 v[2:3], v15, s[4:7], 0 offen
	v_add_u32_e32 v15, s27, v15
	s_andn2_b64 exec, exec, s[24:25]
	s_cbranch_execnz .LBB349_8
.LBB349_9:
	s_endpgm
	.section	.rodata,"a",@progbits
	.p2align	6, 0x0
	.amdhsa_kernel _ZN5aiter30swiglu_act_and_mul_bias_kernelIttlfLi4EEEvPT0_PKT_PKT1_PKT2_il
		.amdhsa_group_segment_fixed_size 0
		.amdhsa_private_segment_fixed_size 0
		.amdhsa_kernarg_size 304
		.amdhsa_user_sgpr_count 2
		.amdhsa_user_sgpr_dispatch_ptr 0
		.amdhsa_user_sgpr_queue_ptr 0
		.amdhsa_user_sgpr_kernarg_segment_ptr 1
		.amdhsa_user_sgpr_dispatch_id 0
		.amdhsa_user_sgpr_kernarg_preload_length 0
		.amdhsa_user_sgpr_kernarg_preload_offset 0
		.amdhsa_user_sgpr_private_segment_size 0
		.amdhsa_uses_dynamic_stack 0
		.amdhsa_enable_private_segment 0
		.amdhsa_system_sgpr_workgroup_id_x 1
		.amdhsa_system_sgpr_workgroup_id_y 0
		.amdhsa_system_sgpr_workgroup_id_z 0
		.amdhsa_system_sgpr_workgroup_info 0
		.amdhsa_system_vgpr_workitem_id 0
		.amdhsa_next_free_vgpr 30
		.amdhsa_next_free_sgpr 34
		.amdhsa_accum_offset 32
		.amdhsa_reserve_vcc 1
		.amdhsa_float_round_mode_32 0
		.amdhsa_float_round_mode_16_64 0
		.amdhsa_float_denorm_mode_32 3
		.amdhsa_float_denorm_mode_16_64 3
		.amdhsa_dx10_clamp 1
		.amdhsa_ieee_mode 1
		.amdhsa_fp16_overflow 0
		.amdhsa_tg_split 0
		.amdhsa_exception_fp_ieee_invalid_op 0
		.amdhsa_exception_fp_denorm_src 0
		.amdhsa_exception_fp_ieee_div_zero 0
		.amdhsa_exception_fp_ieee_overflow 0
		.amdhsa_exception_fp_ieee_underflow 0
		.amdhsa_exception_fp_ieee_inexact 0
		.amdhsa_exception_int_div_zero 0
	.end_amdhsa_kernel
	.section	.text._ZN5aiter30swiglu_act_and_mul_bias_kernelIttlfLi4EEEvPT0_PKT_PKT1_PKT2_il,"axG",@progbits,_ZN5aiter30swiglu_act_and_mul_bias_kernelIttlfLi4EEEvPT0_PKT_PKT1_PKT2_il,comdat
.Lfunc_end349:
	.size	_ZN5aiter30swiglu_act_and_mul_bias_kernelIttlfLi4EEEvPT0_PKT_PKT1_PKT2_il, .Lfunc_end349-_ZN5aiter30swiglu_act_and_mul_bias_kernelIttlfLi4EEEvPT0_PKT_PKT1_PKT2_il
                                        ; -- End function
	.section	.AMDGPU.csdata,"",@progbits
; Kernel info:
; codeLenInByte = 1228
; NumSgprs: 40
; NumVgprs: 30
; NumAgprs: 0
; TotalNumVgprs: 30
; ScratchSize: 0
; MemoryBound: 0
; FloatMode: 240
; IeeeMode: 1
; LDSByteSize: 0 bytes/workgroup (compile time only)
; SGPRBlocks: 4
; VGPRBlocks: 3
; NumSGPRsForWavesPerEU: 40
; NumVGPRsForWavesPerEU: 30
; AccumOffset: 32
; Occupancy: 8
; WaveLimiterHint : 0
; COMPUTE_PGM_RSRC2:SCRATCH_EN: 0
; COMPUTE_PGM_RSRC2:USER_SGPR: 2
; COMPUTE_PGM_RSRC2:TRAP_HANDLER: 0
; COMPUTE_PGM_RSRC2:TGID_X_EN: 1
; COMPUTE_PGM_RSRC2:TGID_Y_EN: 0
; COMPUTE_PGM_RSRC2:TGID_Z_EN: 0
; COMPUTE_PGM_RSRC2:TIDIG_COMP_CNT: 0
; COMPUTE_PGM_RSRC3_GFX90A:ACCUM_OFFSET: 7
; COMPUTE_PGM_RSRC3_GFX90A:TG_SPLIT: 0
	.section	.text._ZN5aiter30swiglu_act_and_mul_bias_kernelIttlfLi2EEEvPT0_PKT_PKT1_PKT2_il,"axG",@progbits,_ZN5aiter30swiglu_act_and_mul_bias_kernelIttlfLi2EEEvPT0_PKT_PKT1_PKT2_il,comdat
	.protected	_ZN5aiter30swiglu_act_and_mul_bias_kernelIttlfLi2EEEvPT0_PKT_PKT1_PKT2_il ; -- Begin function _ZN5aiter30swiglu_act_and_mul_bias_kernelIttlfLi2EEEvPT0_PKT_PKT1_PKT2_il
	.globl	_ZN5aiter30swiglu_act_and_mul_bias_kernelIttlfLi2EEEvPT0_PKT_PKT1_PKT2_il
	.p2align	8
	.type	_ZN5aiter30swiglu_act_and_mul_bias_kernelIttlfLi2EEEvPT0_PKT_PKT1_PKT2_il,@function
_ZN5aiter30swiglu_act_and_mul_bias_kernelIttlfLi2EEEvPT0_PKT_PKT1_PKT2_il: ; @_ZN5aiter30swiglu_act_and_mul_bias_kernelIttlfLi2EEEvPT0_PKT_PKT1_PKT2_il
; %bb.0:
	s_load_dword s20, s[0:1], 0x20
	s_load_dwordx2 s[4:5], s[0:1], 0x0
	s_load_dwordx2 s[6:7], s[0:1], 0x10
	;; [unrolled: 1-line block ×3, first 2 shown]
	s_mov_b32 s3, 0
	s_waitcnt lgkmcnt(0)
	s_ashr_i32 s21, s20, 31
	s_lshl_b64 s[8:9], s[2:3], 3
	s_add_u32 s6, s6, s8
	s_addc_u32 s7, s7, s9
	s_add_i32 s3, s20, 1
	s_load_dwordx2 s[8:9], s[6:7], 0x0
	s_lshr_b32 s6, s3, 31
	s_add_i32 s3, s3, s6
	s_lshl_b32 s3, s3, 1
	s_and_b32 s6, s3, -4
	s_mul_hi_u32 s3, s20, s2
	s_mul_i32 s7, s21, s2
	s_add_i32 s11, s3, s7
	s_mul_i32 s10, s20, s2
	s_lshl_b64 s[10:11], s[10:11], 1
	v_mov_b64_e32 v[2:3], s[12:13]
	s_add_u32 s4, s4, s10
	s_waitcnt lgkmcnt(0)
	v_cmp_gt_i64_e64 s[14:15], s[8:9], -1
	v_cmp_lt_i64_e32 vcc, s[8:9], v[2:3]
	s_addc_u32 s3, s5, s11
	s_and_b64 s[12:13], s[14:15], vcc
	s_and_b32 s5, s3, 0xffff
	s_mov_b64 s[10:11], -1
	s_and_b64 vcc, exec, s[12:13]
	v_lshlrev_b32_e32 v2, 1, v0
	s_cbranch_vccnz .LBB350_5
; %bb.1:
	v_cmp_gt_i32_e32 vcc, s20, v2
	s_and_saveexec_b64 s[10:11], vcc
	s_cbranch_execz .LBB350_4
; %bb.2:
	s_load_dword s3, s[0:1], 0x3c
	v_mov_b32_e32 v3, 0
	s_mov_b32 s13, 0
	v_lshlrev_b32_e32 v1, 2, v0
	s_mov_b64 s[14:15], 0
	s_waitcnt lgkmcnt(0)
	s_and_b32 s3, s3, 0xffff
	s_lshl_b32 s12, s3, 1
	s_lshl_b32 s3, s3, 2
	s_mov_b32 s7, 0x20000
	v_mov_b64_e32 v[4:5], v[2:3]
.LBB350_3:                              ; =>This Inner Loop Header: Depth=1
	v_lshl_add_u64 v[4:5], s[12:13], 0, v[4:5]
	v_cmp_le_i64_e32 vcc, s[20:21], v[4:5]
	buffer_store_dword v3, v1, s[4:7], 0 offen
	s_or_b64 s[14:15], vcc, s[14:15]
	v_add_u32_e32 v1, s3, v1
	s_andn2_b64 exec, exec, s[14:15]
	s_cbranch_execnz .LBB350_3
.LBB350_4:
	s_or_b64 exec, exec, s[10:11]
	s_mov_b64 s[10:11], 0
.LBB350_5:
	s_andn2_b64 vcc, exec, s[10:11]
	s_cbranch_vccnz .LBB350_9
; %bb.6:
	v_cmp_gt_i32_e32 vcc, s20, v2
	s_and_saveexec_b64 s[10:11], vcc
	s_cbranch_execz .LBB350_9
; %bb.7:
	s_load_dwordx2 s[12:13], s[0:1], 0x8
	s_load_dwordx2 s[10:11], s[0:1], 0x18
	s_mul_i32 s3, s20, s9
	s_mul_hi_u32 s7, s20, s8
	s_add_i32 s3, s7, s3
	s_mul_i32 s7, s21, s8
	s_add_i32 s9, s3, s7
	s_mul_i32 s8, s20, s8
	s_lshl_b64 s[8:9], s[8:9], 3
	s_waitcnt lgkmcnt(0)
	s_add_u32 s8, s10, s8
	s_load_dword s14, s[0:1], 0x3c
	s_addc_u32 s3, s11, s9
	s_lshl_b64 s[0:1], s[20:21], 2
	s_add_u32 s0, s8, s0
	s_addc_u32 s1, s3, s1
	s_and_b32 s9, s3, 0xffff
	s_mul_i32 s3, s2, s21
	s_mul_hi_u32 s15, s2, s20
	s_add_i32 s3, s15, s3
	s_mul_i32 s2, s2, s20
	s_lshl_b32 s10, s20, 2
	s_and_b32 s1, s1, 0xffff
	s_lshl_b64 s[2:3], s[2:3], 2
	s_add_u32 s12, s12, s2
	s_addc_u32 s13, s13, s3
	s_lshl_b64 s[2:3], s[20:21], 1
	s_add_u32 s16, s12, s2
	s_addc_u32 s2, s13, s3
	s_mov_b32 s7, 0x20000
	s_and_b32 s17, s2, 0xffff
	s_waitcnt lgkmcnt(0)
	s_and_b32 s2, s14, 0xffff
	s_mov_b32 s11, s7
	s_and_b32 s13, s13, 0xffff
	s_mov_b32 s23, 0
	v_mov_b32_e32 v3, 0
	s_lshl_b32 s22, s2, 1
	v_lshlrev_b32_e32 v1, 3, v0
	s_lshl_b32 s26, s2, 3
	v_lshlrev_b32_e32 v0, 2, v0
	s_lshl_b32 s27, s2, 2
	s_mov_b64 s[24:25], 0
	s_mov_b32 s19, s7
	s_mov_b32 s18, s6
	;; [unrolled: 1-line block ×5, first 2 shown]
	v_mov_b32_e32 v4, 0x7f800000
	s_mov_b32 s31, 0xc0e00000
	v_mov_b32_e32 v5, 0x40e00000
	s_mov_b32 s33, 0x7060302
	s_mov_b32 s14, s6
	;; [unrolled: 1-line block ×3, first 2 shown]
.LBB350_8:                              ; =>This Inner Loop Header: Depth=1
	buffer_load_dword v11, v0, s[12:15], 0 offen
	buffer_load_dword v13, v0, s[16:19], 0 offen
	buffer_load_dwordx2 v[6:7], v1, s[8:11], 0 offen
	s_mov_b32 s2, s10
	s_mov_b32 s3, s11
	buffer_load_dwordx2 v[8:9], v1, s[0:3], 0 offen
	v_lshl_add_u64 v[2:3], s[22:23], 0, v[2:3]
	v_cmp_le_i64_e32 vcc, s[20:21], v[2:3]
	s_or_b64 s[24:25], vcc, s[24:25]
	v_add_u32_e32 v1, s26, v1
	s_waitcnt vmcnt(3)
	v_lshlrev_b32_e32 v10, 16, v11
	v_and_b32_e32 v11, 0xffff0000, v11
	s_waitcnt vmcnt(1)
	v_pk_add_f32 v[6:7], v[6:7], v[10:11]
	v_lshlrev_b32_e32 v12, 16, v13
	v_min_f32_e32 v6, 0x40e00000, v6
	v_min_f32_e32 v7, 0x40e00000, v7
	v_mul_f32_e32 v10, 0xbfd9db23, v6
	v_mul_f32_e32 v11, 0xbfd9db23, v7
	;; [unrolled: 1-line block ×4, first 2 shown]
	v_fma_f32 v16, v10, s28, -v14
	v_rndne_f32_e32 v17, v14
	v_fma_f32 v18, v11, s28, -v15
	v_rndne_f32_e32 v19, v15
	v_fmac_f32_e32 v16, 0x32a5705f, v10
	v_sub_f32_e32 v14, v14, v17
	v_fmac_f32_e32 v18, 0x32a5705f, v11
	v_sub_f32_e32 v15, v15, v19
	v_add_f32_e32 v14, v14, v16
	v_cvt_i32_f32_e32 v17, v17
	v_add_f32_e32 v15, v15, v18
	v_exp_f32_e32 v14, v14
	v_cvt_i32_f32_e32 v19, v19
	v_exp_f32_e32 v15, v15
	v_and_b32_e32 v13, 0xffff0000, v13
	s_waitcnt vmcnt(0)
	v_pk_add_f32 v[8:9], v[8:9], v[12:13]
	v_ldexp_f32 v12, v14, v17
	v_cmp_ngt_f32_e32 vcc, s29, v10
	v_ldexp_f32 v13, v15, v19
	v_med3_f32 v9, v9, s31, v5
	v_cndmask_b32_e32 v12, 0, v12, vcc
	v_cmp_ngt_f32_e32 vcc, s29, v11
	v_med3_f32 v8, v8, s31, v5
	v_pk_add_f32 v[8:9], v[8:9], 1.0 op_sel_hi:[1,0]
	v_cndmask_b32_e32 v13, 0, v13, vcc
	v_cmp_nlt_f32_e32 vcc, s30, v10
	s_nop 1
	v_cndmask_b32_e32 v10, v4, v12, vcc
	v_cmp_nlt_f32_e32 vcc, s30, v11
	v_add_f32_e32 v10, 1.0, v10
	v_rcp_f32_e32 v10, v10
	v_cndmask_b32_e32 v11, v4, v13, vcc
	v_add_f32_e32 v11, 1.0, v11
	v_rcp_f32_e32 v11, v11
	s_nop 0
	v_pk_mul_f32 v[6:7], v[6:7], v[10:11]
	s_nop 0
	v_pk_mul_f32 v[6:7], v[8:9], v[6:7]
	s_nop 0
	v_perm_b32 v6, v7, v6, s33
	buffer_store_dword v6, v0, s[4:7], 0 offen
	v_add_u32_e32 v0, s27, v0
	s_andn2_b64 exec, exec, s[24:25]
	s_cbranch_execnz .LBB350_8
.LBB350_9:
	s_endpgm
	.section	.rodata,"a",@progbits
	.p2align	6, 0x0
	.amdhsa_kernel _ZN5aiter30swiglu_act_and_mul_bias_kernelIttlfLi2EEEvPT0_PKT_PKT1_PKT2_il
		.amdhsa_group_segment_fixed_size 0
		.amdhsa_private_segment_fixed_size 0
		.amdhsa_kernarg_size 304
		.amdhsa_user_sgpr_count 2
		.amdhsa_user_sgpr_dispatch_ptr 0
		.amdhsa_user_sgpr_queue_ptr 0
		.amdhsa_user_sgpr_kernarg_segment_ptr 1
		.amdhsa_user_sgpr_dispatch_id 0
		.amdhsa_user_sgpr_kernarg_preload_length 0
		.amdhsa_user_sgpr_kernarg_preload_offset 0
		.amdhsa_user_sgpr_private_segment_size 0
		.amdhsa_uses_dynamic_stack 0
		.amdhsa_enable_private_segment 0
		.amdhsa_system_sgpr_workgroup_id_x 1
		.amdhsa_system_sgpr_workgroup_id_y 0
		.amdhsa_system_sgpr_workgroup_id_z 0
		.amdhsa_system_sgpr_workgroup_info 0
		.amdhsa_system_vgpr_workitem_id 0
		.amdhsa_next_free_vgpr 20
		.amdhsa_next_free_sgpr 34
		.amdhsa_accum_offset 20
		.amdhsa_reserve_vcc 1
		.amdhsa_float_round_mode_32 0
		.amdhsa_float_round_mode_16_64 0
		.amdhsa_float_denorm_mode_32 3
		.amdhsa_float_denorm_mode_16_64 3
		.amdhsa_dx10_clamp 1
		.amdhsa_ieee_mode 1
		.amdhsa_fp16_overflow 0
		.amdhsa_tg_split 0
		.amdhsa_exception_fp_ieee_invalid_op 0
		.amdhsa_exception_fp_denorm_src 0
		.amdhsa_exception_fp_ieee_div_zero 0
		.amdhsa_exception_fp_ieee_overflow 0
		.amdhsa_exception_fp_ieee_underflow 0
		.amdhsa_exception_fp_ieee_inexact 0
		.amdhsa_exception_int_div_zero 0
	.end_amdhsa_kernel
	.section	.text._ZN5aiter30swiglu_act_and_mul_bias_kernelIttlfLi2EEEvPT0_PKT_PKT1_PKT2_il,"axG",@progbits,_ZN5aiter30swiglu_act_and_mul_bias_kernelIttlfLi2EEEvPT0_PKT_PKT1_PKT2_il,comdat
.Lfunc_end350:
	.size	_ZN5aiter30swiglu_act_and_mul_bias_kernelIttlfLi2EEEvPT0_PKT_PKT1_PKT2_il, .Lfunc_end350-_ZN5aiter30swiglu_act_and_mul_bias_kernelIttlfLi2EEEvPT0_PKT_PKT1_PKT2_il
                                        ; -- End function
	.section	.AMDGPU.csdata,"",@progbits
; Kernel info:
; codeLenInByte = 956
; NumSgprs: 40
; NumVgprs: 20
; NumAgprs: 0
; TotalNumVgprs: 20
; ScratchSize: 0
; MemoryBound: 0
; FloatMode: 240
; IeeeMode: 1
; LDSByteSize: 0 bytes/workgroup (compile time only)
; SGPRBlocks: 4
; VGPRBlocks: 2
; NumSGPRsForWavesPerEU: 40
; NumVGPRsForWavesPerEU: 20
; AccumOffset: 20
; Occupancy: 8
; WaveLimiterHint : 0
; COMPUTE_PGM_RSRC2:SCRATCH_EN: 0
; COMPUTE_PGM_RSRC2:USER_SGPR: 2
; COMPUTE_PGM_RSRC2:TRAP_HANDLER: 0
; COMPUTE_PGM_RSRC2:TGID_X_EN: 1
; COMPUTE_PGM_RSRC2:TGID_Y_EN: 0
; COMPUTE_PGM_RSRC2:TGID_Z_EN: 0
; COMPUTE_PGM_RSRC2:TIDIG_COMP_CNT: 0
; COMPUTE_PGM_RSRC3_GFX90A:ACCUM_OFFSET: 4
; COMPUTE_PGM_RSRC3_GFX90A:TG_SPLIT: 0
	.section	.text._ZN5aiter30swiglu_act_and_mul_bias_kernelIttlfLi1EEEvPT0_PKT_PKT1_PKT2_il,"axG",@progbits,_ZN5aiter30swiglu_act_and_mul_bias_kernelIttlfLi1EEEvPT0_PKT_PKT1_PKT2_il,comdat
	.protected	_ZN5aiter30swiglu_act_and_mul_bias_kernelIttlfLi1EEEvPT0_PKT_PKT1_PKT2_il ; -- Begin function _ZN5aiter30swiglu_act_and_mul_bias_kernelIttlfLi1EEEvPT0_PKT_PKT1_PKT2_il
	.globl	_ZN5aiter30swiglu_act_and_mul_bias_kernelIttlfLi1EEEvPT0_PKT_PKT1_PKT2_il
	.p2align	8
	.type	_ZN5aiter30swiglu_act_and_mul_bias_kernelIttlfLi1EEEvPT0_PKT_PKT1_PKT2_il,@function
_ZN5aiter30swiglu_act_and_mul_bias_kernelIttlfLi1EEEvPT0_PKT_PKT1_PKT2_il: ; @_ZN5aiter30swiglu_act_and_mul_bias_kernelIttlfLi1EEEvPT0_PKT_PKT1_PKT2_il
; %bb.0:
	s_load_dword s20, s[0:1], 0x20
	s_load_dwordx2 s[4:5], s[0:1], 0x0
	s_load_dwordx2 s[6:7], s[0:1], 0x10
	s_load_dwordx2 s[14:15], s[0:1], 0x28
	s_mov_b32 s3, 0
	s_waitcnt lgkmcnt(0)
	s_ashr_i32 s21, s20, 31
	s_lshl_b64 s[8:9], s[2:3], 3
	s_add_u32 s6, s6, s8
	s_addc_u32 s7, s7, s9
	s_add_i32 s3, s20, 1
	s_lshr_b32 s8, s3, 31
	s_add_i32 s3, s3, s8
	s_load_dwordx2 s[6:7], s[6:7], 0x0
	s_lshl_b32 s3, s3, 1
	s_and_b32 s10, s3, -4
	s_mul_hi_u32 s3, s20, s2
	s_mul_i32 s8, s21, s2
	s_add_i32 s9, s3, s8
	s_mul_i32 s8, s20, s2
	s_lshl_b64 s[8:9], s[8:9], 1
	s_add_u32 s8, s4, s8
	v_mov_b64_e32 v[2:3], s[14:15]
	s_addc_u32 s3, s5, s9
	s_waitcnt lgkmcnt(0)
	v_cmp_gt_i64_e64 s[4:5], s[6:7], -1
	v_cmp_lt_i64_e32 vcc, s[6:7], v[2:3]
	s_and_b64 s[4:5], s[4:5], vcc
	s_and_b32 s9, s3, 0xffff
	s_mov_b64 s[12:13], -1
	s_and_b64 vcc, exec, s[4:5]
	v_cmp_gt_i32_e64 s[4:5], s20, v0
	s_cbranch_vccnz .LBB351_5
; %bb.1:
	s_and_saveexec_b64 s[12:13], s[4:5]
	s_cbranch_execz .LBB351_4
; %bb.2:
	s_load_dword s3, s[0:1], 0x3c
	v_mov_b32_e32 v1, 0
	s_mov_b32 s5, 0
	v_lshlrev_b32_e32 v4, 1, v0
	s_mov_b64 s[14:15], 0
	s_waitcnt lgkmcnt(0)
	s_and_b32 s4, s3, 0xffff
	s_lshl_b32 s3, s4, 1
	s_mov_b32 s11, 0x20000
	v_mov_b64_e32 v[2:3], v[0:1]
.LBB351_3:                              ; =>This Inner Loop Header: Depth=1
	v_lshl_add_u64 v[2:3], v[2:3], 0, s[4:5]
	v_cmp_le_i64_e32 vcc, s[20:21], v[2:3]
	buffer_store_short v1, v4, s[8:11], 0 offen
	s_or_b64 s[14:15], vcc, s[14:15]
	v_add_u32_e32 v4, s3, v4
	s_andn2_b64 exec, exec, s[14:15]
	s_cbranch_execnz .LBB351_3
.LBB351_4:
	s_or_b64 exec, exec, s[12:13]
	s_mov_b64 s[12:13], 0
.LBB351_5:
	s_andn2_b64 vcc, exec, s[12:13]
	s_cbranch_vccnz .LBB351_9
; %bb.6:
	v_cmp_gt_i32_e32 vcc, s20, v0
	s_and_saveexec_b64 s[4:5], vcc
	s_cbranch_execz .LBB351_9
; %bb.7:
	s_mul_i32 s3, s20, s7
	s_mul_hi_u32 s4, s20, s6
	s_add_i32 s3, s4, s3
	s_load_dwordx2 s[12:13], s[0:1], 0x8
	s_load_dwordx2 s[4:5], s[0:1], 0x18
	s_mul_i32 s7, s21, s6
	s_add_i32 s7, s3, s7
	s_mul_i32 s6, s20, s6
	s_lshl_b64 s[6:7], s[6:7], 3
	s_waitcnt lgkmcnt(0)
	s_add_u32 s4, s4, s6
	s_load_dword s14, s[0:1], 0x3c
	s_addc_u32 s3, s5, s7
	s_lshl_b64 s[0:1], s[20:21], 2
	s_add_u32 s0, s4, s0
	s_addc_u32 s1, s3, s1
	s_and_b32 s5, s3, 0xffff
	s_mul_i32 s3, s2, s21
	s_mul_hi_u32 s15, s2, s20
	s_add_i32 s3, s15, s3
	s_mul_i32 s2, s2, s20
	s_lshl_b32 s6, s20, 2
	s_and_b32 s1, s1, 0xffff
	s_lshl_b64 s[2:3], s[2:3], 2
	s_add_u32 s12, s12, s2
	s_addc_u32 s13, s13, s3
	s_lshl_b64 s[2:3], s[20:21], 1
	s_add_u32 s16, s12, s2
	s_mov_b32 s11, 0x20000
	s_addc_u32 s2, s13, s3
	s_waitcnt lgkmcnt(0)
	s_and_b32 s22, s14, 0xffff
	s_mov_b32 s7, s11
	s_and_b32 s13, s13, 0xffff
	s_and_b32 s17, s2, 0xffff
	s_mov_b32 s23, 0
	v_mov_b32_e32 v1, 0
	v_lshlrev_b32_e32 v2, 2, v0
	s_lshl_b32 s26, s22, 2
	v_lshlrev_b32_e32 v3, 1, v0
	s_lshl_b32 s27, s22, 1
	s_mov_b64 s[24:25], 0
	s_mov_b32 s28, 0x3fb8aa3b
	s_mov_b32 s29, 0xc2ce8ed0
	;; [unrolled: 1-line block ×3, first 2 shown]
	v_mov_b32_e32 v4, 0x7f800000
	s_mov_b32 s14, s10
	s_mov_b32 s15, s11
	;; [unrolled: 1-line block ×4, first 2 shown]
.LBB351_8:                              ; =>This Inner Loop Header: Depth=1
	buffer_load_ushort v5, v3, s[12:15], 0 offen
	buffer_load_dword v6, v2, s[4:7], 0 offen
	buffer_load_ushort v7, v3, s[16:19], 0 offen
	s_mov_b32 s2, s6
	s_mov_b32 s3, s7
	buffer_load_dword v8, v2, s[0:3], 0 offen
	v_lshl_add_u64 v[0:1], v[0:1], 0, s[22:23]
	v_cmp_le_i64_e32 vcc, s[20:21], v[0:1]
	s_or_b64 s[24:25], vcc, s[24:25]
	v_add_u32_e32 v2, s26, v2
	s_waitcnt vmcnt(3)
	v_lshlrev_b32_e32 v5, 16, v5
	s_waitcnt vmcnt(2)
	v_add_f32_e32 v5, v5, v6
	v_min_f32_e32 v5, 0x40e00000, v5
	v_mul_f32_e32 v6, 0xbfd9db23, v5
	v_mul_f32_e32 v9, 0x3fb8aa3b, v6
	v_fma_f32 v10, v6, s28, -v9
	v_rndne_f32_e32 v11, v9
	v_fmac_f32_e32 v10, 0x32a5705f, v6
	v_sub_f32_e32 v9, v9, v11
	v_add_f32_e32 v9, v9, v10
	v_cvt_i32_f32_e32 v11, v11
	v_exp_f32_e32 v9, v9
	s_waitcnt vmcnt(1)
	v_lshlrev_b32_e32 v7, 16, v7
	s_waitcnt vmcnt(0)
	v_add_f32_e32 v7, v7, v8
	v_cmp_ngt_f32_e32 vcc, s29, v6
	v_ldexp_f32 v8, v9, v11
	v_max_f32_e32 v7, 0xc0e00000, v7
	v_cndmask_b32_e32 v8, 0, v8, vcc
	v_cmp_nlt_f32_e32 vcc, s30, v6
	v_min_f32_e32 v7, 0x40e00000, v7
	v_add_f32_e32 v7, 1.0, v7
	v_cndmask_b32_e32 v6, v4, v8, vcc
	v_add_f32_e32 v6, 1.0, v6
	v_rcp_f32_e32 v6, v6
	s_nop 0
	v_mul_f32_e32 v5, v5, v6
	v_mul_f32_e32 v5, v7, v5
	v_lshrrev_b32_e32 v5, 16, v5
	buffer_store_short v5, v3, s[8:11], 0 offen
	v_add_u32_e32 v3, s27, v3
	s_andn2_b64 exec, exec, s[24:25]
	s_cbranch_execnz .LBB351_8
.LBB351_9:
	s_endpgm
	.section	.rodata,"a",@progbits
	.p2align	6, 0x0
	.amdhsa_kernel _ZN5aiter30swiglu_act_and_mul_bias_kernelIttlfLi1EEEvPT0_PKT_PKT1_PKT2_il
		.amdhsa_group_segment_fixed_size 0
		.amdhsa_private_segment_fixed_size 0
		.amdhsa_kernarg_size 304
		.amdhsa_user_sgpr_count 2
		.amdhsa_user_sgpr_dispatch_ptr 0
		.amdhsa_user_sgpr_queue_ptr 0
		.amdhsa_user_sgpr_kernarg_segment_ptr 1
		.amdhsa_user_sgpr_dispatch_id 0
		.amdhsa_user_sgpr_kernarg_preload_length 0
		.amdhsa_user_sgpr_kernarg_preload_offset 0
		.amdhsa_user_sgpr_private_segment_size 0
		.amdhsa_uses_dynamic_stack 0
		.amdhsa_enable_private_segment 0
		.amdhsa_system_sgpr_workgroup_id_x 1
		.amdhsa_system_sgpr_workgroup_id_y 0
		.amdhsa_system_sgpr_workgroup_id_z 0
		.amdhsa_system_sgpr_workgroup_info 0
		.amdhsa_system_vgpr_workitem_id 0
		.amdhsa_next_free_vgpr 12
		.amdhsa_next_free_sgpr 31
		.amdhsa_accum_offset 12
		.amdhsa_reserve_vcc 1
		.amdhsa_float_round_mode_32 0
		.amdhsa_float_round_mode_16_64 0
		.amdhsa_float_denorm_mode_32 3
		.amdhsa_float_denorm_mode_16_64 3
		.amdhsa_dx10_clamp 1
		.amdhsa_ieee_mode 1
		.amdhsa_fp16_overflow 0
		.amdhsa_tg_split 0
		.amdhsa_exception_fp_ieee_invalid_op 0
		.amdhsa_exception_fp_denorm_src 0
		.amdhsa_exception_fp_ieee_div_zero 0
		.amdhsa_exception_fp_ieee_overflow 0
		.amdhsa_exception_fp_ieee_underflow 0
		.amdhsa_exception_fp_ieee_inexact 0
		.amdhsa_exception_int_div_zero 0
	.end_amdhsa_kernel
	.section	.text._ZN5aiter30swiglu_act_and_mul_bias_kernelIttlfLi1EEEvPT0_PKT_PKT1_PKT2_il,"axG",@progbits,_ZN5aiter30swiglu_act_and_mul_bias_kernelIttlfLi1EEEvPT0_PKT_PKT1_PKT2_il,comdat
.Lfunc_end351:
	.size	_ZN5aiter30swiglu_act_and_mul_bias_kernelIttlfLi1EEEvPT0_PKT_PKT1_PKT2_il, .Lfunc_end351-_ZN5aiter30swiglu_act_and_mul_bias_kernelIttlfLi1EEEvPT0_PKT_PKT1_PKT2_il
                                        ; -- End function
	.section	.AMDGPU.csdata,"",@progbits
; Kernel info:
; codeLenInByte = 784
; NumSgprs: 37
; NumVgprs: 12
; NumAgprs: 0
; TotalNumVgprs: 12
; ScratchSize: 0
; MemoryBound: 0
; FloatMode: 240
; IeeeMode: 1
; LDSByteSize: 0 bytes/workgroup (compile time only)
; SGPRBlocks: 4
; VGPRBlocks: 1
; NumSGPRsForWavesPerEU: 37
; NumVGPRsForWavesPerEU: 12
; AccumOffset: 12
; Occupancy: 8
; WaveLimiterHint : 0
; COMPUTE_PGM_RSRC2:SCRATCH_EN: 0
; COMPUTE_PGM_RSRC2:USER_SGPR: 2
; COMPUTE_PGM_RSRC2:TRAP_HANDLER: 0
; COMPUTE_PGM_RSRC2:TGID_X_EN: 1
; COMPUTE_PGM_RSRC2:TGID_Y_EN: 0
; COMPUTE_PGM_RSRC2:TGID_Z_EN: 0
; COMPUTE_PGM_RSRC2:TIDIG_COMP_CNT: 0
; COMPUTE_PGM_RSRC3_GFX90A:ACCUM_OFFSET: 2
; COMPUTE_PGM_RSRC3_GFX90A:TG_SPLIT: 0
	.section	.text._ZN5aiter23act_and_mul_bias_kernelIfthfTnPFfRKT2_EXadL_ZNS_11gelu_kernelIfEEfRKT_EELi16EEEvPT0_PS8_PKT1_PS2_il,"axG",@progbits,_ZN5aiter23act_and_mul_bias_kernelIfthfTnPFfRKT2_EXadL_ZNS_11gelu_kernelIfEEfRKT_EELi16EEEvPT0_PS8_PKT1_PS2_il,comdat
	.protected	_ZN5aiter23act_and_mul_bias_kernelIfthfTnPFfRKT2_EXadL_ZNS_11gelu_kernelIfEEfRKT_EELi16EEEvPT0_PS8_PKT1_PS2_il ; -- Begin function _ZN5aiter23act_and_mul_bias_kernelIfthfTnPFfRKT2_EXadL_ZNS_11gelu_kernelIfEEfRKT_EELi16EEEvPT0_PS8_PKT1_PS2_il
	.globl	_ZN5aiter23act_and_mul_bias_kernelIfthfTnPFfRKT2_EXadL_ZNS_11gelu_kernelIfEEfRKT_EELi16EEEvPT0_PS8_PKT1_PS2_il
	.p2align	8
	.type	_ZN5aiter23act_and_mul_bias_kernelIfthfTnPFfRKT2_EXadL_ZNS_11gelu_kernelIfEEfRKT_EELi16EEEvPT0_PS8_PKT1_PS2_il,@function
_ZN5aiter23act_and_mul_bias_kernelIfthfTnPFfRKT2_EXadL_ZNS_11gelu_kernelIfEEfRKT_EELi16EEEvPT0_PS8_PKT1_PS2_il: ; @_ZN5aiter23act_and_mul_bias_kernelIfthfTnPFfRKT2_EXadL_ZNS_11gelu_kernelIfEEfRKT_EELi16EEEvPT0_PS8_PKT1_PS2_il
; %bb.0:
	s_load_dwordx2 s[4:5], s[0:1], 0x10
	s_load_dword s24, s[0:1], 0x20
	s_load_dwordx2 s[6:7], s[0:1], 0x28
	v_mov_b32_e32 v1, s2
	s_mov_b32 s9, 0
	s_waitcnt lgkmcnt(0)
	global_load_ubyte v1, v1, s[4:5]
	s_load_dwordx2 s[4:5], s[0:1], 0x0
	s_ashr_i32 s25, s24, 31
	s_mul_hi_u32 s3, s24, s2
	v_mov_b64_e32 v[2:3], s[6:7]
	s_mul_i32 s6, s25, s2
	s_mul_i32 s12, s24, s2
	s_add_i32 s13, s3, s6
	s_lshl_b64 s[6:7], s[12:13], 1
	s_mov_b64 s[10:11], -1
	v_lshlrev_b32_e32 v64, 4, v0
	s_waitcnt vmcnt(0)
	v_readfirstlane_b32 s3, v1
	s_and_b32 s8, s3, 0xffff
	s_waitcnt lgkmcnt(0)
	s_add_u32 s4, s4, s6
	s_addc_u32 s3, s5, s7
	s_add_i32 s6, s24, 1
	s_lshr_b32 s7, s6, 31
	s_add_i32 s6, s6, s7
	v_cmp_lt_i64_e32 vcc, s[8:9], v[2:3]
	s_and_b32 s5, s3, 0xffff
	s_lshl_b32 s3, s6, 1
	s_and_b32 s6, s3, -4
	s_cbranch_vccnz .LBB352_5
; %bb.1:
	v_cmp_gt_i32_e32 vcc, s24, v64
	s_and_saveexec_b64 s[10:11], vcc
	s_cbranch_execz .LBB352_4
; %bb.2:
	s_load_dword s3, s[0:1], 0x3c
	s_mov_b32 s13, 0
	s_mov_b32 s16, s13
	;; [unrolled: 1-line block ×3, first 2 shown]
	v_mov_b32_e32 v65, 0
	v_lshlrev_b32_e32 v6, 5, v0
	s_waitcnt lgkmcnt(0)
	s_and_b32 s3, s3, 0xffff
	s_mov_b32 s18, s13
	s_mov_b32 s19, s13
	v_mov_b64_e32 v[0:1], s[16:17]
	s_lshl_b32 s12, s3, 4
	s_lshl_b32 s3, s3, 5
	s_mov_b64 s[14:15], 0
	s_mov_b32 s7, 0x20000
	v_mov_b64_e32 v[2:3], s[18:19]
	v_mov_b64_e32 v[4:5], v[64:65]
.LBB352_3:                              ; =>This Inner Loop Header: Depth=1
	v_lshl_add_u64 v[4:5], s[12:13], 0, v[4:5]
	v_cmp_le_i64_e32 vcc, s[24:25], v[4:5]
	buffer_store_dwordx4 v[0:3], v6, s[4:7], 0 offen
	buffer_store_dwordx4 v[0:3], v6, s[4:7], 16 offen
	s_or_b64 s[14:15], vcc, s[14:15]
	v_add_u32_e32 v6, s3, v6
	s_andn2_b64 exec, exec, s[14:15]
	s_cbranch_execnz .LBB352_3
.LBB352_4:
	s_or_b64 exec, exec, s[10:11]
	s_mov_b64 s[10:11], 0
.LBB352_5:
	s_andn2_b64 vcc, exec, s[10:11]
	s_cbranch_vccnz .LBB352_73
; %bb.6:
	v_cmp_gt_i32_e32 vcc, s24, v64
	s_and_saveexec_b64 s[10:11], vcc
	s_cbranch_execz .LBB352_73
; %bb.7:
	s_load_dwordx2 s[14:15], s[0:1], 0x8
	s_load_dwordx2 s[12:13], s[0:1], 0x18
	s_mul_hi_i32 s9, s24, s8
	s_mul_i32 s8, s24, s8
	s_lshl_b32 s10, s24, 2
	s_lshl_b64 s[8:9], s[8:9], 3
	s_waitcnt lgkmcnt(0)
	s_add_u32 s8, s12, s8
	s_addc_u32 s3, s13, s9
	s_lshl_b64 s[18:19], s[24:25], 2
	s_add_u32 s12, s8, s18
	s_addc_u32 s13, s3, s19
	s_and_b32 s9, s3, 0xffff
	s_mul_i32 s3, s2, s25
	s_mul_hi_u32 s16, s2, s24
	s_add_i32 s3, s16, s3
	s_mul_i32 s2, s2, s24
	s_and_b32 s13, s13, 0xffff
	s_lshl_b64 s[2:3], s[2:3], 3
	s_add_u32 s16, s14, s2
	s_addc_u32 s2, s15, s3
	s_add_u32 s20, s16, s18
	s_addc_u32 s3, s2, s19
	s_and_b32 s17, s2, 0xffff
	s_and_b32 s21, s3, 0xffff
	s_mov_b32 s7, 0x20000
	s_add_u32 s0, s0, 48
	s_mov_b32 s11, s7
	v_mov_b32_e32 v65, 0
	s_addc_u32 s1, s1, 0
	s_mov_b64 s[2:3], 0
	s_mov_b32 s18, s10
	s_mov_b32 s19, s7
	;; [unrolled: 1-line block ×12, first 2 shown]
	v_mov_b32_e32 v66, 0x3ba10414
	s_brev_b32 s38, -2
	s_mov_b32 s39, 0x7060302
	s_mov_b32 s22, s10
	;; [unrolled: 1-line block ×3, first 2 shown]
	v_mov_b32_e32 v67, 0xb9c68948
	v_mov_b32_e32 v68, 0x7f800000
                                        ; implicit-def: $vgpr0
                                        ; implicit-def: $vgpr0
	;; [unrolled: 1-line block ×4, first 2 shown]
	s_branch .LBB352_9
.LBB352_8:                              ;   in Loop: Header=BB352_9 Depth=1
	s_or_b64 exec, exec, s[14:15]
	v_bfi_b32 v5, s38, v8, v5
	v_mul_f32_e32 v4, 0.5, v4
	v_add_f32_e32 v5, 1.0, v5
	v_add_f32_e32 v2, v2, v6
	v_bfi_b32 v6, s38, v11, v10
	v_mul_f32_e32 v4, v4, v5
	v_mul_f32_e32 v5, 0.5, v9
	v_add_f32_e32 v6, 1.0, v6
	v_add_f32_e32 v3, v3, v7
	v_mul_f32_e32 v5, v5, v6
	;;#ASMSTART
	v_pk_mul_f32 v[6:7], v[4:5], v[2:3]
	;;#ASMEND
	s_load_dword s14, s[0:1], 0xc
	v_lshlrev_b32_e32 v8, 1, v64
	v_perm_b32 v5, v35, v34, s39
	v_perm_b32 v4, v33, v32, s39
	;; [unrolled: 1-line block ×3, first 2 shown]
	s_waitcnt lgkmcnt(0)
	s_and_b32 s14, s14, 0xffff
	s_lshl_b32 s26, s14, 4
	v_lshl_add_u64 v[64:65], s[26:27], 0, v[64:65]
	v_perm_b32 v2, v49, v48, s39
	v_cmp_le_i64_e32 vcc, s[24:25], v[64:65]
	buffer_store_dwordx4 v[2:5], v8, s[4:7], 0 offen
	s_or_b64 s[2:3], vcc, s[2:3]
	s_nop 0
	v_perm_b32 v3, v7, v6, s39
	v_perm_b32 v2, v1, v0, s39
	;; [unrolled: 1-line block ×4, first 2 shown]
	buffer_store_dwordx4 v[0:3], v8, s[4:7], 16 offen
	s_andn2_b64 exec, exec, s[2:3]
	s_cbranch_execz .LBB352_73
.LBB352_9:                              ; =>This Inner Loop Header: Depth=1
	v_lshlrev_b32_e32 v4, 2, v64
	s_mov_b32 s14, s10
	s_mov_b32 s15, s11
	buffer_load_dwordx4 v[56:59], v4, s[16:19], 0 offen
	buffer_load_dwordx4 v[40:43], v4, s[16:19], 16 offen
	;; [unrolled: 1-line block ×15, first 2 shown]
	s_nop 0
	buffer_load_dwordx4 v[4:7], v4, s[12:15], 48 offen
                                        ; implicit-def: $vgpr69
	s_waitcnt vmcnt(7)
	v_add_f32_e32 v56, v56, v60
	v_mul_f32_e32 v60, 0x3f3504f3, v56
	v_cmp_nlt_f32_e64 s[14:15], |v60|, 1.0
	s_and_saveexec_b64 s[40:41], s[14:15]
	s_xor_b64 s[14:15], exec, s[40:41]
	s_cbranch_execz .LBB352_11
; %bb.10:                               ;   in Loop: Header=BB352_9 Depth=1
	v_fma_f32 v69, |v60|, s28, v67
	v_fma_f32 v69, |v60|, v69, s29
	;; [unrolled: 1-line block ×6, first 2 shown]
	v_fma_f32 v69, |v60|, v69, |v60|
	v_mul_f32_e32 v70, 0xbfb8aa3b, v69
	v_fma_f32 v71, v69, s35, -v70
	v_rndne_f32_e32 v72, v70
	v_fmac_f32_e32 v71, 0xb2a5705f, v69
	v_sub_f32_e32 v70, v70, v72
	v_add_f32_e32 v70, v70, v71
	v_cvt_i32_f32_e32 v71, v72
	v_exp_f32_e32 v70, v70
	v_cmp_nlt_f32_e32 vcc, s36, v69
	v_ldexp_f32 v70, v70, v71
	s_nop 0
	v_cndmask_b32_e32 v70, 0, v70, vcc
	v_cmp_ngt_f32_e32 vcc, s37, v69
	s_nop 1
	v_cndmask_b32_e32 v69, v68, v70, vcc
	v_sub_f32_e32 v69, 1.0, v69
.LBB352_11:                             ;   in Loop: Header=BB352_9 Depth=1
	s_andn2_saveexec_b64 s[14:15], s[14:15]
; %bb.12:                               ;   in Loop: Header=BB352_9 Depth=1
	v_mul_f32_e32 v69, v60, v60
	v_fmamk_f32 v70, v69, 0xba1345e1, v66
	v_fmaak_f32 v70, v69, v70, 0xbcdac9b8
	v_fmaak_f32 v70, v69, v70, 0x3de703be
	;; [unrolled: 1-line block ×4, first 2 shown]
	v_fma_f32 v69, |v60|, v69, |v60|
; %bb.13:                               ;   in Loop: Header=BB352_9 Depth=1
	s_or_b64 exec, exec, s[14:15]
	v_add_f32_e32 v57, v57, v61
	v_mul_f32_e32 v61, 0x3f3504f3, v57
	v_cmp_nlt_f32_e64 s[14:15], |v61|, 1.0
                                        ; implicit-def: $vgpr70
	s_and_saveexec_b64 s[40:41], s[14:15]
	s_xor_b64 s[14:15], exec, s[40:41]
	s_cbranch_execz .LBB352_15
; %bb.14:                               ;   in Loop: Header=BB352_9 Depth=1
	v_fma_f32 v70, |v61|, s28, v67
	v_fma_f32 v70, |v61|, v70, s29
	;; [unrolled: 1-line block ×6, first 2 shown]
	v_fma_f32 v70, |v61|, v70, |v61|
	v_mul_f32_e32 v71, 0xbfb8aa3b, v70
	v_fma_f32 v72, v70, s35, -v71
	v_rndne_f32_e32 v73, v71
	v_fmac_f32_e32 v72, 0xb2a5705f, v70
	v_sub_f32_e32 v71, v71, v73
	v_add_f32_e32 v71, v71, v72
	v_cvt_i32_f32_e32 v72, v73
	v_exp_f32_e32 v71, v71
	v_cmp_nlt_f32_e32 vcc, s36, v70
	v_ldexp_f32 v71, v71, v72
	s_nop 0
	v_cndmask_b32_e32 v71, 0, v71, vcc
	v_cmp_ngt_f32_e32 vcc, s37, v70
	s_nop 1
	v_cndmask_b32_e32 v70, v68, v71, vcc
	v_sub_f32_e32 v70, 1.0, v70
.LBB352_15:                             ;   in Loop: Header=BB352_9 Depth=1
	s_andn2_saveexec_b64 s[14:15], s[14:15]
; %bb.16:                               ;   in Loop: Header=BB352_9 Depth=1
	v_mul_f32_e32 v70, v61, v61
	v_fmamk_f32 v71, v70, 0xba1345e1, v66
	v_fmaak_f32 v71, v70, v71, 0xbcdac9b8
	v_fmaak_f32 v71, v70, v71, 0x3de703be
	;; [unrolled: 1-line block ×4, first 2 shown]
	v_fma_f32 v70, |v61|, v70, |v61|
; %bb.17:                               ;   in Loop: Header=BB352_9 Depth=1
	s_or_b64 exec, exec, s[14:15]
	s_waitcnt vmcnt(3)
	v_add_f32_e32 v49, v49, v53
	v_bfi_b32 v53, s38, v70, v61
	v_add_f32_e32 v48, v48, v52
	v_mul_f32_e32 v52, 0.5, v57
	v_add_f32_e32 v53, 1.0, v53
	v_bfi_b32 v60, s38, v69, v60
	v_mul_f32_e32 v57, v52, v53
	v_add_f32_e32 v52, v58, v62
	v_mul_f32_e32 v56, 0.5, v56
	v_add_f32_e32 v60, 1.0, v60
	v_mul_f32_e32 v53, 0x3f3504f3, v52
	v_mul_f32_e32 v56, v56, v60
	v_cmp_nlt_f32_e64 s[14:15], |v53|, 1.0
	;;#ASMSTART
	v_pk_mul_f32 v[48:49], v[56:57], v[48:49]
	;;#ASMEND
                                        ; implicit-def: $vgpr56
	s_and_saveexec_b64 s[40:41], s[14:15]
	s_xor_b64 s[14:15], exec, s[40:41]
	s_cbranch_execz .LBB352_19
; %bb.18:                               ;   in Loop: Header=BB352_9 Depth=1
	v_fma_f32 v56, |v53|, s28, v67
	v_fma_f32 v56, |v53|, v56, s29
	;; [unrolled: 1-line block ×6, first 2 shown]
	v_fma_f32 v56, |v53|, v56, |v53|
	v_mul_f32_e32 v57, 0xbfb8aa3b, v56
	v_fma_f32 v58, v56, s35, -v57
	v_rndne_f32_e32 v60, v57
	v_fmac_f32_e32 v58, 0xb2a5705f, v56
	v_sub_f32_e32 v57, v57, v60
	v_add_f32_e32 v57, v57, v58
	v_cvt_i32_f32_e32 v58, v60
	v_exp_f32_e32 v57, v57
	v_cmp_nlt_f32_e32 vcc, s36, v56
	v_ldexp_f32 v57, v57, v58
	s_nop 0
	v_cndmask_b32_e32 v57, 0, v57, vcc
	v_cmp_ngt_f32_e32 vcc, s37, v56
	s_nop 1
	v_cndmask_b32_e32 v56, v68, v57, vcc
	v_sub_f32_e32 v56, 1.0, v56
.LBB352_19:                             ;   in Loop: Header=BB352_9 Depth=1
	s_andn2_saveexec_b64 s[14:15], s[14:15]
; %bb.20:                               ;   in Loop: Header=BB352_9 Depth=1
	v_mul_f32_e32 v56, v53, v53
	v_fmamk_f32 v57, v56, 0xba1345e1, v66
	v_fmaak_f32 v57, v56, v57, 0xbcdac9b8
	v_fmaak_f32 v57, v56, v57, 0x3de703be
	;; [unrolled: 1-line block ×4, first 2 shown]
	v_fma_f32 v56, |v53|, v56, |v53|
; %bb.21:                               ;   in Loop: Header=BB352_9 Depth=1
	s_or_b64 exec, exec, s[14:15]
	v_add_f32_e32 v57, v59, v63
	v_mul_f32_e32 v58, 0x3f3504f3, v57
	v_cmp_nlt_f32_e64 s[14:15], |v58|, 1.0
                                        ; implicit-def: $vgpr59
	s_and_saveexec_b64 s[40:41], s[14:15]
	s_xor_b64 s[14:15], exec, s[40:41]
	s_cbranch_execz .LBB352_23
; %bb.22:                               ;   in Loop: Header=BB352_9 Depth=1
	v_fma_f32 v59, |v58|, s28, v67
	v_fma_f32 v59, |v58|, v59, s29
	;; [unrolled: 1-line block ×6, first 2 shown]
	v_fma_f32 v59, |v58|, v59, |v58|
	v_mul_f32_e32 v60, 0xbfb8aa3b, v59
	v_fma_f32 v61, v59, s35, -v60
	v_rndne_f32_e32 v62, v60
	v_fmac_f32_e32 v61, 0xb2a5705f, v59
	v_sub_f32_e32 v60, v60, v62
	v_add_f32_e32 v60, v60, v61
	v_cvt_i32_f32_e32 v61, v62
	v_exp_f32_e32 v60, v60
	v_cmp_nlt_f32_e32 vcc, s36, v59
	v_ldexp_f32 v60, v60, v61
	s_nop 0
	v_cndmask_b32_e32 v60, 0, v60, vcc
	v_cmp_ngt_f32_e32 vcc, s37, v59
	s_nop 1
	v_cndmask_b32_e32 v59, v68, v60, vcc
	v_sub_f32_e32 v59, 1.0, v59
.LBB352_23:                             ;   in Loop: Header=BB352_9 Depth=1
	s_andn2_saveexec_b64 s[14:15], s[14:15]
; %bb.24:                               ;   in Loop: Header=BB352_9 Depth=1
	v_mul_f32_e32 v59, v58, v58
	v_fmamk_f32 v60, v59, 0xba1345e1, v66
	v_fmaak_f32 v60, v59, v60, 0xbcdac9b8
	v_fmaak_f32 v60, v59, v60, 0x3de703be
	;; [unrolled: 1-line block ×4, first 2 shown]
	v_fma_f32 v59, |v58|, v59, |v58|
; %bb.25:                               ;   in Loop: Header=BB352_9 Depth=1
	s_or_b64 exec, exec, s[14:15]
	v_bfi_b32 v53, s38, v56, v53
	v_add_f32_e32 v40, v40, v44
	v_mul_f32_e32 v52, 0.5, v52
	v_add_f32_e32 v53, 1.0, v53
	v_add_f32_e32 v50, v50, v54
	v_bfi_b32 v54, s38, v59, v58
	v_mul_f32_e32 v44, 0x3f3504f3, v40
	v_mul_f32_e32 v52, v52, v53
	v_add_f32_e32 v51, v51, v55
	v_mul_f32_e32 v53, 0.5, v57
	v_add_f32_e32 v54, 1.0, v54
	v_cmp_nlt_f32_e64 s[14:15], |v44|, 1.0
	v_mul_f32_e32 v53, v53, v54
	;;#ASMSTART
	v_pk_mul_f32 v[50:51], v[52:53], v[50:51]
	;;#ASMEND
                                        ; implicit-def: $vgpr52
	s_and_saveexec_b64 s[40:41], s[14:15]
	s_xor_b64 s[14:15], exec, s[40:41]
	s_cbranch_execz .LBB352_27
; %bb.26:                               ;   in Loop: Header=BB352_9 Depth=1
	v_fma_f32 v52, |v44|, s28, v67
	v_fma_f32 v52, |v44|, v52, s29
	;; [unrolled: 1-line block ×6, first 2 shown]
	v_fma_f32 v52, |v44|, v52, |v44|
	v_mul_f32_e32 v53, 0xbfb8aa3b, v52
	v_fma_f32 v54, v52, s35, -v53
	v_rndne_f32_e32 v55, v53
	v_fmac_f32_e32 v54, 0xb2a5705f, v52
	v_sub_f32_e32 v53, v53, v55
	v_add_f32_e32 v53, v53, v54
	v_cvt_i32_f32_e32 v54, v55
	v_exp_f32_e32 v53, v53
	v_cmp_nlt_f32_e32 vcc, s36, v52
	v_ldexp_f32 v53, v53, v54
	s_nop 0
	v_cndmask_b32_e32 v53, 0, v53, vcc
	v_cmp_ngt_f32_e32 vcc, s37, v52
	s_nop 1
	v_cndmask_b32_e32 v52, v68, v53, vcc
	v_sub_f32_e32 v52, 1.0, v52
.LBB352_27:                             ;   in Loop: Header=BB352_9 Depth=1
	s_andn2_saveexec_b64 s[14:15], s[14:15]
; %bb.28:                               ;   in Loop: Header=BB352_9 Depth=1
	v_mul_f32_e32 v52, v44, v44
	v_fmamk_f32 v53, v52, 0xba1345e1, v66
	v_fmaak_f32 v53, v52, v53, 0xbcdac9b8
	v_fmaak_f32 v53, v52, v53, 0x3de703be
	;; [unrolled: 1-line block ×4, first 2 shown]
	v_fma_f32 v52, |v44|, v52, |v44|
; %bb.29:                               ;   in Loop: Header=BB352_9 Depth=1
	s_or_b64 exec, exec, s[14:15]
	v_add_f32_e32 v41, v41, v45
	v_mul_f32_e32 v45, 0x3f3504f3, v41
	v_cmp_nlt_f32_e64 s[14:15], |v45|, 1.0
                                        ; implicit-def: $vgpr53
	s_and_saveexec_b64 s[40:41], s[14:15]
	s_xor_b64 s[14:15], exec, s[40:41]
	s_cbranch_execz .LBB352_31
; %bb.30:                               ;   in Loop: Header=BB352_9 Depth=1
	v_fma_f32 v53, |v45|, s28, v67
	v_fma_f32 v53, |v45|, v53, s29
	;; [unrolled: 1-line block ×6, first 2 shown]
	v_fma_f32 v53, |v45|, v53, |v45|
	v_mul_f32_e32 v54, 0xbfb8aa3b, v53
	v_fma_f32 v55, v53, s35, -v54
	v_rndne_f32_e32 v56, v54
	v_fmac_f32_e32 v55, 0xb2a5705f, v53
	v_sub_f32_e32 v54, v54, v56
	v_add_f32_e32 v54, v54, v55
	v_cvt_i32_f32_e32 v55, v56
	v_exp_f32_e32 v54, v54
	v_cmp_nlt_f32_e32 vcc, s36, v53
	v_ldexp_f32 v54, v54, v55
	s_nop 0
	v_cndmask_b32_e32 v54, 0, v54, vcc
	v_cmp_ngt_f32_e32 vcc, s37, v53
	s_nop 1
	v_cndmask_b32_e32 v53, v68, v54, vcc
	v_sub_f32_e32 v53, 1.0, v53
.LBB352_31:                             ;   in Loop: Header=BB352_9 Depth=1
	s_andn2_saveexec_b64 s[14:15], s[14:15]
; %bb.32:                               ;   in Loop: Header=BB352_9 Depth=1
	v_mul_f32_e32 v53, v45, v45
	v_fmamk_f32 v54, v53, 0xba1345e1, v66
	v_fmaak_f32 v54, v53, v54, 0xbcdac9b8
	v_fmaak_f32 v54, v53, v54, 0x3de703be
	;; [unrolled: 1-line block ×4, first 2 shown]
	v_fma_f32 v53, |v45|, v53, |v45|
; %bb.33:                               ;   in Loop: Header=BB352_9 Depth=1
	s_or_b64 exec, exec, s[14:15]
	s_waitcnt vmcnt(2)
	v_add_f32_e32 v33, v33, v37
	v_bfi_b32 v37, s38, v53, v45
	v_add_f32_e32 v32, v32, v36
	v_mul_f32_e32 v36, 0.5, v41
	v_add_f32_e32 v37, 1.0, v37
	v_bfi_b32 v44, s38, v52, v44
	v_mul_f32_e32 v41, v36, v37
	v_add_f32_e32 v36, v42, v46
	v_mul_f32_e32 v40, 0.5, v40
	v_add_f32_e32 v44, 1.0, v44
	v_mul_f32_e32 v37, 0x3f3504f3, v36
	v_mul_f32_e32 v40, v40, v44
	v_cmp_nlt_f32_e64 s[14:15], |v37|, 1.0
	;;#ASMSTART
	v_pk_mul_f32 v[32:33], v[40:41], v[32:33]
	;;#ASMEND
                                        ; implicit-def: $vgpr40
	s_and_saveexec_b64 s[40:41], s[14:15]
	s_xor_b64 s[14:15], exec, s[40:41]
	s_cbranch_execz .LBB352_35
; %bb.34:                               ;   in Loop: Header=BB352_9 Depth=1
	v_fma_f32 v40, |v37|, s28, v67
	v_fma_f32 v40, |v37|, v40, s29
	;; [unrolled: 1-line block ×6, first 2 shown]
	v_fma_f32 v40, |v37|, v40, |v37|
	v_mul_f32_e32 v41, 0xbfb8aa3b, v40
	v_fma_f32 v42, v40, s35, -v41
	v_rndne_f32_e32 v44, v41
	v_fmac_f32_e32 v42, 0xb2a5705f, v40
	v_sub_f32_e32 v41, v41, v44
	v_add_f32_e32 v41, v41, v42
	v_cvt_i32_f32_e32 v42, v44
	v_exp_f32_e32 v41, v41
	v_cmp_nlt_f32_e32 vcc, s36, v40
	v_ldexp_f32 v41, v41, v42
	s_nop 0
	v_cndmask_b32_e32 v41, 0, v41, vcc
	v_cmp_ngt_f32_e32 vcc, s37, v40
	s_nop 1
	v_cndmask_b32_e32 v40, v68, v41, vcc
	v_sub_f32_e32 v40, 1.0, v40
.LBB352_35:                             ;   in Loop: Header=BB352_9 Depth=1
	s_andn2_saveexec_b64 s[14:15], s[14:15]
; %bb.36:                               ;   in Loop: Header=BB352_9 Depth=1
	v_mul_f32_e32 v40, v37, v37
	v_fmamk_f32 v41, v40, 0xba1345e1, v66
	v_fmaak_f32 v41, v40, v41, 0xbcdac9b8
	v_fmaak_f32 v41, v40, v41, 0x3de703be
	;; [unrolled: 1-line block ×4, first 2 shown]
	v_fma_f32 v40, |v37|, v40, |v37|
; %bb.37:                               ;   in Loop: Header=BB352_9 Depth=1
	s_or_b64 exec, exec, s[14:15]
	v_add_f32_e32 v41, v43, v47
	v_mul_f32_e32 v42, 0x3f3504f3, v41
	v_cmp_nlt_f32_e64 s[14:15], |v42|, 1.0
                                        ; implicit-def: $vgpr43
	s_and_saveexec_b64 s[40:41], s[14:15]
	s_xor_b64 s[14:15], exec, s[40:41]
	s_cbranch_execz .LBB352_39
; %bb.38:                               ;   in Loop: Header=BB352_9 Depth=1
	v_fma_f32 v43, |v42|, s28, v67
	v_fma_f32 v43, |v42|, v43, s29
	;; [unrolled: 1-line block ×6, first 2 shown]
	v_fma_f32 v43, |v42|, v43, |v42|
	v_mul_f32_e32 v44, 0xbfb8aa3b, v43
	v_fma_f32 v45, v43, s35, -v44
	v_rndne_f32_e32 v46, v44
	v_fmac_f32_e32 v45, 0xb2a5705f, v43
	v_sub_f32_e32 v44, v44, v46
	v_add_f32_e32 v44, v44, v45
	v_cvt_i32_f32_e32 v45, v46
	v_exp_f32_e32 v44, v44
	v_cmp_nlt_f32_e32 vcc, s36, v43
	v_ldexp_f32 v44, v44, v45
	s_nop 0
	v_cndmask_b32_e32 v44, 0, v44, vcc
	v_cmp_ngt_f32_e32 vcc, s37, v43
	s_nop 1
	v_cndmask_b32_e32 v43, v68, v44, vcc
	v_sub_f32_e32 v43, 1.0, v43
.LBB352_39:                             ;   in Loop: Header=BB352_9 Depth=1
	s_andn2_saveexec_b64 s[14:15], s[14:15]
; %bb.40:                               ;   in Loop: Header=BB352_9 Depth=1
	v_mul_f32_e32 v43, v42, v42
	v_fmamk_f32 v44, v43, 0xba1345e1, v66
	v_fmaak_f32 v44, v43, v44, 0xbcdac9b8
	v_fmaak_f32 v44, v43, v44, 0x3de703be
	;; [unrolled: 1-line block ×4, first 2 shown]
	v_fma_f32 v43, |v42|, v43, |v42|
; %bb.41:                               ;   in Loop: Header=BB352_9 Depth=1
	s_or_b64 exec, exec, s[14:15]
	v_bfi_b32 v37, s38, v40, v37
	v_add_f32_e32 v24, v24, v28
	v_mul_f32_e32 v36, 0.5, v36
	v_add_f32_e32 v37, 1.0, v37
	v_add_f32_e32 v34, v34, v38
	v_bfi_b32 v38, s38, v43, v42
	v_mul_f32_e32 v28, 0x3f3504f3, v24
	v_mul_f32_e32 v36, v36, v37
	v_add_f32_e32 v35, v35, v39
	v_mul_f32_e32 v37, 0.5, v41
	v_add_f32_e32 v38, 1.0, v38
	v_cmp_nlt_f32_e64 s[14:15], |v28|, 1.0
	v_mul_f32_e32 v37, v37, v38
	;;#ASMSTART
	v_pk_mul_f32 v[34:35], v[36:37], v[34:35]
	;;#ASMEND
                                        ; implicit-def: $vgpr36
	s_and_saveexec_b64 s[40:41], s[14:15]
	s_xor_b64 s[14:15], exec, s[40:41]
	s_cbranch_execz .LBB352_43
; %bb.42:                               ;   in Loop: Header=BB352_9 Depth=1
	v_fma_f32 v36, |v28|, s28, v67
	v_fma_f32 v36, |v28|, v36, s29
	;; [unrolled: 1-line block ×6, first 2 shown]
	v_fma_f32 v36, |v28|, v36, |v28|
	v_mul_f32_e32 v37, 0xbfb8aa3b, v36
	v_fma_f32 v38, v36, s35, -v37
	v_rndne_f32_e32 v39, v37
	v_fmac_f32_e32 v38, 0xb2a5705f, v36
	v_sub_f32_e32 v37, v37, v39
	v_add_f32_e32 v37, v37, v38
	v_cvt_i32_f32_e32 v38, v39
	v_exp_f32_e32 v37, v37
	v_cmp_nlt_f32_e32 vcc, s36, v36
	v_ldexp_f32 v37, v37, v38
	s_nop 0
	v_cndmask_b32_e32 v37, 0, v37, vcc
	v_cmp_ngt_f32_e32 vcc, s37, v36
	s_nop 1
	v_cndmask_b32_e32 v36, v68, v37, vcc
	v_sub_f32_e32 v36, 1.0, v36
.LBB352_43:                             ;   in Loop: Header=BB352_9 Depth=1
	s_andn2_saveexec_b64 s[14:15], s[14:15]
; %bb.44:                               ;   in Loop: Header=BB352_9 Depth=1
	v_mul_f32_e32 v36, v28, v28
	v_fmamk_f32 v37, v36, 0xba1345e1, v66
	v_fmaak_f32 v37, v36, v37, 0xbcdac9b8
	v_fmaak_f32 v37, v36, v37, 0x3de703be
	;; [unrolled: 1-line block ×4, first 2 shown]
	v_fma_f32 v36, |v28|, v36, |v28|
; %bb.45:                               ;   in Loop: Header=BB352_9 Depth=1
	s_or_b64 exec, exec, s[14:15]
	v_add_f32_e32 v25, v25, v29
	v_mul_f32_e32 v29, 0x3f3504f3, v25
	v_cmp_nlt_f32_e64 s[14:15], |v29|, 1.0
                                        ; implicit-def: $vgpr37
	s_and_saveexec_b64 s[40:41], s[14:15]
	s_xor_b64 s[14:15], exec, s[40:41]
	s_cbranch_execz .LBB352_47
; %bb.46:                               ;   in Loop: Header=BB352_9 Depth=1
	v_fma_f32 v37, |v29|, s28, v67
	v_fma_f32 v37, |v29|, v37, s29
	;; [unrolled: 1-line block ×6, first 2 shown]
	v_fma_f32 v37, |v29|, v37, |v29|
	v_mul_f32_e32 v38, 0xbfb8aa3b, v37
	v_fma_f32 v39, v37, s35, -v38
	v_rndne_f32_e32 v40, v38
	v_fmac_f32_e32 v39, 0xb2a5705f, v37
	v_sub_f32_e32 v38, v38, v40
	v_add_f32_e32 v38, v38, v39
	v_cvt_i32_f32_e32 v39, v40
	v_exp_f32_e32 v38, v38
	v_cmp_nlt_f32_e32 vcc, s36, v37
	v_ldexp_f32 v38, v38, v39
	s_nop 0
	v_cndmask_b32_e32 v38, 0, v38, vcc
	v_cmp_ngt_f32_e32 vcc, s37, v37
	s_nop 1
	v_cndmask_b32_e32 v37, v68, v38, vcc
	v_sub_f32_e32 v37, 1.0, v37
.LBB352_47:                             ;   in Loop: Header=BB352_9 Depth=1
	s_andn2_saveexec_b64 s[14:15], s[14:15]
; %bb.48:                               ;   in Loop: Header=BB352_9 Depth=1
	v_mul_f32_e32 v37, v29, v29
	v_fmamk_f32 v38, v37, 0xba1345e1, v66
	v_fmaak_f32 v38, v37, v38, 0xbcdac9b8
	v_fmaak_f32 v38, v37, v38, 0x3de703be
	;; [unrolled: 1-line block ×4, first 2 shown]
	v_fma_f32 v37, |v29|, v37, |v29|
; %bb.49:                               ;   in Loop: Header=BB352_9 Depth=1
	s_or_b64 exec, exec, s[14:15]
	s_waitcnt vmcnt(1)
	v_add_f32_e32 v17, v17, v21
	v_bfi_b32 v21, s38, v37, v29
	v_add_f32_e32 v16, v16, v20
	v_mul_f32_e32 v20, 0.5, v25
	v_add_f32_e32 v21, 1.0, v21
	v_bfi_b32 v28, s38, v36, v28
	v_mul_f32_e32 v25, v20, v21
	v_add_f32_e32 v20, v26, v30
	v_mul_f32_e32 v24, 0.5, v24
	v_add_f32_e32 v28, 1.0, v28
	v_mul_f32_e32 v21, 0x3f3504f3, v20
	v_mul_f32_e32 v24, v24, v28
	v_cmp_nlt_f32_e64 s[14:15], |v21|, 1.0
	;;#ASMSTART
	v_pk_mul_f32 v[16:17], v[24:25], v[16:17]
	;;#ASMEND
                                        ; implicit-def: $vgpr24
	s_and_saveexec_b64 s[40:41], s[14:15]
	s_xor_b64 s[14:15], exec, s[40:41]
	s_cbranch_execz .LBB352_51
; %bb.50:                               ;   in Loop: Header=BB352_9 Depth=1
	v_fma_f32 v24, |v21|, s28, v67
	v_fma_f32 v24, |v21|, v24, s29
	;; [unrolled: 1-line block ×6, first 2 shown]
	v_fma_f32 v24, |v21|, v24, |v21|
	v_mul_f32_e32 v25, 0xbfb8aa3b, v24
	v_fma_f32 v26, v24, s35, -v25
	v_rndne_f32_e32 v28, v25
	v_fmac_f32_e32 v26, 0xb2a5705f, v24
	v_sub_f32_e32 v25, v25, v28
	v_add_f32_e32 v25, v25, v26
	v_cvt_i32_f32_e32 v26, v28
	v_exp_f32_e32 v25, v25
	v_cmp_nlt_f32_e32 vcc, s36, v24
	v_ldexp_f32 v25, v25, v26
	s_nop 0
	v_cndmask_b32_e32 v25, 0, v25, vcc
	v_cmp_ngt_f32_e32 vcc, s37, v24
	s_nop 1
	v_cndmask_b32_e32 v24, v68, v25, vcc
	v_sub_f32_e32 v24, 1.0, v24
.LBB352_51:                             ;   in Loop: Header=BB352_9 Depth=1
	s_andn2_saveexec_b64 s[14:15], s[14:15]
; %bb.52:                               ;   in Loop: Header=BB352_9 Depth=1
	v_mul_f32_e32 v24, v21, v21
	v_fmamk_f32 v25, v24, 0xba1345e1, v66
	v_fmaak_f32 v25, v24, v25, 0xbcdac9b8
	v_fmaak_f32 v25, v24, v25, 0x3de703be
	;; [unrolled: 1-line block ×4, first 2 shown]
	v_fma_f32 v24, |v21|, v24, |v21|
; %bb.53:                               ;   in Loop: Header=BB352_9 Depth=1
	s_or_b64 exec, exec, s[14:15]
	v_add_f32_e32 v25, v27, v31
	v_mul_f32_e32 v26, 0x3f3504f3, v25
	v_cmp_nlt_f32_e64 s[14:15], |v26|, 1.0
                                        ; implicit-def: $vgpr27
	s_and_saveexec_b64 s[40:41], s[14:15]
	s_xor_b64 s[14:15], exec, s[40:41]
	s_cbranch_execz .LBB352_55
; %bb.54:                               ;   in Loop: Header=BB352_9 Depth=1
	v_fma_f32 v27, |v26|, s28, v67
	v_fma_f32 v27, |v26|, v27, s29
	;; [unrolled: 1-line block ×6, first 2 shown]
	v_fma_f32 v27, |v26|, v27, |v26|
	v_mul_f32_e32 v28, 0xbfb8aa3b, v27
	v_fma_f32 v29, v27, s35, -v28
	v_rndne_f32_e32 v30, v28
	v_fmac_f32_e32 v29, 0xb2a5705f, v27
	v_sub_f32_e32 v28, v28, v30
	v_add_f32_e32 v28, v28, v29
	v_cvt_i32_f32_e32 v29, v30
	v_exp_f32_e32 v28, v28
	v_cmp_nlt_f32_e32 vcc, s36, v27
	v_ldexp_f32 v28, v28, v29
	s_nop 0
	v_cndmask_b32_e32 v28, 0, v28, vcc
	v_cmp_ngt_f32_e32 vcc, s37, v27
	s_nop 1
	v_cndmask_b32_e32 v27, v68, v28, vcc
	v_sub_f32_e32 v27, 1.0, v27
.LBB352_55:                             ;   in Loop: Header=BB352_9 Depth=1
	s_andn2_saveexec_b64 s[14:15], s[14:15]
; %bb.56:                               ;   in Loop: Header=BB352_9 Depth=1
	v_mul_f32_e32 v27, v26, v26
	v_fmamk_f32 v28, v27, 0xba1345e1, v66
	v_fmaak_f32 v28, v27, v28, 0xbcdac9b8
	v_fmaak_f32 v28, v27, v28, 0x3de703be
	;; [unrolled: 1-line block ×4, first 2 shown]
	v_fma_f32 v27, |v26|, v27, |v26|
; %bb.57:                               ;   in Loop: Header=BB352_9 Depth=1
	s_or_b64 exec, exec, s[14:15]
	v_bfi_b32 v21, s38, v24, v21
	v_add_f32_e32 v8, v8, v12
	v_mul_f32_e32 v20, 0.5, v20
	v_add_f32_e32 v21, 1.0, v21
	v_add_f32_e32 v18, v18, v22
	v_bfi_b32 v22, s38, v27, v26
	v_mul_f32_e32 v12, 0x3f3504f3, v8
	v_mul_f32_e32 v20, v20, v21
	v_add_f32_e32 v19, v19, v23
	v_mul_f32_e32 v21, 0.5, v25
	v_add_f32_e32 v22, 1.0, v22
	v_cmp_nlt_f32_e64 s[14:15], |v12|, 1.0
	v_mul_f32_e32 v21, v21, v22
	;;#ASMSTART
	v_pk_mul_f32 v[18:19], v[20:21], v[18:19]
	;;#ASMEND
                                        ; implicit-def: $vgpr20
	s_and_saveexec_b64 s[40:41], s[14:15]
	s_xor_b64 s[14:15], exec, s[40:41]
	s_cbranch_execz .LBB352_59
; %bb.58:                               ;   in Loop: Header=BB352_9 Depth=1
	v_fma_f32 v20, |v12|, s28, v67
	v_fma_f32 v20, |v12|, v20, s29
	;; [unrolled: 1-line block ×6, first 2 shown]
	v_fma_f32 v20, |v12|, v20, |v12|
	v_mul_f32_e32 v21, 0xbfb8aa3b, v20
	v_fma_f32 v22, v20, s35, -v21
	v_rndne_f32_e32 v23, v21
	v_fmac_f32_e32 v22, 0xb2a5705f, v20
	v_sub_f32_e32 v21, v21, v23
	v_add_f32_e32 v21, v21, v22
	v_cvt_i32_f32_e32 v22, v23
	v_exp_f32_e32 v21, v21
	v_cmp_nlt_f32_e32 vcc, s36, v20
	v_ldexp_f32 v21, v21, v22
	s_nop 0
	v_cndmask_b32_e32 v21, 0, v21, vcc
	v_cmp_ngt_f32_e32 vcc, s37, v20
	s_nop 1
	v_cndmask_b32_e32 v20, v68, v21, vcc
	v_sub_f32_e32 v20, 1.0, v20
.LBB352_59:                             ;   in Loop: Header=BB352_9 Depth=1
	s_andn2_saveexec_b64 s[14:15], s[14:15]
; %bb.60:                               ;   in Loop: Header=BB352_9 Depth=1
	v_mul_f32_e32 v20, v12, v12
	v_fmamk_f32 v21, v20, 0xba1345e1, v66
	v_fmaak_f32 v21, v20, v21, 0xbcdac9b8
	v_fmaak_f32 v21, v20, v21, 0x3de703be
	;; [unrolled: 1-line block ×4, first 2 shown]
	v_fma_f32 v20, |v12|, v20, |v12|
; %bb.61:                               ;   in Loop: Header=BB352_9 Depth=1
	s_or_b64 exec, exec, s[14:15]
	v_add_f32_e32 v9, v9, v13
	v_mul_f32_e32 v13, 0x3f3504f3, v9
	v_cmp_nlt_f32_e64 s[14:15], |v13|, 1.0
                                        ; implicit-def: $vgpr21
	s_and_saveexec_b64 s[40:41], s[14:15]
	s_xor_b64 s[14:15], exec, s[40:41]
	s_cbranch_execz .LBB352_63
; %bb.62:                               ;   in Loop: Header=BB352_9 Depth=1
	v_fma_f32 v21, |v13|, s28, v67
	v_fma_f32 v21, |v13|, v21, s29
	;; [unrolled: 1-line block ×6, first 2 shown]
	v_fma_f32 v21, |v13|, v21, |v13|
	v_mul_f32_e32 v22, 0xbfb8aa3b, v21
	v_fma_f32 v23, v21, s35, -v22
	v_rndne_f32_e32 v24, v22
	v_fmac_f32_e32 v23, 0xb2a5705f, v21
	v_sub_f32_e32 v22, v22, v24
	v_add_f32_e32 v22, v22, v23
	v_cvt_i32_f32_e32 v23, v24
	v_exp_f32_e32 v22, v22
	v_cmp_nlt_f32_e32 vcc, s36, v21
	v_ldexp_f32 v22, v22, v23
	s_nop 0
	v_cndmask_b32_e32 v22, 0, v22, vcc
	v_cmp_ngt_f32_e32 vcc, s37, v21
	s_nop 1
	v_cndmask_b32_e32 v21, v68, v22, vcc
	v_sub_f32_e32 v21, 1.0, v21
.LBB352_63:                             ;   in Loop: Header=BB352_9 Depth=1
	s_andn2_saveexec_b64 s[14:15], s[14:15]
; %bb.64:                               ;   in Loop: Header=BB352_9 Depth=1
	v_mul_f32_e32 v21, v13, v13
	v_fmamk_f32 v22, v21, 0xba1345e1, v66
	v_fmaak_f32 v22, v21, v22, 0xbcdac9b8
	v_fmaak_f32 v22, v21, v22, 0x3de703be
	;; [unrolled: 1-line block ×4, first 2 shown]
	v_fma_f32 v21, |v13|, v21, |v13|
; %bb.65:                               ;   in Loop: Header=BB352_9 Depth=1
	s_or_b64 exec, exec, s[14:15]
	s_waitcnt vmcnt(0)
	v_add_f32_e32 v1, v1, v5
	v_bfi_b32 v5, s38, v21, v13
	v_add_f32_e32 v0, v0, v4
	v_mul_f32_e32 v4, 0.5, v9
	v_add_f32_e32 v5, 1.0, v5
	v_bfi_b32 v12, s38, v20, v12
	v_mul_f32_e32 v9, v4, v5
	v_add_f32_e32 v4, v10, v14
	v_mul_f32_e32 v8, 0.5, v8
	v_add_f32_e32 v12, 1.0, v12
	v_mul_f32_e32 v5, 0x3f3504f3, v4
	v_mul_f32_e32 v8, v8, v12
	v_cmp_nlt_f32_e64 s[14:15], |v5|, 1.0
	;;#ASMSTART
	v_pk_mul_f32 v[0:1], v[8:9], v[0:1]
	;;#ASMEND
                                        ; implicit-def: $vgpr8
	s_and_saveexec_b64 s[40:41], s[14:15]
	s_xor_b64 s[14:15], exec, s[40:41]
	s_cbranch_execz .LBB352_67
; %bb.66:                               ;   in Loop: Header=BB352_9 Depth=1
	v_fma_f32 v8, |v5|, s28, v67
	v_fma_f32 v8, |v5|, v8, s29
	;; [unrolled: 1-line block ×6, first 2 shown]
	v_fma_f32 v8, |v5|, v8, |v5|
	v_mul_f32_e32 v9, 0xbfb8aa3b, v8
	v_fma_f32 v10, v8, s35, -v9
	v_rndne_f32_e32 v12, v9
	v_fmac_f32_e32 v10, 0xb2a5705f, v8
	v_sub_f32_e32 v9, v9, v12
	v_add_f32_e32 v9, v9, v10
	v_cvt_i32_f32_e32 v10, v12
	v_exp_f32_e32 v9, v9
	v_cmp_nlt_f32_e32 vcc, s36, v8
	v_ldexp_f32 v9, v9, v10
	s_nop 0
	v_cndmask_b32_e32 v9, 0, v9, vcc
	v_cmp_ngt_f32_e32 vcc, s37, v8
	s_nop 1
	v_cndmask_b32_e32 v8, v68, v9, vcc
	v_sub_f32_e32 v8, 1.0, v8
.LBB352_67:                             ;   in Loop: Header=BB352_9 Depth=1
	s_andn2_saveexec_b64 s[14:15], s[14:15]
; %bb.68:                               ;   in Loop: Header=BB352_9 Depth=1
	v_mul_f32_e32 v8, v5, v5
	v_fmamk_f32 v9, v8, 0xba1345e1, v66
	v_fmaak_f32 v9, v8, v9, 0xbcdac9b8
	v_fmaak_f32 v9, v8, v9, 0x3de703be
	;; [unrolled: 1-line block ×4, first 2 shown]
	v_fma_f32 v8, |v5|, v8, |v5|
; %bb.69:                               ;   in Loop: Header=BB352_9 Depth=1
	s_or_b64 exec, exec, s[14:15]
	v_add_f32_e32 v9, v11, v15
	v_mul_f32_e32 v10, 0x3f3504f3, v9
	v_cmp_nlt_f32_e64 s[14:15], |v10|, 1.0
                                        ; implicit-def: $vgpr11
	s_and_saveexec_b64 s[40:41], s[14:15]
	s_xor_b64 s[14:15], exec, s[40:41]
	s_cbranch_execz .LBB352_71
; %bb.70:                               ;   in Loop: Header=BB352_9 Depth=1
	v_fma_f32 v11, |v10|, s28, v67
	v_fma_f32 v11, |v10|, v11, s29
	;; [unrolled: 1-line block ×6, first 2 shown]
	v_fma_f32 v11, |v10|, v11, |v10|
	v_mul_f32_e32 v12, 0xbfb8aa3b, v11
	v_fma_f32 v13, v11, s35, -v12
	v_rndne_f32_e32 v14, v12
	v_fmac_f32_e32 v13, 0xb2a5705f, v11
	v_sub_f32_e32 v12, v12, v14
	v_add_f32_e32 v12, v12, v13
	v_cvt_i32_f32_e32 v13, v14
	v_exp_f32_e32 v12, v12
	v_cmp_nlt_f32_e32 vcc, s36, v11
	v_ldexp_f32 v12, v12, v13
	s_nop 0
	v_cndmask_b32_e32 v12, 0, v12, vcc
	v_cmp_ngt_f32_e32 vcc, s37, v11
	s_nop 1
	v_cndmask_b32_e32 v11, v68, v12, vcc
	v_sub_f32_e32 v11, 1.0, v11
.LBB352_71:                             ;   in Loop: Header=BB352_9 Depth=1
	s_andn2_saveexec_b64 s[14:15], s[14:15]
	s_cbranch_execz .LBB352_8
; %bb.72:                               ;   in Loop: Header=BB352_9 Depth=1
	v_mul_f32_e32 v11, v10, v10
	v_fmamk_f32 v12, v11, 0xba1345e1, v66
	v_fmaak_f32 v12, v11, v12, 0xbcdac9b8
	v_fmaak_f32 v12, v11, v12, 0x3de703be
	;; [unrolled: 1-line block ×4, first 2 shown]
	v_fma_f32 v11, |v10|, v11, |v10|
	s_branch .LBB352_8
.LBB352_73:
	s_endpgm
	.section	.rodata,"a",@progbits
	.p2align	6, 0x0
	.amdhsa_kernel _ZN5aiter23act_and_mul_bias_kernelIfthfTnPFfRKT2_EXadL_ZNS_11gelu_kernelIfEEfRKT_EELi16EEEvPT0_PS8_PKT1_PS2_il
		.amdhsa_group_segment_fixed_size 0
		.amdhsa_private_segment_fixed_size 0
		.amdhsa_kernarg_size 304
		.amdhsa_user_sgpr_count 2
		.amdhsa_user_sgpr_dispatch_ptr 0
		.amdhsa_user_sgpr_queue_ptr 0
		.amdhsa_user_sgpr_kernarg_segment_ptr 1
		.amdhsa_user_sgpr_dispatch_id 0
		.amdhsa_user_sgpr_kernarg_preload_length 0
		.amdhsa_user_sgpr_kernarg_preload_offset 0
		.amdhsa_user_sgpr_private_segment_size 0
		.amdhsa_uses_dynamic_stack 0
		.amdhsa_enable_private_segment 0
		.amdhsa_system_sgpr_workgroup_id_x 1
		.amdhsa_system_sgpr_workgroup_id_y 0
		.amdhsa_system_sgpr_workgroup_id_z 0
		.amdhsa_system_sgpr_workgroup_info 0
		.amdhsa_system_vgpr_workitem_id 0
		.amdhsa_next_free_vgpr 74
		.amdhsa_next_free_sgpr 42
		.amdhsa_accum_offset 76
		.amdhsa_reserve_vcc 1
		.amdhsa_float_round_mode_32 0
		.amdhsa_float_round_mode_16_64 0
		.amdhsa_float_denorm_mode_32 3
		.amdhsa_float_denorm_mode_16_64 3
		.amdhsa_dx10_clamp 1
		.amdhsa_ieee_mode 1
		.amdhsa_fp16_overflow 0
		.amdhsa_tg_split 0
		.amdhsa_exception_fp_ieee_invalid_op 0
		.amdhsa_exception_fp_denorm_src 0
		.amdhsa_exception_fp_ieee_div_zero 0
		.amdhsa_exception_fp_ieee_overflow 0
		.amdhsa_exception_fp_ieee_underflow 0
		.amdhsa_exception_fp_ieee_inexact 0
		.amdhsa_exception_int_div_zero 0
	.end_amdhsa_kernel
	.section	.text._ZN5aiter23act_and_mul_bias_kernelIfthfTnPFfRKT2_EXadL_ZNS_11gelu_kernelIfEEfRKT_EELi16EEEvPT0_PS8_PKT1_PS2_il,"axG",@progbits,_ZN5aiter23act_and_mul_bias_kernelIfthfTnPFfRKT2_EXadL_ZNS_11gelu_kernelIfEEfRKT_EELi16EEEvPT0_PS8_PKT1_PS2_il,comdat
.Lfunc_end352:
	.size	_ZN5aiter23act_and_mul_bias_kernelIfthfTnPFfRKT2_EXadL_ZNS_11gelu_kernelIfEEfRKT_EELi16EEEvPT0_PS8_PKT1_PS2_il, .Lfunc_end352-_ZN5aiter23act_and_mul_bias_kernelIfthfTnPFfRKT2_EXadL_ZNS_11gelu_kernelIfEEfRKT_EELi16EEEvPT0_PS8_PKT1_PS2_il
                                        ; -- End function
	.section	.AMDGPU.csdata,"",@progbits
; Kernel info:
; codeLenInByte = 5008
; NumSgprs: 48
; NumVgprs: 74
; NumAgprs: 0
; TotalNumVgprs: 74
; ScratchSize: 0
; MemoryBound: 0
; FloatMode: 240
; IeeeMode: 1
; LDSByteSize: 0 bytes/workgroup (compile time only)
; SGPRBlocks: 5
; VGPRBlocks: 9
; NumSGPRsForWavesPerEU: 48
; NumVGPRsForWavesPerEU: 74
; AccumOffset: 76
; Occupancy: 6
; WaveLimiterHint : 0
; COMPUTE_PGM_RSRC2:SCRATCH_EN: 0
; COMPUTE_PGM_RSRC2:USER_SGPR: 2
; COMPUTE_PGM_RSRC2:TRAP_HANDLER: 0
; COMPUTE_PGM_RSRC2:TGID_X_EN: 1
; COMPUTE_PGM_RSRC2:TGID_Y_EN: 0
; COMPUTE_PGM_RSRC2:TGID_Z_EN: 0
; COMPUTE_PGM_RSRC2:TIDIG_COMP_CNT: 0
; COMPUTE_PGM_RSRC3_GFX90A:ACCUM_OFFSET: 18
; COMPUTE_PGM_RSRC3_GFX90A:TG_SPLIT: 0
	.section	.text._ZN5aiter23act_and_mul_bias_kernelIfthfTnPFfRKT2_EXadL_ZNS_11gelu_kernelIfEEfRKT_EELi8EEEvPT0_PS8_PKT1_PS2_il,"axG",@progbits,_ZN5aiter23act_and_mul_bias_kernelIfthfTnPFfRKT2_EXadL_ZNS_11gelu_kernelIfEEfRKT_EELi8EEEvPT0_PS8_PKT1_PS2_il,comdat
	.protected	_ZN5aiter23act_and_mul_bias_kernelIfthfTnPFfRKT2_EXadL_ZNS_11gelu_kernelIfEEfRKT_EELi8EEEvPT0_PS8_PKT1_PS2_il ; -- Begin function _ZN5aiter23act_and_mul_bias_kernelIfthfTnPFfRKT2_EXadL_ZNS_11gelu_kernelIfEEfRKT_EELi8EEEvPT0_PS8_PKT1_PS2_il
	.globl	_ZN5aiter23act_and_mul_bias_kernelIfthfTnPFfRKT2_EXadL_ZNS_11gelu_kernelIfEEfRKT_EELi8EEEvPT0_PS8_PKT1_PS2_il
	.p2align	8
	.type	_ZN5aiter23act_and_mul_bias_kernelIfthfTnPFfRKT2_EXadL_ZNS_11gelu_kernelIfEEfRKT_EELi8EEEvPT0_PS8_PKT1_PS2_il,@function
_ZN5aiter23act_and_mul_bias_kernelIfthfTnPFfRKT2_EXadL_ZNS_11gelu_kernelIfEEfRKT_EELi8EEEvPT0_PS8_PKT1_PS2_il: ; @_ZN5aiter23act_and_mul_bias_kernelIfthfTnPFfRKT2_EXadL_ZNS_11gelu_kernelIfEEfRKT_EELi8EEEvPT0_PS8_PKT1_PS2_il
; %bb.0:
	s_load_dwordx2 s[4:5], s[0:1], 0x10
	s_load_dword s24, s[0:1], 0x20
	s_load_dwordx2 s[6:7], s[0:1], 0x28
	v_mov_b32_e32 v1, s2
	s_mov_b32 s9, 0
	s_waitcnt lgkmcnt(0)
	global_load_ubyte v1, v1, s[4:5]
	s_load_dwordx2 s[4:5], s[0:1], 0x0
	s_ashr_i32 s25, s24, 31
	s_mul_hi_u32 s3, s24, s2
	v_mov_b64_e32 v[2:3], s[6:7]
	s_mul_i32 s6, s25, s2
	s_mul_i32 s12, s24, s2
	s_add_i32 s13, s3, s6
	s_lshl_b64 s[6:7], s[12:13], 1
	s_mov_b64 s[10:11], -1
	v_lshlrev_b32_e32 v32, 3, v0
	s_waitcnt vmcnt(0)
	v_readfirstlane_b32 s3, v1
	s_and_b32 s8, s3, 0xffff
	s_waitcnt lgkmcnt(0)
	s_add_u32 s4, s4, s6
	s_addc_u32 s3, s5, s7
	s_add_i32 s6, s24, 1
	s_lshr_b32 s7, s6, 31
	s_add_i32 s6, s6, s7
	v_cmp_lt_i64_e32 vcc, s[8:9], v[2:3]
	s_and_b32 s5, s3, 0xffff
	s_lshl_b32 s3, s6, 1
	s_and_b32 s6, s3, -4
	s_cbranch_vccnz .LBB353_5
; %bb.1:
	v_cmp_gt_i32_e32 vcc, s24, v32
	s_and_saveexec_b64 s[10:11], vcc
	s_cbranch_execz .LBB353_4
; %bb.2:
	s_load_dword s3, s[0:1], 0x3c
	v_mov_b32_e32 v33, 0
	s_mov_b32 s13, 0
	v_lshlrev_b32_e32 v6, 4, v0
	s_mov_b64 s[14:15], 0
	s_waitcnt lgkmcnt(0)
	s_and_b32 s3, s3, 0xffff
	s_lshl_b32 s12, s3, 3
	s_lshl_b32 s3, s3, 4
	s_mov_b32 s7, 0x20000
	v_mov_b32_e32 v0, v33
	v_mov_b32_e32 v1, v33
	;; [unrolled: 1-line block ×4, first 2 shown]
	v_mov_b64_e32 v[4:5], v[32:33]
.LBB353_3:                              ; =>This Inner Loop Header: Depth=1
	v_lshl_add_u64 v[4:5], s[12:13], 0, v[4:5]
	v_cmp_le_i64_e32 vcc, s[24:25], v[4:5]
	buffer_store_dwordx4 v[0:3], v6, s[4:7], 0 offen
	s_or_b64 s[14:15], vcc, s[14:15]
	v_add_u32_e32 v6, s3, v6
	s_andn2_b64 exec, exec, s[14:15]
	s_cbranch_execnz .LBB353_3
.LBB353_4:
	s_or_b64 exec, exec, s[10:11]
	s_mov_b64 s[10:11], 0
.LBB353_5:
	s_andn2_b64 vcc, exec, s[10:11]
	s_cbranch_vccnz .LBB353_41
; %bb.6:
	v_cmp_gt_i32_e32 vcc, s24, v32
	s_and_saveexec_b64 s[10:11], vcc
	s_cbranch_execz .LBB353_41
; %bb.7:
	s_load_dwordx2 s[14:15], s[0:1], 0x8
	s_load_dwordx2 s[12:13], s[0:1], 0x18
	s_mul_hi_i32 s9, s24, s8
	s_mul_i32 s8, s24, s8
	s_lshl_b32 s10, s24, 2
	s_lshl_b64 s[8:9], s[8:9], 3
	s_waitcnt lgkmcnt(0)
	s_add_u32 s8, s12, s8
	s_addc_u32 s3, s13, s9
	s_lshl_b64 s[18:19], s[24:25], 2
	s_add_u32 s12, s8, s18
	s_addc_u32 s13, s3, s19
	s_and_b32 s9, s3, 0xffff
	s_mul_i32 s3, s2, s25
	s_mul_hi_u32 s16, s2, s24
	s_add_i32 s3, s16, s3
	s_mul_i32 s2, s2, s24
	s_and_b32 s13, s13, 0xffff
	s_lshl_b64 s[2:3], s[2:3], 3
	s_add_u32 s16, s14, s2
	s_addc_u32 s2, s15, s3
	s_add_u32 s20, s16, s18
	s_addc_u32 s3, s2, s19
	s_and_b32 s17, s2, 0xffff
	s_and_b32 s21, s3, 0xffff
	s_mov_b32 s7, 0x20000
	s_add_u32 s0, s0, 48
	s_mov_b32 s11, s7
	v_mov_b32_e32 v33, 0
	s_addc_u32 s1, s1, 0
	s_mov_b64 s[2:3], 0
	s_mov_b32 s18, s10
	s_mov_b32 s19, s7
	s_mov_b32 s27, 0
	s_mov_b32 s28, 0x378e98ab
	s_mov_b32 s29, 0x3b7cd369
	s_mov_b32 s30, 0xbcc618b2
	s_mov_b32 s31, 0x3dda74e4
	s_mov_b32 s33, 0x3f228afd
	s_mov_b32 s34, 0x3e03c728
	s_mov_b32 s35, 0xbfb8aa3b
	s_mov_b32 s36, 0x42ce8ed0
	s_mov_b32 s37, 0xc2b17218
	v_mov_b32_e32 v34, 0x3ba10414
	s_brev_b32 s38, -2
	s_mov_b32 s39, 0x7060302
	s_mov_b32 s22, s10
	;; [unrolled: 1-line block ×3, first 2 shown]
	v_mov_b32_e32 v35, 0xb9c68948
	v_mov_b32_e32 v36, 0x7f800000
                                        ; implicit-def: $vgpr0
                                        ; implicit-def: $vgpr0
	;; [unrolled: 1-line block ×4, first 2 shown]
	s_branch .LBB353_9
.LBB353_8:                              ;   in Loop: Header=BB353_9 Depth=1
	s_or_b64 exec, exec, s[14:15]
	v_bfi_b32 v5, s38, v8, v5
	v_mul_f32_e32 v4, 0.5, v4
	v_add_f32_e32 v5, 1.0, v5
	v_add_f32_e32 v2, v2, v6
	v_bfi_b32 v6, s38, v11, v10
	v_mul_f32_e32 v4, v4, v5
	v_add_f32_e32 v3, v3, v7
	v_mul_f32_e32 v5, 0.5, v9
	v_add_f32_e32 v6, 1.0, v6
	v_mul_f32_e32 v5, v5, v6
	;;#ASMSTART
	v_pk_mul_f32 v[2:3], v[4:5], v[2:3]
	;;#ASMEND
	s_load_dword s14, s[0:1], 0xc
	v_lshlrev_b32_e32 v4, 1, v32
	v_perm_b32 v3, v3, v2, s39
	v_perm_b32 v2, v1, v0, s39
	;; [unrolled: 1-line block ×3, first 2 shown]
	s_waitcnt lgkmcnt(0)
	s_and_b32 s14, s14, 0xffff
	s_lshl_b32 s26, s14, 3
	v_lshl_add_u64 v[32:33], s[26:27], 0, v[32:33]
	v_cmp_le_i64_e32 vcc, s[24:25], v[32:33]
	v_perm_b32 v0, v17, v16, s39
	s_or_b64 s[2:3], vcc, s[2:3]
	buffer_store_dwordx4 v[0:3], v4, s[4:7], 0 offen
	s_andn2_b64 exec, exec, s[2:3]
	s_cbranch_execz .LBB353_41
.LBB353_9:                              ; =>This Inner Loop Header: Depth=1
	v_lshlrev_b32_e32 v37, 2, v32
	buffer_load_dwordx4 v[24:27], v37, s[16:19], 0 offen
	buffer_load_dwordx4 v[8:11], v37, s[16:19], 16 offen
	;; [unrolled: 1-line block ×6, first 2 shown]
	s_mov_b32 s14, s10
	s_mov_b32 s15, s11
	buffer_load_dwordx4 v[20:23], v37, s[12:15], 0 offen
	buffer_load_dwordx4 v[4:7], v37, s[12:15], 16 offen
                                        ; implicit-def: $vgpr37
	s_waitcnt vmcnt(3)
	v_add_f32_e32 v24, v24, v28
	v_mul_f32_e32 v28, 0x3f3504f3, v24
	v_cmp_nlt_f32_e64 s[14:15], |v28|, 1.0
	s_and_saveexec_b64 s[40:41], s[14:15]
	s_xor_b64 s[14:15], exec, s[40:41]
	s_cbranch_execz .LBB353_11
; %bb.10:                               ;   in Loop: Header=BB353_9 Depth=1
	v_fma_f32 v37, |v28|, s28, v35
	v_fma_f32 v37, |v28|, v37, s29
	;; [unrolled: 1-line block ×6, first 2 shown]
	v_fma_f32 v37, |v28|, v37, |v28|
	v_mul_f32_e32 v38, 0xbfb8aa3b, v37
	v_fma_f32 v39, v37, s35, -v38
	v_rndne_f32_e32 v40, v38
	v_fmac_f32_e32 v39, 0xb2a5705f, v37
	v_sub_f32_e32 v38, v38, v40
	v_add_f32_e32 v38, v38, v39
	v_cvt_i32_f32_e32 v39, v40
	v_exp_f32_e32 v38, v38
	v_cmp_nlt_f32_e32 vcc, s36, v37
	v_ldexp_f32 v38, v38, v39
	s_nop 0
	v_cndmask_b32_e32 v38, 0, v38, vcc
	v_cmp_ngt_f32_e32 vcc, s37, v37
	s_nop 1
	v_cndmask_b32_e32 v37, v36, v38, vcc
	v_sub_f32_e32 v37, 1.0, v37
.LBB353_11:                             ;   in Loop: Header=BB353_9 Depth=1
	s_andn2_saveexec_b64 s[14:15], s[14:15]
; %bb.12:                               ;   in Loop: Header=BB353_9 Depth=1
	v_mul_f32_e32 v37, v28, v28
	v_fmamk_f32 v38, v37, 0xba1345e1, v34
	v_fmaak_f32 v38, v37, v38, 0xbcdac9b8
	v_fmaak_f32 v38, v37, v38, 0x3de703be
	;; [unrolled: 1-line block ×4, first 2 shown]
	v_fma_f32 v37, |v28|, v37, |v28|
; %bb.13:                               ;   in Loop: Header=BB353_9 Depth=1
	s_or_b64 exec, exec, s[14:15]
	v_add_f32_e32 v25, v25, v29
	v_mul_f32_e32 v29, 0x3f3504f3, v25
	v_cmp_nlt_f32_e64 s[14:15], |v29|, 1.0
                                        ; implicit-def: $vgpr38
	s_and_saveexec_b64 s[40:41], s[14:15]
	s_xor_b64 s[14:15], exec, s[40:41]
	s_cbranch_execz .LBB353_15
; %bb.14:                               ;   in Loop: Header=BB353_9 Depth=1
	v_fma_f32 v38, |v29|, s28, v35
	v_fma_f32 v38, |v29|, v38, s29
	;; [unrolled: 1-line block ×6, first 2 shown]
	v_fma_f32 v38, |v29|, v38, |v29|
	v_mul_f32_e32 v39, 0xbfb8aa3b, v38
	v_fma_f32 v40, v38, s35, -v39
	v_rndne_f32_e32 v41, v39
	v_fmac_f32_e32 v40, 0xb2a5705f, v38
	v_sub_f32_e32 v39, v39, v41
	v_add_f32_e32 v39, v39, v40
	v_cvt_i32_f32_e32 v40, v41
	v_exp_f32_e32 v39, v39
	v_cmp_nlt_f32_e32 vcc, s36, v38
	v_ldexp_f32 v39, v39, v40
	s_nop 0
	v_cndmask_b32_e32 v39, 0, v39, vcc
	v_cmp_ngt_f32_e32 vcc, s37, v38
	s_nop 1
	v_cndmask_b32_e32 v38, v36, v39, vcc
	v_sub_f32_e32 v38, 1.0, v38
.LBB353_15:                             ;   in Loop: Header=BB353_9 Depth=1
	s_andn2_saveexec_b64 s[14:15], s[14:15]
; %bb.16:                               ;   in Loop: Header=BB353_9 Depth=1
	v_mul_f32_e32 v38, v29, v29
	v_fmamk_f32 v39, v38, 0xba1345e1, v34
	v_fmaak_f32 v39, v38, v39, 0xbcdac9b8
	v_fmaak_f32 v39, v38, v39, 0x3de703be
	;; [unrolled: 1-line block ×4, first 2 shown]
	v_fma_f32 v38, |v29|, v38, |v29|
; %bb.17:                               ;   in Loop: Header=BB353_9 Depth=1
	s_or_b64 exec, exec, s[14:15]
	s_waitcnt vmcnt(1)
	v_add_f32_e32 v17, v17, v21
	v_bfi_b32 v21, s38, v38, v29
	v_add_f32_e32 v16, v16, v20
	v_mul_f32_e32 v20, 0.5, v25
	v_add_f32_e32 v21, 1.0, v21
	v_bfi_b32 v28, s38, v37, v28
	v_mul_f32_e32 v25, v20, v21
	v_add_f32_e32 v20, v26, v30
	v_mul_f32_e32 v24, 0.5, v24
	v_add_f32_e32 v28, 1.0, v28
	v_mul_f32_e32 v21, 0x3f3504f3, v20
	v_mul_f32_e32 v24, v24, v28
	v_cmp_nlt_f32_e64 s[14:15], |v21|, 1.0
	;;#ASMSTART
	v_pk_mul_f32 v[16:17], v[24:25], v[16:17]
	;;#ASMEND
                                        ; implicit-def: $vgpr24
	s_and_saveexec_b64 s[40:41], s[14:15]
	s_xor_b64 s[14:15], exec, s[40:41]
	s_cbranch_execz .LBB353_19
; %bb.18:                               ;   in Loop: Header=BB353_9 Depth=1
	v_fma_f32 v24, |v21|, s28, v35
	v_fma_f32 v24, |v21|, v24, s29
	v_fma_f32 v24, |v21|, v24, s30
	v_fma_f32 v24, |v21|, v24, s31
	v_fma_f32 v24, |v21|, v24, s33
	v_fma_f32 v24, |v21|, v24, s34
	v_fma_f32 v24, |v21|, v24, |v21|
	v_mul_f32_e32 v25, 0xbfb8aa3b, v24
	v_fma_f32 v26, v24, s35, -v25
	v_rndne_f32_e32 v28, v25
	v_fmac_f32_e32 v26, 0xb2a5705f, v24
	v_sub_f32_e32 v25, v25, v28
	v_add_f32_e32 v25, v25, v26
	v_cvt_i32_f32_e32 v26, v28
	v_exp_f32_e32 v25, v25
	v_cmp_nlt_f32_e32 vcc, s36, v24
	v_ldexp_f32 v25, v25, v26
	s_nop 0
	v_cndmask_b32_e32 v25, 0, v25, vcc
	v_cmp_ngt_f32_e32 vcc, s37, v24
	s_nop 1
	v_cndmask_b32_e32 v24, v36, v25, vcc
	v_sub_f32_e32 v24, 1.0, v24
.LBB353_19:                             ;   in Loop: Header=BB353_9 Depth=1
	s_andn2_saveexec_b64 s[14:15], s[14:15]
; %bb.20:                               ;   in Loop: Header=BB353_9 Depth=1
	v_mul_f32_e32 v24, v21, v21
	v_fmamk_f32 v25, v24, 0xba1345e1, v34
	v_fmaak_f32 v25, v24, v25, 0xbcdac9b8
	v_fmaak_f32 v25, v24, v25, 0x3de703be
	;; [unrolled: 1-line block ×4, first 2 shown]
	v_fma_f32 v24, |v21|, v24, |v21|
; %bb.21:                               ;   in Loop: Header=BB353_9 Depth=1
	s_or_b64 exec, exec, s[14:15]
	v_add_f32_e32 v25, v27, v31
	v_mul_f32_e32 v26, 0x3f3504f3, v25
	v_cmp_nlt_f32_e64 s[14:15], |v26|, 1.0
                                        ; implicit-def: $vgpr27
	s_and_saveexec_b64 s[40:41], s[14:15]
	s_xor_b64 s[14:15], exec, s[40:41]
	s_cbranch_execz .LBB353_23
; %bb.22:                               ;   in Loop: Header=BB353_9 Depth=1
	v_fma_f32 v27, |v26|, s28, v35
	v_fma_f32 v27, |v26|, v27, s29
	;; [unrolled: 1-line block ×6, first 2 shown]
	v_fma_f32 v27, |v26|, v27, |v26|
	v_mul_f32_e32 v28, 0xbfb8aa3b, v27
	v_fma_f32 v29, v27, s35, -v28
	v_rndne_f32_e32 v30, v28
	v_fmac_f32_e32 v29, 0xb2a5705f, v27
	v_sub_f32_e32 v28, v28, v30
	v_add_f32_e32 v28, v28, v29
	v_cvt_i32_f32_e32 v29, v30
	v_exp_f32_e32 v28, v28
	v_cmp_nlt_f32_e32 vcc, s36, v27
	v_ldexp_f32 v28, v28, v29
	s_nop 0
	v_cndmask_b32_e32 v28, 0, v28, vcc
	v_cmp_ngt_f32_e32 vcc, s37, v27
	s_nop 1
	v_cndmask_b32_e32 v27, v36, v28, vcc
	v_sub_f32_e32 v27, 1.0, v27
.LBB353_23:                             ;   in Loop: Header=BB353_9 Depth=1
	s_andn2_saveexec_b64 s[14:15], s[14:15]
; %bb.24:                               ;   in Loop: Header=BB353_9 Depth=1
	v_mul_f32_e32 v27, v26, v26
	v_fmamk_f32 v28, v27, 0xba1345e1, v34
	v_fmaak_f32 v28, v27, v28, 0xbcdac9b8
	v_fmaak_f32 v28, v27, v28, 0x3de703be
	;; [unrolled: 1-line block ×4, first 2 shown]
	v_fma_f32 v27, |v26|, v27, |v26|
; %bb.25:                               ;   in Loop: Header=BB353_9 Depth=1
	s_or_b64 exec, exec, s[14:15]
	v_bfi_b32 v21, s38, v24, v21
	v_add_f32_e32 v8, v8, v12
	v_mul_f32_e32 v20, 0.5, v20
	v_add_f32_e32 v21, 1.0, v21
	v_add_f32_e32 v18, v18, v22
	v_bfi_b32 v22, s38, v27, v26
	v_mul_f32_e32 v12, 0x3f3504f3, v8
	v_mul_f32_e32 v20, v20, v21
	v_add_f32_e32 v19, v19, v23
	v_mul_f32_e32 v21, 0.5, v25
	v_add_f32_e32 v22, 1.0, v22
	v_cmp_nlt_f32_e64 s[14:15], |v12|, 1.0
	v_mul_f32_e32 v21, v21, v22
	;;#ASMSTART
	v_pk_mul_f32 v[18:19], v[20:21], v[18:19]
	;;#ASMEND
                                        ; implicit-def: $vgpr20
	s_and_saveexec_b64 s[40:41], s[14:15]
	s_xor_b64 s[14:15], exec, s[40:41]
	s_cbranch_execz .LBB353_27
; %bb.26:                               ;   in Loop: Header=BB353_9 Depth=1
	v_fma_f32 v20, |v12|, s28, v35
	v_fma_f32 v20, |v12|, v20, s29
	;; [unrolled: 1-line block ×6, first 2 shown]
	v_fma_f32 v20, |v12|, v20, |v12|
	v_mul_f32_e32 v21, 0xbfb8aa3b, v20
	v_fma_f32 v22, v20, s35, -v21
	v_rndne_f32_e32 v23, v21
	v_fmac_f32_e32 v22, 0xb2a5705f, v20
	v_sub_f32_e32 v21, v21, v23
	v_add_f32_e32 v21, v21, v22
	v_cvt_i32_f32_e32 v22, v23
	v_exp_f32_e32 v21, v21
	v_cmp_nlt_f32_e32 vcc, s36, v20
	v_ldexp_f32 v21, v21, v22
	s_nop 0
	v_cndmask_b32_e32 v21, 0, v21, vcc
	v_cmp_ngt_f32_e32 vcc, s37, v20
	s_nop 1
	v_cndmask_b32_e32 v20, v36, v21, vcc
	v_sub_f32_e32 v20, 1.0, v20
.LBB353_27:                             ;   in Loop: Header=BB353_9 Depth=1
	s_andn2_saveexec_b64 s[14:15], s[14:15]
; %bb.28:                               ;   in Loop: Header=BB353_9 Depth=1
	v_mul_f32_e32 v20, v12, v12
	v_fmamk_f32 v21, v20, 0xba1345e1, v34
	v_fmaak_f32 v21, v20, v21, 0xbcdac9b8
	v_fmaak_f32 v21, v20, v21, 0x3de703be
	;; [unrolled: 1-line block ×4, first 2 shown]
	v_fma_f32 v20, |v12|, v20, |v12|
; %bb.29:                               ;   in Loop: Header=BB353_9 Depth=1
	s_or_b64 exec, exec, s[14:15]
	v_add_f32_e32 v9, v9, v13
	v_mul_f32_e32 v13, 0x3f3504f3, v9
	v_cmp_nlt_f32_e64 s[14:15], |v13|, 1.0
                                        ; implicit-def: $vgpr21
	s_and_saveexec_b64 s[40:41], s[14:15]
	s_xor_b64 s[14:15], exec, s[40:41]
	s_cbranch_execz .LBB353_31
; %bb.30:                               ;   in Loop: Header=BB353_9 Depth=1
	v_fma_f32 v21, |v13|, s28, v35
	v_fma_f32 v21, |v13|, v21, s29
	;; [unrolled: 1-line block ×6, first 2 shown]
	v_fma_f32 v21, |v13|, v21, |v13|
	v_mul_f32_e32 v22, 0xbfb8aa3b, v21
	v_fma_f32 v23, v21, s35, -v22
	v_rndne_f32_e32 v24, v22
	v_fmac_f32_e32 v23, 0xb2a5705f, v21
	v_sub_f32_e32 v22, v22, v24
	v_add_f32_e32 v22, v22, v23
	v_cvt_i32_f32_e32 v23, v24
	v_exp_f32_e32 v22, v22
	v_cmp_nlt_f32_e32 vcc, s36, v21
	v_ldexp_f32 v22, v22, v23
	s_nop 0
	v_cndmask_b32_e32 v22, 0, v22, vcc
	v_cmp_ngt_f32_e32 vcc, s37, v21
	s_nop 1
	v_cndmask_b32_e32 v21, v36, v22, vcc
	v_sub_f32_e32 v21, 1.0, v21
.LBB353_31:                             ;   in Loop: Header=BB353_9 Depth=1
	s_andn2_saveexec_b64 s[14:15], s[14:15]
; %bb.32:                               ;   in Loop: Header=BB353_9 Depth=1
	v_mul_f32_e32 v21, v13, v13
	v_fmamk_f32 v22, v21, 0xba1345e1, v34
	v_fmaak_f32 v22, v21, v22, 0xbcdac9b8
	v_fmaak_f32 v22, v21, v22, 0x3de703be
	;; [unrolled: 1-line block ×4, first 2 shown]
	v_fma_f32 v21, |v13|, v21, |v13|
; %bb.33:                               ;   in Loop: Header=BB353_9 Depth=1
	s_or_b64 exec, exec, s[14:15]
	s_waitcnt vmcnt(0)
	v_add_f32_e32 v1, v1, v5
	v_bfi_b32 v5, s38, v21, v13
	v_add_f32_e32 v0, v0, v4
	v_mul_f32_e32 v4, 0.5, v9
	v_add_f32_e32 v5, 1.0, v5
	v_bfi_b32 v12, s38, v20, v12
	v_mul_f32_e32 v9, v4, v5
	v_add_f32_e32 v4, v10, v14
	v_mul_f32_e32 v8, 0.5, v8
	v_add_f32_e32 v12, 1.0, v12
	v_mul_f32_e32 v5, 0x3f3504f3, v4
	v_mul_f32_e32 v8, v8, v12
	v_cmp_nlt_f32_e64 s[14:15], |v5|, 1.0
	;;#ASMSTART
	v_pk_mul_f32 v[0:1], v[8:9], v[0:1]
	;;#ASMEND
                                        ; implicit-def: $vgpr8
	s_and_saveexec_b64 s[40:41], s[14:15]
	s_xor_b64 s[14:15], exec, s[40:41]
	s_cbranch_execz .LBB353_35
; %bb.34:                               ;   in Loop: Header=BB353_9 Depth=1
	v_fma_f32 v8, |v5|, s28, v35
	v_fma_f32 v8, |v5|, v8, s29
	;; [unrolled: 1-line block ×6, first 2 shown]
	v_fma_f32 v8, |v5|, v8, |v5|
	v_mul_f32_e32 v9, 0xbfb8aa3b, v8
	v_fma_f32 v10, v8, s35, -v9
	v_rndne_f32_e32 v12, v9
	v_fmac_f32_e32 v10, 0xb2a5705f, v8
	v_sub_f32_e32 v9, v9, v12
	v_add_f32_e32 v9, v9, v10
	v_cvt_i32_f32_e32 v10, v12
	v_exp_f32_e32 v9, v9
	v_cmp_nlt_f32_e32 vcc, s36, v8
	v_ldexp_f32 v9, v9, v10
	s_nop 0
	v_cndmask_b32_e32 v9, 0, v9, vcc
	v_cmp_ngt_f32_e32 vcc, s37, v8
	s_nop 1
	v_cndmask_b32_e32 v8, v36, v9, vcc
	v_sub_f32_e32 v8, 1.0, v8
.LBB353_35:                             ;   in Loop: Header=BB353_9 Depth=1
	s_andn2_saveexec_b64 s[14:15], s[14:15]
; %bb.36:                               ;   in Loop: Header=BB353_9 Depth=1
	v_mul_f32_e32 v8, v5, v5
	v_fmamk_f32 v9, v8, 0xba1345e1, v34
	v_fmaak_f32 v9, v8, v9, 0xbcdac9b8
	v_fmaak_f32 v9, v8, v9, 0x3de703be
	;; [unrolled: 1-line block ×4, first 2 shown]
	v_fma_f32 v8, |v5|, v8, |v5|
; %bb.37:                               ;   in Loop: Header=BB353_9 Depth=1
	s_or_b64 exec, exec, s[14:15]
	v_add_f32_e32 v9, v11, v15
	v_mul_f32_e32 v10, 0x3f3504f3, v9
	v_cmp_nlt_f32_e64 s[14:15], |v10|, 1.0
                                        ; implicit-def: $vgpr11
	s_and_saveexec_b64 s[40:41], s[14:15]
	s_xor_b64 s[14:15], exec, s[40:41]
	s_cbranch_execz .LBB353_39
; %bb.38:                               ;   in Loop: Header=BB353_9 Depth=1
	v_fma_f32 v11, |v10|, s28, v35
	v_fma_f32 v11, |v10|, v11, s29
	;; [unrolled: 1-line block ×6, first 2 shown]
	v_fma_f32 v11, |v10|, v11, |v10|
	v_mul_f32_e32 v12, 0xbfb8aa3b, v11
	v_fma_f32 v13, v11, s35, -v12
	v_rndne_f32_e32 v14, v12
	v_fmac_f32_e32 v13, 0xb2a5705f, v11
	v_sub_f32_e32 v12, v12, v14
	v_add_f32_e32 v12, v12, v13
	v_cvt_i32_f32_e32 v13, v14
	v_exp_f32_e32 v12, v12
	v_cmp_nlt_f32_e32 vcc, s36, v11
	v_ldexp_f32 v12, v12, v13
	s_nop 0
	v_cndmask_b32_e32 v12, 0, v12, vcc
	v_cmp_ngt_f32_e32 vcc, s37, v11
	s_nop 1
	v_cndmask_b32_e32 v11, v36, v12, vcc
	v_sub_f32_e32 v11, 1.0, v11
.LBB353_39:                             ;   in Loop: Header=BB353_9 Depth=1
	s_andn2_saveexec_b64 s[14:15], s[14:15]
	s_cbranch_execz .LBB353_8
; %bb.40:                               ;   in Loop: Header=BB353_9 Depth=1
	v_mul_f32_e32 v11, v10, v10
	v_fmamk_f32 v12, v11, 0xba1345e1, v34
	v_fmaak_f32 v12, v11, v12, 0xbcdac9b8
	v_fmaak_f32 v12, v11, v12, 0x3de703be
	;; [unrolled: 1-line block ×4, first 2 shown]
	v_fma_f32 v11, |v10|, v11, |v10|
	s_branch .LBB353_8
.LBB353_41:
	s_endpgm
	.section	.rodata,"a",@progbits
	.p2align	6, 0x0
	.amdhsa_kernel _ZN5aiter23act_and_mul_bias_kernelIfthfTnPFfRKT2_EXadL_ZNS_11gelu_kernelIfEEfRKT_EELi8EEEvPT0_PS8_PKT1_PS2_il
		.amdhsa_group_segment_fixed_size 0
		.amdhsa_private_segment_fixed_size 0
		.amdhsa_kernarg_size 304
		.amdhsa_user_sgpr_count 2
		.amdhsa_user_sgpr_dispatch_ptr 0
		.amdhsa_user_sgpr_queue_ptr 0
		.amdhsa_user_sgpr_kernarg_segment_ptr 1
		.amdhsa_user_sgpr_dispatch_id 0
		.amdhsa_user_sgpr_kernarg_preload_length 0
		.amdhsa_user_sgpr_kernarg_preload_offset 0
		.amdhsa_user_sgpr_private_segment_size 0
		.amdhsa_uses_dynamic_stack 0
		.amdhsa_enable_private_segment 0
		.amdhsa_system_sgpr_workgroup_id_x 1
		.amdhsa_system_sgpr_workgroup_id_y 0
		.amdhsa_system_sgpr_workgroup_id_z 0
		.amdhsa_system_sgpr_workgroup_info 0
		.amdhsa_system_vgpr_workitem_id 0
		.amdhsa_next_free_vgpr 42
		.amdhsa_next_free_sgpr 42
		.amdhsa_accum_offset 44
		.amdhsa_reserve_vcc 1
		.amdhsa_float_round_mode_32 0
		.amdhsa_float_round_mode_16_64 0
		.amdhsa_float_denorm_mode_32 3
		.amdhsa_float_denorm_mode_16_64 3
		.amdhsa_dx10_clamp 1
		.amdhsa_ieee_mode 1
		.amdhsa_fp16_overflow 0
		.amdhsa_tg_split 0
		.amdhsa_exception_fp_ieee_invalid_op 0
		.amdhsa_exception_fp_denorm_src 0
		.amdhsa_exception_fp_ieee_div_zero 0
		.amdhsa_exception_fp_ieee_overflow 0
		.amdhsa_exception_fp_ieee_underflow 0
		.amdhsa_exception_fp_ieee_inexact 0
		.amdhsa_exception_int_div_zero 0
	.end_amdhsa_kernel
	.section	.text._ZN5aiter23act_and_mul_bias_kernelIfthfTnPFfRKT2_EXadL_ZNS_11gelu_kernelIfEEfRKT_EELi8EEEvPT0_PS8_PKT1_PS2_il,"axG",@progbits,_ZN5aiter23act_and_mul_bias_kernelIfthfTnPFfRKT2_EXadL_ZNS_11gelu_kernelIfEEfRKT_EELi8EEEvPT0_PS8_PKT1_PS2_il,comdat
.Lfunc_end353:
	.size	_ZN5aiter23act_and_mul_bias_kernelIfthfTnPFfRKT2_EXadL_ZNS_11gelu_kernelIfEEfRKT_EELi8EEEvPT0_PS8_PKT1_PS2_il, .Lfunc_end353-_ZN5aiter23act_and_mul_bias_kernelIfthfTnPFfRKT2_EXadL_ZNS_11gelu_kernelIfEEfRKT_EELi8EEEvPT0_PS8_PKT1_PS2_il
                                        ; -- End function
	.section	.AMDGPU.csdata,"",@progbits
; Kernel info:
; codeLenInByte = 2824
; NumSgprs: 48
; NumVgprs: 42
; NumAgprs: 0
; TotalNumVgprs: 42
; ScratchSize: 0
; MemoryBound: 0
; FloatMode: 240
; IeeeMode: 1
; LDSByteSize: 0 bytes/workgroup (compile time only)
; SGPRBlocks: 5
; VGPRBlocks: 5
; NumSGPRsForWavesPerEU: 48
; NumVGPRsForWavesPerEU: 42
; AccumOffset: 44
; Occupancy: 8
; WaveLimiterHint : 0
; COMPUTE_PGM_RSRC2:SCRATCH_EN: 0
; COMPUTE_PGM_RSRC2:USER_SGPR: 2
; COMPUTE_PGM_RSRC2:TRAP_HANDLER: 0
; COMPUTE_PGM_RSRC2:TGID_X_EN: 1
; COMPUTE_PGM_RSRC2:TGID_Y_EN: 0
; COMPUTE_PGM_RSRC2:TGID_Z_EN: 0
; COMPUTE_PGM_RSRC2:TIDIG_COMP_CNT: 0
; COMPUTE_PGM_RSRC3_GFX90A:ACCUM_OFFSET: 10
; COMPUTE_PGM_RSRC3_GFX90A:TG_SPLIT: 0
	.section	.text._ZN5aiter23act_and_mul_bias_kernelIfthfTnPFfRKT2_EXadL_ZNS_11gelu_kernelIfEEfRKT_EELi4EEEvPT0_PS8_PKT1_PS2_il,"axG",@progbits,_ZN5aiter23act_and_mul_bias_kernelIfthfTnPFfRKT2_EXadL_ZNS_11gelu_kernelIfEEfRKT_EELi4EEEvPT0_PS8_PKT1_PS2_il,comdat
	.protected	_ZN5aiter23act_and_mul_bias_kernelIfthfTnPFfRKT2_EXadL_ZNS_11gelu_kernelIfEEfRKT_EELi4EEEvPT0_PS8_PKT1_PS2_il ; -- Begin function _ZN5aiter23act_and_mul_bias_kernelIfthfTnPFfRKT2_EXadL_ZNS_11gelu_kernelIfEEfRKT_EELi4EEEvPT0_PS8_PKT1_PS2_il
	.globl	_ZN5aiter23act_and_mul_bias_kernelIfthfTnPFfRKT2_EXadL_ZNS_11gelu_kernelIfEEfRKT_EELi4EEEvPT0_PS8_PKT1_PS2_il
	.p2align	8
	.type	_ZN5aiter23act_and_mul_bias_kernelIfthfTnPFfRKT2_EXadL_ZNS_11gelu_kernelIfEEfRKT_EELi4EEEvPT0_PS8_PKT1_PS2_il,@function
_ZN5aiter23act_and_mul_bias_kernelIfthfTnPFfRKT2_EXadL_ZNS_11gelu_kernelIfEEfRKT_EELi4EEEvPT0_PS8_PKT1_PS2_il: ; @_ZN5aiter23act_and_mul_bias_kernelIfthfTnPFfRKT2_EXadL_ZNS_11gelu_kernelIfEEfRKT_EELi4EEEvPT0_PS8_PKT1_PS2_il
; %bb.0:
	s_load_dwordx2 s[4:5], s[0:1], 0x10
	s_load_dword s24, s[0:1], 0x20
	s_load_dwordx2 s[6:7], s[0:1], 0x28
	v_mov_b32_e32 v1, s2
	s_mov_b32 s9, 0
	s_waitcnt lgkmcnt(0)
	global_load_ubyte v1, v1, s[4:5]
	s_load_dwordx2 s[4:5], s[0:1], 0x0
	s_ashr_i32 s25, s24, 31
	s_mul_hi_u32 s3, s24, s2
	v_mov_b64_e32 v[2:3], s[6:7]
	s_mul_i32 s6, s25, s2
	s_mul_i32 s12, s24, s2
	s_add_i32 s13, s3, s6
	s_lshl_b64 s[6:7], s[12:13], 1
	s_mov_b64 s[10:11], -1
	v_lshlrev_b32_e32 v16, 2, v0
	s_waitcnt vmcnt(0)
	v_readfirstlane_b32 s3, v1
	s_and_b32 s8, s3, 0xffff
	s_waitcnt lgkmcnt(0)
	s_add_u32 s4, s4, s6
	s_addc_u32 s3, s5, s7
	s_add_i32 s6, s24, 1
	s_lshr_b32 s7, s6, 31
	s_add_i32 s6, s6, s7
	v_cmp_lt_i64_e32 vcc, s[8:9], v[2:3]
	s_and_b32 s5, s3, 0xffff
	s_lshl_b32 s3, s6, 1
	s_and_b32 s6, s3, -4
	s_cbranch_vccnz .LBB354_5
; %bb.1:
	v_cmp_gt_i32_e32 vcc, s24, v16
	s_and_saveexec_b64 s[10:11], vcc
	s_cbranch_execz .LBB354_4
; %bb.2:
	s_load_dword s3, s[0:1], 0x3c
	v_mov_b32_e32 v17, 0
	s_mov_b32 s13, 0
	v_lshlrev_b32_e32 v4, 3, v0
	s_mov_b64 s[14:15], 0
	s_waitcnt lgkmcnt(0)
	s_and_b32 s3, s3, 0xffff
	s_lshl_b32 s12, s3, 2
	s_lshl_b32 s3, s3, 3
	s_mov_b32 s7, 0x20000
	v_mov_b32_e32 v0, v17
	v_mov_b32_e32 v1, v17
	v_mov_b64_e32 v[2:3], v[16:17]
.LBB354_3:                              ; =>This Inner Loop Header: Depth=1
	v_lshl_add_u64 v[2:3], s[12:13], 0, v[2:3]
	v_cmp_le_i64_e32 vcc, s[24:25], v[2:3]
	buffer_store_dwordx2 v[0:1], v4, s[4:7], 0 offen
	s_or_b64 s[14:15], vcc, s[14:15]
	v_add_u32_e32 v4, s3, v4
	s_andn2_b64 exec, exec, s[14:15]
	s_cbranch_execnz .LBB354_3
.LBB354_4:
	s_or_b64 exec, exec, s[10:11]
	s_mov_b64 s[10:11], 0
.LBB354_5:
	s_andn2_b64 vcc, exec, s[10:11]
	s_cbranch_vccnz .LBB354_25
; %bb.6:
	v_cmp_gt_i32_e32 vcc, s24, v16
	s_and_saveexec_b64 s[10:11], vcc
	s_cbranch_execz .LBB354_25
; %bb.7:
	s_load_dwordx2 s[14:15], s[0:1], 0x8
	s_load_dwordx2 s[12:13], s[0:1], 0x18
	s_mul_hi_i32 s9, s24, s8
	s_mul_i32 s8, s24, s8
	s_lshl_b32 s10, s24, 2
	s_lshl_b64 s[8:9], s[8:9], 3
	s_waitcnt lgkmcnt(0)
	s_add_u32 s12, s12, s8
	s_addc_u32 s3, s13, s9
	s_lshl_b64 s[8:9], s[24:25], 2
	s_add_u32 s16, s12, s8
	s_addc_u32 s17, s3, s9
	s_and_b32 s13, s3, 0xffff
	s_mul_i32 s3, s2, s25
	s_mul_hi_u32 s18, s2, s24
	s_add_i32 s3, s18, s3
	s_mul_i32 s2, s2, s24
	s_and_b32 s17, s17, 0xffff
	s_lshl_b64 s[2:3], s[2:3], 3
	s_add_u32 s20, s14, s2
	s_addc_u32 s2, s15, s3
	s_add_u32 s8, s20, s8
	s_addc_u32 s3, s2, s9
	s_and_b32 s21, s2, 0xffff
	s_and_b32 s9, s3, 0xffff
	s_mov_b32 s7, 0x20000
	s_add_u32 s0, s0, 48
	s_mov_b32 s11, s7
	v_mov_b32_e32 v17, 0
	s_addc_u32 s1, s1, 0
	s_mov_b64 s[2:3], 0
	s_mov_b32 s22, s10
	s_mov_b32 s23, s7
	;; [unrolled: 1-line block ×12, first 2 shown]
	v_mov_b32_e32 v18, 0x3ba10414
	s_brev_b32 s38, -2
	s_mov_b32 s39, 0x7060302
	v_mov_b32_e32 v19, 0xb9c68948
	v_mov_b32_e32 v20, 0x7f800000
                                        ; implicit-def: $vgpr0
                                        ; implicit-def: $vgpr0
                                        ; implicit-def: $vgpr0
                                        ; implicit-def: $vgpr0
	s_branch .LBB354_9
.LBB354_8:                              ;   in Loop: Header=BB354_9 Depth=1
	s_or_b64 exec, exec, s[14:15]
	v_bfi_b32 v5, s38, v8, v5
	v_mul_f32_e32 v4, 0.5, v4
	v_add_f32_e32 v5, 1.0, v5
	v_add_f32_e32 v2, v2, v6
	v_bfi_b32 v6, s38, v11, v10
	v_mul_f32_e32 v4, v4, v5
	v_add_f32_e32 v3, v3, v7
	v_mul_f32_e32 v5, 0.5, v9
	v_add_f32_e32 v6, 1.0, v6
	v_mul_f32_e32 v5, v5, v6
	;;#ASMSTART
	v_pk_mul_f32 v[2:3], v[4:5], v[2:3]
	;;#ASMEND
	s_load_dword s14, s[0:1], 0xc
	v_perm_b32 v3, v3, v2, s39
	v_perm_b32 v2, v1, v0, s39
	v_lshlrev_b32_e32 v0, 1, v16
	buffer_store_dwordx2 v[2:3], v0, s[4:7], 0 offen
	s_waitcnt lgkmcnt(0)
	s_and_b32 s14, s14, 0xffff
	s_lshl_b32 s26, s14, 2
	v_lshl_add_u64 v[16:17], s[26:27], 0, v[16:17]
	v_cmp_le_i64_e32 vcc, s[24:25], v[16:17]
	s_or_b64 s[2:3], vcc, s[2:3]
	s_andn2_b64 exec, exec, s[2:3]
	s_cbranch_execz .LBB354_25
.LBB354_9:                              ; =>This Inner Loop Header: Depth=1
	v_lshlrev_b32_e32 v4, 2, v16
	s_mov_b32 s14, s10
	s_mov_b32 s15, s11
	buffer_load_dwordx4 v[8:11], v4, s[20:23], 0 offen
	buffer_load_dwordx4 v[0:3], v4, s[8:11], 0 offen
	;; [unrolled: 1-line block ×3, first 2 shown]
	s_mov_b32 s18, s10
	s_mov_b32 s19, s11
	buffer_load_dwordx4 v[4:7], v4, s[16:19], 0 offen
                                        ; implicit-def: $vgpr21
	s_waitcnt vmcnt(1)
	v_add_f32_e32 v8, v8, v12
	v_mul_f32_e32 v12, 0x3f3504f3, v8
	v_cmp_nlt_f32_e64 s[14:15], |v12|, 1.0
	s_and_saveexec_b64 s[18:19], s[14:15]
	s_xor_b64 s[14:15], exec, s[18:19]
	s_cbranch_execz .LBB354_11
; %bb.10:                               ;   in Loop: Header=BB354_9 Depth=1
	v_fma_f32 v21, |v12|, s28, v19
	v_fma_f32 v21, |v12|, v21, s29
	;; [unrolled: 1-line block ×6, first 2 shown]
	v_fma_f32 v21, |v12|, v21, |v12|
	v_mul_f32_e32 v22, 0xbfb8aa3b, v21
	v_fma_f32 v23, v21, s35, -v22
	v_rndne_f32_e32 v24, v22
	v_fmac_f32_e32 v23, 0xb2a5705f, v21
	v_sub_f32_e32 v22, v22, v24
	v_add_f32_e32 v22, v22, v23
	v_cvt_i32_f32_e32 v23, v24
	v_exp_f32_e32 v22, v22
	v_cmp_nlt_f32_e32 vcc, s36, v21
	v_ldexp_f32 v22, v22, v23
	s_nop 0
	v_cndmask_b32_e32 v22, 0, v22, vcc
	v_cmp_ngt_f32_e32 vcc, s37, v21
	s_nop 1
	v_cndmask_b32_e32 v21, v20, v22, vcc
	v_sub_f32_e32 v21, 1.0, v21
.LBB354_11:                             ;   in Loop: Header=BB354_9 Depth=1
	s_andn2_saveexec_b64 s[14:15], s[14:15]
; %bb.12:                               ;   in Loop: Header=BB354_9 Depth=1
	v_mul_f32_e32 v21, v12, v12
	v_fmamk_f32 v22, v21, 0xba1345e1, v18
	v_fmaak_f32 v22, v21, v22, 0xbcdac9b8
	v_fmaak_f32 v22, v21, v22, 0x3de703be
	;; [unrolled: 1-line block ×4, first 2 shown]
	v_fma_f32 v21, |v12|, v21, |v12|
; %bb.13:                               ;   in Loop: Header=BB354_9 Depth=1
	s_or_b64 exec, exec, s[14:15]
	v_add_f32_e32 v9, v9, v13
	v_mul_f32_e32 v13, 0x3f3504f3, v9
	v_cmp_nlt_f32_e64 s[14:15], |v13|, 1.0
                                        ; implicit-def: $vgpr22
	s_and_saveexec_b64 s[18:19], s[14:15]
	s_xor_b64 s[14:15], exec, s[18:19]
	s_cbranch_execz .LBB354_15
; %bb.14:                               ;   in Loop: Header=BB354_9 Depth=1
	v_fma_f32 v22, |v13|, s28, v19
	v_fma_f32 v22, |v13|, v22, s29
	;; [unrolled: 1-line block ×6, first 2 shown]
	v_fma_f32 v22, |v13|, v22, |v13|
	v_mul_f32_e32 v23, 0xbfb8aa3b, v22
	v_fma_f32 v24, v22, s35, -v23
	v_rndne_f32_e32 v25, v23
	v_fmac_f32_e32 v24, 0xb2a5705f, v22
	v_sub_f32_e32 v23, v23, v25
	v_add_f32_e32 v23, v23, v24
	v_cvt_i32_f32_e32 v24, v25
	v_exp_f32_e32 v23, v23
	v_cmp_nlt_f32_e32 vcc, s36, v22
	v_ldexp_f32 v23, v23, v24
	s_nop 0
	v_cndmask_b32_e32 v23, 0, v23, vcc
	v_cmp_ngt_f32_e32 vcc, s37, v22
	s_nop 1
	v_cndmask_b32_e32 v22, v20, v23, vcc
	v_sub_f32_e32 v22, 1.0, v22
.LBB354_15:                             ;   in Loop: Header=BB354_9 Depth=1
	s_andn2_saveexec_b64 s[14:15], s[14:15]
; %bb.16:                               ;   in Loop: Header=BB354_9 Depth=1
	v_mul_f32_e32 v22, v13, v13
	v_fmamk_f32 v23, v22, 0xba1345e1, v18
	v_fmaak_f32 v23, v22, v23, 0xbcdac9b8
	v_fmaak_f32 v23, v22, v23, 0x3de703be
	;; [unrolled: 1-line block ×4, first 2 shown]
	v_fma_f32 v22, |v13|, v22, |v13|
; %bb.17:                               ;   in Loop: Header=BB354_9 Depth=1
	s_or_b64 exec, exec, s[14:15]
	s_waitcnt vmcnt(0)
	v_add_f32_e32 v1, v1, v5
	v_bfi_b32 v5, s38, v22, v13
	v_add_f32_e32 v0, v0, v4
	v_mul_f32_e32 v4, 0.5, v9
	v_add_f32_e32 v5, 1.0, v5
	v_bfi_b32 v12, s38, v21, v12
	v_mul_f32_e32 v9, v4, v5
	v_add_f32_e32 v4, v10, v14
	v_mul_f32_e32 v8, 0.5, v8
	v_add_f32_e32 v12, 1.0, v12
	v_mul_f32_e32 v5, 0x3f3504f3, v4
	v_mul_f32_e32 v8, v8, v12
	v_cmp_nlt_f32_e64 s[14:15], |v5|, 1.0
	;;#ASMSTART
	v_pk_mul_f32 v[0:1], v[8:9], v[0:1]
	;;#ASMEND
                                        ; implicit-def: $vgpr8
	s_and_saveexec_b64 s[18:19], s[14:15]
	s_xor_b64 s[14:15], exec, s[18:19]
	s_cbranch_execz .LBB354_19
; %bb.18:                               ;   in Loop: Header=BB354_9 Depth=1
	v_fma_f32 v8, |v5|, s28, v19
	v_fma_f32 v8, |v5|, v8, s29
	;; [unrolled: 1-line block ×6, first 2 shown]
	v_fma_f32 v8, |v5|, v8, |v5|
	v_mul_f32_e32 v9, 0xbfb8aa3b, v8
	v_fma_f32 v10, v8, s35, -v9
	v_rndne_f32_e32 v12, v9
	v_fmac_f32_e32 v10, 0xb2a5705f, v8
	v_sub_f32_e32 v9, v9, v12
	v_add_f32_e32 v9, v9, v10
	v_cvt_i32_f32_e32 v10, v12
	v_exp_f32_e32 v9, v9
	v_cmp_nlt_f32_e32 vcc, s36, v8
	v_ldexp_f32 v9, v9, v10
	s_nop 0
	v_cndmask_b32_e32 v9, 0, v9, vcc
	v_cmp_ngt_f32_e32 vcc, s37, v8
	s_nop 1
	v_cndmask_b32_e32 v8, v20, v9, vcc
	v_sub_f32_e32 v8, 1.0, v8
.LBB354_19:                             ;   in Loop: Header=BB354_9 Depth=1
	s_andn2_saveexec_b64 s[14:15], s[14:15]
; %bb.20:                               ;   in Loop: Header=BB354_9 Depth=1
	v_mul_f32_e32 v8, v5, v5
	v_fmamk_f32 v9, v8, 0xba1345e1, v18
	v_fmaak_f32 v9, v8, v9, 0xbcdac9b8
	v_fmaak_f32 v9, v8, v9, 0x3de703be
	;; [unrolled: 1-line block ×4, first 2 shown]
	v_fma_f32 v8, |v5|, v8, |v5|
; %bb.21:                               ;   in Loop: Header=BB354_9 Depth=1
	s_or_b64 exec, exec, s[14:15]
	v_add_f32_e32 v9, v11, v15
	v_mul_f32_e32 v10, 0x3f3504f3, v9
	v_cmp_nlt_f32_e64 s[14:15], |v10|, 1.0
                                        ; implicit-def: $vgpr11
	s_and_saveexec_b64 s[18:19], s[14:15]
	s_xor_b64 s[14:15], exec, s[18:19]
	s_cbranch_execz .LBB354_23
; %bb.22:                               ;   in Loop: Header=BB354_9 Depth=1
	v_fma_f32 v11, |v10|, s28, v19
	v_fma_f32 v11, |v10|, v11, s29
	;; [unrolled: 1-line block ×6, first 2 shown]
	v_fma_f32 v11, |v10|, v11, |v10|
	v_mul_f32_e32 v12, 0xbfb8aa3b, v11
	v_fma_f32 v13, v11, s35, -v12
	v_rndne_f32_e32 v14, v12
	v_fmac_f32_e32 v13, 0xb2a5705f, v11
	v_sub_f32_e32 v12, v12, v14
	v_add_f32_e32 v12, v12, v13
	v_cvt_i32_f32_e32 v13, v14
	v_exp_f32_e32 v12, v12
	v_cmp_nlt_f32_e32 vcc, s36, v11
	v_ldexp_f32 v12, v12, v13
	s_nop 0
	v_cndmask_b32_e32 v12, 0, v12, vcc
	v_cmp_ngt_f32_e32 vcc, s37, v11
	s_nop 1
	v_cndmask_b32_e32 v11, v20, v12, vcc
	v_sub_f32_e32 v11, 1.0, v11
.LBB354_23:                             ;   in Loop: Header=BB354_9 Depth=1
	s_andn2_saveexec_b64 s[14:15], s[14:15]
	s_cbranch_execz .LBB354_8
; %bb.24:                               ;   in Loop: Header=BB354_9 Depth=1
	v_mul_f32_e32 v11, v10, v10
	v_fmamk_f32 v12, v11, 0xba1345e1, v18
	v_fmaak_f32 v12, v11, v12, 0xbcdac9b8
	v_fmaak_f32 v12, v11, v12, 0x3de703be
	;; [unrolled: 1-line block ×4, first 2 shown]
	v_fma_f32 v11, |v10|, v11, |v10|
	s_branch .LBB354_8
.LBB354_25:
	s_endpgm
	.section	.rodata,"a",@progbits
	.p2align	6, 0x0
	.amdhsa_kernel _ZN5aiter23act_and_mul_bias_kernelIfthfTnPFfRKT2_EXadL_ZNS_11gelu_kernelIfEEfRKT_EELi4EEEvPT0_PS8_PKT1_PS2_il
		.amdhsa_group_segment_fixed_size 0
		.amdhsa_private_segment_fixed_size 0
		.amdhsa_kernarg_size 304
		.amdhsa_user_sgpr_count 2
		.amdhsa_user_sgpr_dispatch_ptr 0
		.amdhsa_user_sgpr_queue_ptr 0
		.amdhsa_user_sgpr_kernarg_segment_ptr 1
		.amdhsa_user_sgpr_dispatch_id 0
		.amdhsa_user_sgpr_kernarg_preload_length 0
		.amdhsa_user_sgpr_kernarg_preload_offset 0
		.amdhsa_user_sgpr_private_segment_size 0
		.amdhsa_uses_dynamic_stack 0
		.amdhsa_enable_private_segment 0
		.amdhsa_system_sgpr_workgroup_id_x 1
		.amdhsa_system_sgpr_workgroup_id_y 0
		.amdhsa_system_sgpr_workgroup_id_z 0
		.amdhsa_system_sgpr_workgroup_info 0
		.amdhsa_system_vgpr_workitem_id 0
		.amdhsa_next_free_vgpr 26
		.amdhsa_next_free_sgpr 40
		.amdhsa_accum_offset 28
		.amdhsa_reserve_vcc 1
		.amdhsa_float_round_mode_32 0
		.amdhsa_float_round_mode_16_64 0
		.amdhsa_float_denorm_mode_32 3
		.amdhsa_float_denorm_mode_16_64 3
		.amdhsa_dx10_clamp 1
		.amdhsa_ieee_mode 1
		.amdhsa_fp16_overflow 0
		.amdhsa_tg_split 0
		.amdhsa_exception_fp_ieee_invalid_op 0
		.amdhsa_exception_fp_denorm_src 0
		.amdhsa_exception_fp_ieee_div_zero 0
		.amdhsa_exception_fp_ieee_overflow 0
		.amdhsa_exception_fp_ieee_underflow 0
		.amdhsa_exception_fp_ieee_inexact 0
		.amdhsa_exception_int_div_zero 0
	.end_amdhsa_kernel
	.section	.text._ZN5aiter23act_and_mul_bias_kernelIfthfTnPFfRKT2_EXadL_ZNS_11gelu_kernelIfEEfRKT_EELi4EEEvPT0_PS8_PKT1_PS2_il,"axG",@progbits,_ZN5aiter23act_and_mul_bias_kernelIfthfTnPFfRKT2_EXadL_ZNS_11gelu_kernelIfEEfRKT_EELi4EEEvPT0_PS8_PKT1_PS2_il,comdat
.Lfunc_end354:
	.size	_ZN5aiter23act_and_mul_bias_kernelIfthfTnPFfRKT2_EXadL_ZNS_11gelu_kernelIfEEfRKT_EELi4EEEvPT0_PS8_PKT1_PS2_il, .Lfunc_end354-_ZN5aiter23act_and_mul_bias_kernelIfthfTnPFfRKT2_EXadL_ZNS_11gelu_kernelIfEEfRKT_EELi4EEEvPT0_PS8_PKT1_PS2_il
                                        ; -- End function
	.section	.AMDGPU.csdata,"",@progbits
; Kernel info:
; codeLenInByte = 1740
; NumSgprs: 46
; NumVgprs: 26
; NumAgprs: 0
; TotalNumVgprs: 26
; ScratchSize: 0
; MemoryBound: 0
; FloatMode: 240
; IeeeMode: 1
; LDSByteSize: 0 bytes/workgroup (compile time only)
; SGPRBlocks: 5
; VGPRBlocks: 3
; NumSGPRsForWavesPerEU: 46
; NumVGPRsForWavesPerEU: 26
; AccumOffset: 28
; Occupancy: 8
; WaveLimiterHint : 0
; COMPUTE_PGM_RSRC2:SCRATCH_EN: 0
; COMPUTE_PGM_RSRC2:USER_SGPR: 2
; COMPUTE_PGM_RSRC2:TRAP_HANDLER: 0
; COMPUTE_PGM_RSRC2:TGID_X_EN: 1
; COMPUTE_PGM_RSRC2:TGID_Y_EN: 0
; COMPUTE_PGM_RSRC2:TGID_Z_EN: 0
; COMPUTE_PGM_RSRC2:TIDIG_COMP_CNT: 0
; COMPUTE_PGM_RSRC3_GFX90A:ACCUM_OFFSET: 6
; COMPUTE_PGM_RSRC3_GFX90A:TG_SPLIT: 0
	.section	.text._ZN5aiter23act_and_mul_bias_kernelIfthfTnPFfRKT2_EXadL_ZNS_11gelu_kernelIfEEfRKT_EELi2EEEvPT0_PS8_PKT1_PS2_il,"axG",@progbits,_ZN5aiter23act_and_mul_bias_kernelIfthfTnPFfRKT2_EXadL_ZNS_11gelu_kernelIfEEfRKT_EELi2EEEvPT0_PS8_PKT1_PS2_il,comdat
	.protected	_ZN5aiter23act_and_mul_bias_kernelIfthfTnPFfRKT2_EXadL_ZNS_11gelu_kernelIfEEfRKT_EELi2EEEvPT0_PS8_PKT1_PS2_il ; -- Begin function _ZN5aiter23act_and_mul_bias_kernelIfthfTnPFfRKT2_EXadL_ZNS_11gelu_kernelIfEEfRKT_EELi2EEEvPT0_PS8_PKT1_PS2_il
	.globl	_ZN5aiter23act_and_mul_bias_kernelIfthfTnPFfRKT2_EXadL_ZNS_11gelu_kernelIfEEfRKT_EELi2EEEvPT0_PS8_PKT1_PS2_il
	.p2align	8
	.type	_ZN5aiter23act_and_mul_bias_kernelIfthfTnPFfRKT2_EXadL_ZNS_11gelu_kernelIfEEfRKT_EELi2EEEvPT0_PS8_PKT1_PS2_il,@function
_ZN5aiter23act_and_mul_bias_kernelIfthfTnPFfRKT2_EXadL_ZNS_11gelu_kernelIfEEfRKT_EELi2EEEvPT0_PS8_PKT1_PS2_il: ; @_ZN5aiter23act_and_mul_bias_kernelIfthfTnPFfRKT2_EXadL_ZNS_11gelu_kernelIfEEfRKT_EELi2EEEvPT0_PS8_PKT1_PS2_il
; %bb.0:
	s_load_dwordx2 s[4:5], s[0:1], 0x10
	s_load_dword s24, s[0:1], 0x20
	s_load_dwordx2 s[6:7], s[0:1], 0x28
	v_mov_b32_e32 v1, s2
	s_mov_b32 s9, 0
	s_waitcnt lgkmcnt(0)
	global_load_ubyte v1, v1, s[4:5]
	s_load_dwordx2 s[4:5], s[0:1], 0x0
	s_ashr_i32 s25, s24, 31
	s_mul_hi_u32 s3, s24, s2
	v_mov_b64_e32 v[4:5], s[6:7]
	s_mul_i32 s6, s25, s2
	s_mul_i32 s12, s24, s2
	s_add_i32 s13, s3, s6
	s_lshl_b64 s[6:7], s[12:13], 1
	s_mov_b64 s[10:11], -1
	v_lshlrev_b32_e32 v2, 1, v0
	s_waitcnt vmcnt(0)
	v_readfirstlane_b32 s3, v1
	s_and_b32 s8, s3, 0xffff
	s_waitcnt lgkmcnt(0)
	s_add_u32 s4, s4, s6
	s_addc_u32 s3, s5, s7
	s_add_i32 s6, s24, 1
	s_lshr_b32 s7, s6, 31
	s_add_i32 s6, s6, s7
	v_cmp_lt_i64_e32 vcc, s[8:9], v[4:5]
	s_and_b32 s5, s3, 0xffff
	s_lshl_b32 s3, s6, 1
	s_and_b32 s6, s3, -4
	s_cbranch_vccnz .LBB355_5
; %bb.1:
	v_cmp_gt_i32_e32 vcc, s24, v2
	s_and_saveexec_b64 s[10:11], vcc
	s_cbranch_execz .LBB355_4
; %bb.2:
	s_load_dword s3, s[0:1], 0x3c
	v_mov_b32_e32 v3, 0
	s_mov_b32 s13, 0
	v_lshlrev_b32_e32 v4, 2, v0
	s_mov_b64 s[14:15], 0
	s_waitcnt lgkmcnt(0)
	s_and_b32 s3, s3, 0xffff
	s_lshl_b32 s12, s3, 1
	s_lshl_b32 s3, s3, 2
	s_mov_b32 s7, 0x20000
	v_mov_b64_e32 v[0:1], v[2:3]
.LBB355_3:                              ; =>This Inner Loop Header: Depth=1
	v_lshl_add_u64 v[0:1], s[12:13], 0, v[0:1]
	v_cmp_le_i64_e32 vcc, s[24:25], v[0:1]
	buffer_store_dword v3, v4, s[4:7], 0 offen
	s_or_b64 s[14:15], vcc, s[14:15]
	v_add_u32_e32 v4, s3, v4
	s_andn2_b64 exec, exec, s[14:15]
	s_cbranch_execnz .LBB355_3
.LBB355_4:
	s_or_b64 exec, exec, s[10:11]
	s_mov_b64 s[10:11], 0
.LBB355_5:
	s_andn2_b64 vcc, exec, s[10:11]
	s_cbranch_vccnz .LBB355_13
; %bb.6:
	v_cmp_gt_i32_e32 vcc, s24, v2
	s_and_saveexec_b64 s[10:11], vcc
	s_cbranch_execz .LBB355_13
; %bb.7:
	s_load_dwordx2 s[14:15], s[0:1], 0x8
	s_load_dwordx2 s[12:13], s[0:1], 0x18
	s_mul_hi_i32 s9, s24, s8
	s_mul_i32 s8, s24, s8
	s_lshl_b32 s10, s24, 2
	s_lshl_b64 s[8:9], s[8:9], 3
	s_waitcnt lgkmcnt(0)
	s_add_u32 s12, s12, s8
	s_addc_u32 s3, s13, s9
	s_lshl_b64 s[8:9], s[24:25], 2
	s_add_u32 s16, s12, s8
	s_addc_u32 s17, s3, s9
	s_and_b32 s13, s3, 0xffff
	s_mul_i32 s3, s2, s25
	s_mul_hi_u32 s18, s2, s24
	s_add_i32 s3, s18, s3
	s_mul_i32 s2, s2, s24
	s_and_b32 s17, s17, 0xffff
	s_lshl_b64 s[2:3], s[2:3], 3
	s_add_u32 s20, s14, s2
	s_addc_u32 s2, s15, s3
	s_add_u32 s8, s20, s8
	s_addc_u32 s3, s2, s9
	s_and_b32 s21, s2, 0xffff
	s_and_b32 s9, s3, 0xffff
	s_mov_b32 s7, 0x20000
	s_add_u32 s0, s0, 48
	s_mov_b32 s11, s7
	v_mov_b32_e32 v3, 0
	s_addc_u32 s1, s1, 0
	s_mov_b64 s[2:3], 0
	s_mov_b32 s22, s10
	s_mov_b32 s23, s7
	;; [unrolled: 1-line block ×13, first 2 shown]
	v_mov_b32_e32 v12, 0x3ba10414
	v_mov_b32_e32 v13, 0xb9c68948
	;; [unrolled: 1-line block ×3, first 2 shown]
	s_brev_b32 s39, -2
	s_mov_b32 s40, 0x7060302
                                        ; implicit-def: $vgpr0
                                        ; implicit-def: $vgpr0
	;; [unrolled: 1-line block ×4, first 2 shown]
	s_branch .LBB355_9
.LBB355_8:                              ;   in Loop: Header=BB355_9 Depth=1
	s_or_b64 exec, exec, s[14:15]
	v_fma_f32 v10, |v1|, s29, v13
	v_fma_f32 v10, |v1|, v10, s30
	;; [unrolled: 1-line block ×6, first 2 shown]
	v_fma_f32 v10, |v1|, v10, |v1|
	v_mul_f32_e32 v16, 0xbfb8aa3b, v10
	v_fma_f32 v17, v10, s36, -v16
	v_rndne_f32_e32 v18, v16
	v_fmac_f32_e32 v17, 0xb2a5705f, v10
	v_sub_f32_e32 v16, v16, v18
	v_add_f32_e32 v16, v16, v17
	v_exp_f32_e32 v16, v16
	v_cvt_i32_f32_e32 v17, v18
	s_waitcnt vmcnt(0)
	v_pk_add_f32 v[6:7], v[6:7], v[8:9]
	v_fmamk_f32 v9, v11, 0xba1345e1, v12
	v_fmaak_f32 v9, v11, v9, 0xbcdac9b8
	v_ldexp_f32 v8, v16, v17
	v_cmp_nlt_f32_e32 vcc, s37, v10
	v_fmaak_f32 v9, v11, v9, 0x3de703be
	v_fmaak_f32 v9, v11, v9, 0xbec09330
	v_cndmask_b32_e32 v8, 0, v8, vcc
	v_cmp_ngt_f32_e32 vcc, s38, v10
	v_fmaak_f32 v9, v11, v9, 0x3e0375d0
	v_fma_f32 v9, |v1|, v9, |v1|
	v_cndmask_b32_e32 v8, v14, v8, vcc
	v_sub_f32_e32 v8, 1.0, v8
	v_cmp_lt_f32_e64 vcc, |v1|, 1.0
	v_bfi_b32 v0, s39, v15, v0
	v_mul_f32_e32 v5, 0.5, v5
	v_cndmask_b32_e32 v8, v8, v9, vcc
	v_bfi_b32 v1, s39, v8, v1
	v_mul_f32_e32 v4, 0.5, v4
	v_pk_add_f32 v[0:1], v[0:1], 1.0 op_sel_hi:[1,0]
	s_nop 0
	v_pk_mul_f32 v[0:1], v[4:5], v[0:1]
	s_nop 0
	;;#ASMSTART
	v_pk_mul_f32 v[0:1], v[0:1], v[6:7]
	;;#ASMEND
	s_load_dword s14, s[0:1], 0xc
	v_perm_b32 v0, v1, v0, s40
	v_lshlrev_b32_e32 v1, 1, v2
	buffer_store_dword v0, v1, s[4:7], 0 offen
	s_waitcnt lgkmcnt(0)
	s_and_b32 s14, s14, 0xffff
	s_lshl_b32 s26, s14, 1
	v_lshl_add_u64 v[2:3], s[26:27], 0, v[2:3]
	v_cmp_le_i64_e32 vcc, s[24:25], v[2:3]
	s_or_b64 s[2:3], vcc, s[2:3]
	s_andn2_b64 exec, exec, s[2:3]
	s_cbranch_execz .LBB355_13
.LBB355_9:                              ; =>This Inner Loop Header: Depth=1
	v_lshlrev_b32_e32 v8, 2, v2
	s_mov_b32 s14, s10
	s_mov_b32 s15, s11
	buffer_load_dwordx2 v[0:1], v8, s[20:23], 0 offen
	buffer_load_dwordx2 v[6:7], v8, s[8:11], 0 offen
	buffer_load_dwordx2 v[4:5], v8, s[12:15], 0 offen
	s_mov_b32 s18, s10
	s_mov_b32 s19, s11
	buffer_load_dwordx2 v[8:9], v8, s[16:19], 0 offen
                                        ; implicit-def: $vgpr15
	s_waitcnt vmcnt(1)
	v_pk_add_f32 v[4:5], v[0:1], v[4:5]
	s_nop 0
	v_pk_mul_f32 v[0:1], v[4:5], s[28:29] op_sel_hi:[1,0]
	s_nop 0
	v_cmp_nlt_f32_e64 s[14:15], |v0|, 1.0
	s_and_saveexec_b64 s[18:19], s[14:15]
	s_xor_b64 s[14:15], exec, s[18:19]
	s_cbranch_execz .LBB355_11
; %bb.10:                               ;   in Loop: Header=BB355_9 Depth=1
	v_fma_f32 v10, |v0|, s29, v13
	v_fma_f32 v10, |v0|, v10, s30
	;; [unrolled: 1-line block ×6, first 2 shown]
	v_fma_f32 v10, |v0|, v10, |v0|
	v_mul_f32_e32 v11, 0xbfb8aa3b, v10
	v_fma_f32 v15, v10, s36, -v11
	v_rndne_f32_e32 v16, v11
	v_fmac_f32_e32 v15, 0xb2a5705f, v10
	v_sub_f32_e32 v11, v11, v16
	v_add_f32_e32 v11, v11, v15
	v_cvt_i32_f32_e32 v15, v16
	v_exp_f32_e32 v11, v11
	v_cmp_nlt_f32_e32 vcc, s37, v10
	v_ldexp_f32 v11, v11, v15
	s_nop 0
	v_cndmask_b32_e32 v11, 0, v11, vcc
	v_cmp_ngt_f32_e32 vcc, s38, v10
	s_nop 1
	v_cndmask_b32_e32 v10, v14, v11, vcc
	v_sub_f32_e32 v15, 1.0, v10
.LBB355_11:                             ;   in Loop: Header=BB355_9 Depth=1
	s_or_saveexec_b64 s[14:15], s[14:15]
	v_pk_mul_f32 v[10:11], v[0:1], v[0:1]
	s_xor_b64 exec, exec, s[14:15]
	s_cbranch_execz .LBB355_8
; %bb.12:                               ;   in Loop: Header=BB355_9 Depth=1
	v_fmamk_f32 v15, v10, 0xba1345e1, v12
	v_fmaak_f32 v15, v10, v15, 0xbcdac9b8
	v_fmaak_f32 v15, v10, v15, 0x3de703be
	;; [unrolled: 1-line block ×4, first 2 shown]
	v_fma_f32 v15, |v0|, v10, |v0|
	s_branch .LBB355_8
.LBB355_13:
	s_endpgm
	.section	.rodata,"a",@progbits
	.p2align	6, 0x0
	.amdhsa_kernel _ZN5aiter23act_and_mul_bias_kernelIfthfTnPFfRKT2_EXadL_ZNS_11gelu_kernelIfEEfRKT_EELi2EEEvPT0_PS8_PKT1_PS2_il
		.amdhsa_group_segment_fixed_size 0
		.amdhsa_private_segment_fixed_size 0
		.amdhsa_kernarg_size 304
		.amdhsa_user_sgpr_count 2
		.amdhsa_user_sgpr_dispatch_ptr 0
		.amdhsa_user_sgpr_queue_ptr 0
		.amdhsa_user_sgpr_kernarg_segment_ptr 1
		.amdhsa_user_sgpr_dispatch_id 0
		.amdhsa_user_sgpr_kernarg_preload_length 0
		.amdhsa_user_sgpr_kernarg_preload_offset 0
		.amdhsa_user_sgpr_private_segment_size 0
		.amdhsa_uses_dynamic_stack 0
		.amdhsa_enable_private_segment 0
		.amdhsa_system_sgpr_workgroup_id_x 1
		.amdhsa_system_sgpr_workgroup_id_y 0
		.amdhsa_system_sgpr_workgroup_id_z 0
		.amdhsa_system_sgpr_workgroup_info 0
		.amdhsa_system_vgpr_workitem_id 0
		.amdhsa_next_free_vgpr 19
		.amdhsa_next_free_sgpr 41
		.amdhsa_accum_offset 20
		.amdhsa_reserve_vcc 1
		.amdhsa_float_round_mode_32 0
		.amdhsa_float_round_mode_16_64 0
		.amdhsa_float_denorm_mode_32 3
		.amdhsa_float_denorm_mode_16_64 3
		.amdhsa_dx10_clamp 1
		.amdhsa_ieee_mode 1
		.amdhsa_fp16_overflow 0
		.amdhsa_tg_split 0
		.amdhsa_exception_fp_ieee_invalid_op 0
		.amdhsa_exception_fp_denorm_src 0
		.amdhsa_exception_fp_ieee_div_zero 0
		.amdhsa_exception_fp_ieee_overflow 0
		.amdhsa_exception_fp_ieee_underflow 0
		.amdhsa_exception_fp_ieee_inexact 0
		.amdhsa_exception_int_div_zero 0
	.end_amdhsa_kernel
	.section	.text._ZN5aiter23act_and_mul_bias_kernelIfthfTnPFfRKT2_EXadL_ZNS_11gelu_kernelIfEEfRKT_EELi2EEEvPT0_PS8_PKT1_PS2_il,"axG",@progbits,_ZN5aiter23act_and_mul_bias_kernelIfthfTnPFfRKT2_EXadL_ZNS_11gelu_kernelIfEEfRKT_EELi2EEEvPT0_PS8_PKT1_PS2_il,comdat
.Lfunc_end355:
	.size	_ZN5aiter23act_and_mul_bias_kernelIfthfTnPFfRKT2_EXadL_ZNS_11gelu_kernelIfEEfRKT_EELi2EEEvPT0_PS8_PKT1_PS2_il, .Lfunc_end355-_ZN5aiter23act_and_mul_bias_kernelIfthfTnPFfRKT2_EXadL_ZNS_11gelu_kernelIfEEfRKT_EELi2EEEvPT0_PS8_PKT1_PS2_il
                                        ; -- End function
	.section	.AMDGPU.csdata,"",@progbits
; Kernel info:
; codeLenInByte = 1208
; NumSgprs: 47
; NumVgprs: 19
; NumAgprs: 0
; TotalNumVgprs: 19
; ScratchSize: 0
; MemoryBound: 0
; FloatMode: 240
; IeeeMode: 1
; LDSByteSize: 0 bytes/workgroup (compile time only)
; SGPRBlocks: 5
; VGPRBlocks: 2
; NumSGPRsForWavesPerEU: 47
; NumVGPRsForWavesPerEU: 19
; AccumOffset: 20
; Occupancy: 8
; WaveLimiterHint : 0
; COMPUTE_PGM_RSRC2:SCRATCH_EN: 0
; COMPUTE_PGM_RSRC2:USER_SGPR: 2
; COMPUTE_PGM_RSRC2:TRAP_HANDLER: 0
; COMPUTE_PGM_RSRC2:TGID_X_EN: 1
; COMPUTE_PGM_RSRC2:TGID_Y_EN: 0
; COMPUTE_PGM_RSRC2:TGID_Z_EN: 0
; COMPUTE_PGM_RSRC2:TIDIG_COMP_CNT: 0
; COMPUTE_PGM_RSRC3_GFX90A:ACCUM_OFFSET: 4
; COMPUTE_PGM_RSRC3_GFX90A:TG_SPLIT: 0
	.section	.text._ZN5aiter23act_and_mul_bias_kernelIfthfTnPFfRKT2_EXadL_ZNS_11gelu_kernelIfEEfRKT_EELi1EEEvPT0_PS8_PKT1_PS2_il,"axG",@progbits,_ZN5aiter23act_and_mul_bias_kernelIfthfTnPFfRKT2_EXadL_ZNS_11gelu_kernelIfEEfRKT_EELi1EEEvPT0_PS8_PKT1_PS2_il,comdat
	.protected	_ZN5aiter23act_and_mul_bias_kernelIfthfTnPFfRKT2_EXadL_ZNS_11gelu_kernelIfEEfRKT_EELi1EEEvPT0_PS8_PKT1_PS2_il ; -- Begin function _ZN5aiter23act_and_mul_bias_kernelIfthfTnPFfRKT2_EXadL_ZNS_11gelu_kernelIfEEfRKT_EELi1EEEvPT0_PS8_PKT1_PS2_il
	.globl	_ZN5aiter23act_and_mul_bias_kernelIfthfTnPFfRKT2_EXadL_ZNS_11gelu_kernelIfEEfRKT_EELi1EEEvPT0_PS8_PKT1_PS2_il
	.p2align	8
	.type	_ZN5aiter23act_and_mul_bias_kernelIfthfTnPFfRKT2_EXadL_ZNS_11gelu_kernelIfEEfRKT_EELi1EEEvPT0_PS8_PKT1_PS2_il,@function
_ZN5aiter23act_and_mul_bias_kernelIfthfTnPFfRKT2_EXadL_ZNS_11gelu_kernelIfEEfRKT_EELi1EEEvPT0_PS8_PKT1_PS2_il: ; @_ZN5aiter23act_and_mul_bias_kernelIfthfTnPFfRKT2_EXadL_ZNS_11gelu_kernelIfEEfRKT_EELi1EEEvPT0_PS8_PKT1_PS2_il
; %bb.0:
	s_load_dwordx2 s[4:5], s[0:1], 0x10
	s_load_dword s20, s[0:1], 0x20
	s_load_dwordx2 s[8:9], s[0:1], 0x28
	v_mov_b32_e32 v1, s2
	s_load_dwordx2 s[10:11], s[0:1], 0x0
	s_waitcnt lgkmcnt(0)
	global_load_ubyte v1, v1, s[4:5]
	s_ashr_i32 s21, s20, 31
	s_mul_hi_u32 s3, s20, s2
	v_mov_b64_e32 v[2:3], s[8:9]
	s_mul_i32 s8, s21, s2
	s_mul_i32 s14, s20, s2
	s_add_i32 s15, s3, s8
	s_lshl_b64 s[8:9], s[14:15], 1
	s_mov_b32 s13, 0
	s_mov_b64 s[6:7], -1
	v_cmp_gt_i32_e64 s[4:5], s20, v0
	s_waitcnt vmcnt(0)
	v_readfirstlane_b32 s3, v1
	s_and_b32 s12, s3, 0xffff
	s_add_u32 s8, s10, s8
	s_addc_u32 s3, s11, s9
	s_add_i32 s10, s20, 1
	s_lshr_b32 s11, s10, 31
	s_add_i32 s10, s10, s11
	v_cmp_lt_i64_e32 vcc, s[12:13], v[2:3]
	s_and_b32 s9, s3, 0xffff
	s_lshl_b32 s3, s10, 1
	s_and_b32 s10, s3, -4
	s_cbranch_vccnz .LBB356_5
; %bb.1:
	s_and_saveexec_b64 s[6:7], s[4:5]
	s_cbranch_execz .LBB356_4
; %bb.2:
	s_load_dword s3, s[0:1], 0x3c
	v_mov_b32_e32 v1, 0
	s_mov_b32 s5, 0
	v_lshlrev_b32_e32 v4, 1, v0
	s_mov_b64 s[14:15], 0
	s_waitcnt lgkmcnt(0)
	s_and_b32 s4, s3, 0xffff
	s_lshl_b32 s3, s4, 1
	s_mov_b32 s11, 0x20000
	v_mov_b64_e32 v[2:3], v[0:1]
.LBB356_3:                              ; =>This Inner Loop Header: Depth=1
	v_lshl_add_u64 v[2:3], v[2:3], 0, s[4:5]
	v_cmp_le_i64_e32 vcc, s[20:21], v[2:3]
	buffer_store_short v1, v4, s[8:11], 0 offen
	s_or_b64 s[14:15], vcc, s[14:15]
	v_add_u32_e32 v4, s3, v4
	s_andn2_b64 exec, exec, s[14:15]
	s_cbranch_execnz .LBB356_3
.LBB356_4:
	s_or_b64 exec, exec, s[6:7]
	s_mov_b64 s[6:7], 0
.LBB356_5:
	s_andn2_b64 vcc, exec, s[6:7]
	s_cbranch_vccnz .LBB356_13
; %bb.6:
	v_cmp_gt_i32_e32 vcc, s20, v0
	s_and_saveexec_b64 s[4:5], vcc
	s_cbranch_execz .LBB356_13
; %bb.7:
	s_load_dwordx2 s[14:15], s[0:1], 0x8
	s_load_dwordx2 s[4:5], s[0:1], 0x18
	s_mul_hi_i32 s13, s20, s12
	s_mul_i32 s12, s20, s12
	s_lshl_b32 s6, s20, 2
	s_lshl_b64 s[12:13], s[12:13], 3
	s_waitcnt lgkmcnt(0)
	s_add_u32 s4, s4, s12
	s_load_dword s18, s[0:1], 0x3c
	s_addc_u32 s1, s5, s13
	s_lshl_b64 s[16:17], s[20:21], 2
	s_add_u32 s0, s4, s16
	s_addc_u32 s3, s1, s17
	s_and_b32 s5, s1, 0xffff
	s_and_b32 s1, s3, 0xffff
	s_mul_i32 s3, s2, s21
	s_mul_hi_u32 s12, s2, s20
	s_add_i32 s3, s12, s3
	s_mul_i32 s2, s2, s20
	s_lshl_b64 s[2:3], s[2:3], 3
	s_add_u32 s12, s14, s2
	s_addc_u32 s2, s15, s3
	s_add_u32 s16, s12, s16
	s_mov_b32 s11, 0x20000
	s_addc_u32 s3, s2, s17
	s_waitcnt lgkmcnt(0)
	s_and_b32 s22, s18, 0xffff
                                        ; implicit-def: $vgpr5
                                        ; implicit-def: $vgpr5
	;; [unrolled: 1-line block ×4, first 2 shown]
	s_mov_b32 s7, s11
	s_and_b32 s13, s2, 0xffff
	s_and_b32 s17, s3, 0xffff
	s_mov_b32 s23, 0
	v_mov_b32_e32 v1, 0
	v_lshlrev_b32_e32 v2, 1, v0
	s_lshl_b32 s26, s22, 1
	v_lshlrev_b32_e32 v3, 2, v0
	s_lshl_b32 s27, s22, 2
	s_mov_b64 s[24:25], 0
	s_mov_b32 s19, s11
	s_mov_b32 s18, s6
	;; [unrolled: 1-line block ×13, first 2 shown]
	v_mov_b32_e32 v4, 0x3ba10414
	s_brev_b32 s38, -2
	v_mov_b32_e32 v5, 0xb9c68948
	v_mov_b32_e32 v6, 0x7f800000
	s_branch .LBB356_9
.LBB356_8:                              ;   in Loop: Header=BB356_9 Depth=1
	s_or_b64 exec, exec, s[2:3]
	s_waitcnt vmcnt(0)
	v_add_f32_e32 v7, v7, v8
	v_mul_f32_e32 v8, 0.5, v9
	v_bfi_b32 v9, s38, v11, v10
	v_add_f32_e32 v9, 1.0, v9
	v_mul_f32_e32 v8, v8, v9
	v_mul_f32_e32 v7, v7, v8
	v_lshl_add_u64 v[0:1], v[0:1], 0, s[22:23]
	v_lshrrev_b32_e32 v7, 16, v7
	v_cmp_le_i64_e32 vcc, s[20:21], v[0:1]
	buffer_store_short v7, v2, s[8:11], 0 offen
	v_add_u32_e32 v2, s26, v2
	s_or_b64 s[24:25], vcc, s[24:25]
	v_add_u32_e32 v3, s27, v3
	s_andn2_b64 exec, exec, s[24:25]
	s_cbranch_execz .LBB356_13
.LBB356_9:                              ; =>This Inner Loop Header: Depth=1
	buffer_load_dword v9, v3, s[12:15], 0 offen
	buffer_load_dword v7, v3, s[16:19], 0 offen
	;; [unrolled: 1-line block ×3, first 2 shown]
	s_mov_b32 s2, s6
	s_mov_b32 s3, s7
	buffer_load_dword v8, v3, s[0:3], 0 offen
                                        ; implicit-def: $vgpr11
	s_waitcnt vmcnt(1)
	v_add_f32_e32 v9, v9, v10
	v_mul_f32_e32 v10, 0x3f3504f3, v9
	v_cmp_nlt_f32_e64 s[2:3], |v10|, 1.0
	s_and_saveexec_b64 s[40:41], s[2:3]
	s_xor_b64 s[2:3], exec, s[40:41]
	s_cbranch_execz .LBB356_11
; %bb.10:                               ;   in Loop: Header=BB356_9 Depth=1
	v_fma_f32 v11, |v10|, s28, v5
	v_fma_f32 v11, |v10|, v11, s29
	;; [unrolled: 1-line block ×6, first 2 shown]
	v_fma_f32 v11, |v10|, v11, |v10|
	v_mul_f32_e32 v12, 0xbfb8aa3b, v11
	v_fma_f32 v13, v11, s35, -v12
	v_rndne_f32_e32 v14, v12
	v_fmac_f32_e32 v13, 0xb2a5705f, v11
	v_sub_f32_e32 v12, v12, v14
	v_add_f32_e32 v12, v12, v13
	v_cvt_i32_f32_e32 v13, v14
	v_exp_f32_e32 v12, v12
	v_cmp_nlt_f32_e32 vcc, s36, v11
	v_ldexp_f32 v12, v12, v13
	s_nop 0
	v_cndmask_b32_e32 v12, 0, v12, vcc
	v_cmp_ngt_f32_e32 vcc, s37, v11
	s_nop 1
	v_cndmask_b32_e32 v11, v6, v12, vcc
	v_sub_f32_e32 v11, 1.0, v11
.LBB356_11:                             ;   in Loop: Header=BB356_9 Depth=1
	s_andn2_saveexec_b64 s[2:3], s[2:3]
	s_cbranch_execz .LBB356_8
; %bb.12:                               ;   in Loop: Header=BB356_9 Depth=1
	v_mul_f32_e32 v11, v10, v10
	v_fmamk_f32 v12, v11, 0xba1345e1, v4
	v_fmaak_f32 v12, v11, v12, 0xbcdac9b8
	v_fmaak_f32 v12, v11, v12, 0x3de703be
	;; [unrolled: 1-line block ×4, first 2 shown]
	v_fma_f32 v11, |v10|, v11, |v10|
	s_branch .LBB356_8
.LBB356_13:
	s_endpgm
	.section	.rodata,"a",@progbits
	.p2align	6, 0x0
	.amdhsa_kernel _ZN5aiter23act_and_mul_bias_kernelIfthfTnPFfRKT2_EXadL_ZNS_11gelu_kernelIfEEfRKT_EELi1EEEvPT0_PS8_PKT1_PS2_il
		.amdhsa_group_segment_fixed_size 0
		.amdhsa_private_segment_fixed_size 0
		.amdhsa_kernarg_size 304
		.amdhsa_user_sgpr_count 2
		.amdhsa_user_sgpr_dispatch_ptr 0
		.amdhsa_user_sgpr_queue_ptr 0
		.amdhsa_user_sgpr_kernarg_segment_ptr 1
		.amdhsa_user_sgpr_dispatch_id 0
		.amdhsa_user_sgpr_kernarg_preload_length 0
		.amdhsa_user_sgpr_kernarg_preload_offset 0
		.amdhsa_user_sgpr_private_segment_size 0
		.amdhsa_uses_dynamic_stack 0
		.amdhsa_enable_private_segment 0
		.amdhsa_system_sgpr_workgroup_id_x 1
		.amdhsa_system_sgpr_workgroup_id_y 0
		.amdhsa_system_sgpr_workgroup_id_z 0
		.amdhsa_system_sgpr_workgroup_info 0
		.amdhsa_system_vgpr_workitem_id 0
		.amdhsa_next_free_vgpr 15
		.amdhsa_next_free_sgpr 42
		.amdhsa_accum_offset 16
		.amdhsa_reserve_vcc 1
		.amdhsa_float_round_mode_32 0
		.amdhsa_float_round_mode_16_64 0
		.amdhsa_float_denorm_mode_32 3
		.amdhsa_float_denorm_mode_16_64 3
		.amdhsa_dx10_clamp 1
		.amdhsa_ieee_mode 1
		.amdhsa_fp16_overflow 0
		.amdhsa_tg_split 0
		.amdhsa_exception_fp_ieee_invalid_op 0
		.amdhsa_exception_fp_denorm_src 0
		.amdhsa_exception_fp_ieee_div_zero 0
		.amdhsa_exception_fp_ieee_overflow 0
		.amdhsa_exception_fp_ieee_underflow 0
		.amdhsa_exception_fp_ieee_inexact 0
		.amdhsa_exception_int_div_zero 0
	.end_amdhsa_kernel
	.section	.text._ZN5aiter23act_and_mul_bias_kernelIfthfTnPFfRKT2_EXadL_ZNS_11gelu_kernelIfEEfRKT_EELi1EEEvPT0_PS8_PKT1_PS2_il,"axG",@progbits,_ZN5aiter23act_and_mul_bias_kernelIfthfTnPFfRKT2_EXadL_ZNS_11gelu_kernelIfEEfRKT_EELi1EEEvPT0_PS8_PKT1_PS2_il,comdat
.Lfunc_end356:
	.size	_ZN5aiter23act_and_mul_bias_kernelIfthfTnPFfRKT2_EXadL_ZNS_11gelu_kernelIfEEfRKT_EELi1EEEvPT0_PS8_PKT1_PS2_il, .Lfunc_end356-_ZN5aiter23act_and_mul_bias_kernelIfthfTnPFfRKT2_EXadL_ZNS_11gelu_kernelIfEEfRKT_EELi1EEEvPT0_PS8_PKT1_PS2_il
                                        ; -- End function
	.section	.AMDGPU.csdata,"",@progbits
; Kernel info:
; codeLenInByte = 940
; NumSgprs: 48
; NumVgprs: 15
; NumAgprs: 0
; TotalNumVgprs: 15
; ScratchSize: 0
; MemoryBound: 0
; FloatMode: 240
; IeeeMode: 1
; LDSByteSize: 0 bytes/workgroup (compile time only)
; SGPRBlocks: 5
; VGPRBlocks: 1
; NumSGPRsForWavesPerEU: 48
; NumVGPRsForWavesPerEU: 15
; AccumOffset: 16
; Occupancy: 8
; WaveLimiterHint : 0
; COMPUTE_PGM_RSRC2:SCRATCH_EN: 0
; COMPUTE_PGM_RSRC2:USER_SGPR: 2
; COMPUTE_PGM_RSRC2:TRAP_HANDLER: 0
; COMPUTE_PGM_RSRC2:TGID_X_EN: 1
; COMPUTE_PGM_RSRC2:TGID_Y_EN: 0
; COMPUTE_PGM_RSRC2:TGID_Z_EN: 0
; COMPUTE_PGM_RSRC2:TIDIG_COMP_CNT: 0
; COMPUTE_PGM_RSRC3_GFX90A:ACCUM_OFFSET: 3
; COMPUTE_PGM_RSRC3_GFX90A:TG_SPLIT: 0
	.section	.text._ZN5aiter23act_and_mul_bias_kernelIfDF16_hfTnPFfRKT2_EXadL_ZNS_11gelu_kernelIfEEfRKT_EELi16EEEvPT0_PS8_PKT1_PS2_il,"axG",@progbits,_ZN5aiter23act_and_mul_bias_kernelIfDF16_hfTnPFfRKT2_EXadL_ZNS_11gelu_kernelIfEEfRKT_EELi16EEEvPT0_PS8_PKT1_PS2_il,comdat
	.protected	_ZN5aiter23act_and_mul_bias_kernelIfDF16_hfTnPFfRKT2_EXadL_ZNS_11gelu_kernelIfEEfRKT_EELi16EEEvPT0_PS8_PKT1_PS2_il ; -- Begin function _ZN5aiter23act_and_mul_bias_kernelIfDF16_hfTnPFfRKT2_EXadL_ZNS_11gelu_kernelIfEEfRKT_EELi16EEEvPT0_PS8_PKT1_PS2_il
	.globl	_ZN5aiter23act_and_mul_bias_kernelIfDF16_hfTnPFfRKT2_EXadL_ZNS_11gelu_kernelIfEEfRKT_EELi16EEEvPT0_PS8_PKT1_PS2_il
	.p2align	8
	.type	_ZN5aiter23act_and_mul_bias_kernelIfDF16_hfTnPFfRKT2_EXadL_ZNS_11gelu_kernelIfEEfRKT_EELi16EEEvPT0_PS8_PKT1_PS2_il,@function
_ZN5aiter23act_and_mul_bias_kernelIfDF16_hfTnPFfRKT2_EXadL_ZNS_11gelu_kernelIfEEfRKT_EELi16EEEvPT0_PS8_PKT1_PS2_il: ; @_ZN5aiter23act_and_mul_bias_kernelIfDF16_hfTnPFfRKT2_EXadL_ZNS_11gelu_kernelIfEEfRKT_EELi16EEEvPT0_PS8_PKT1_PS2_il
; %bb.0:
	s_load_dwordx2 s[4:5], s[0:1], 0x10
	s_load_dword s24, s[0:1], 0x20
	s_load_dwordx2 s[6:7], s[0:1], 0x28
	v_mov_b32_e32 v1, s2
	s_mov_b32 s9, 0
	s_waitcnt lgkmcnt(0)
	global_load_ubyte v1, v1, s[4:5]
	s_load_dwordx2 s[4:5], s[0:1], 0x0
	s_ashr_i32 s25, s24, 31
	s_mul_hi_u32 s3, s24, s2
	v_mov_b64_e32 v[2:3], s[6:7]
	s_mul_i32 s6, s25, s2
	s_mul_i32 s12, s24, s2
	s_add_i32 s13, s3, s6
	s_lshl_b64 s[6:7], s[12:13], 1
	s_mov_b64 s[10:11], -1
	v_lshlrev_b32_e32 v64, 4, v0
	s_waitcnt vmcnt(0)
	v_readfirstlane_b32 s3, v1
	s_and_b32 s8, s3, 0xffff
	s_waitcnt lgkmcnt(0)
	s_add_u32 s4, s4, s6
	s_addc_u32 s3, s5, s7
	s_add_i32 s6, s24, 1
	s_lshr_b32 s7, s6, 31
	s_add_i32 s6, s6, s7
	v_cmp_lt_i64_e32 vcc, s[8:9], v[2:3]
	s_and_b32 s5, s3, 0xffff
	s_lshl_b32 s3, s6, 1
	s_and_b32 s6, s3, -4
	s_cbranch_vccnz .LBB357_5
; %bb.1:
	v_cmp_gt_i32_e32 vcc, s24, v64
	s_and_saveexec_b64 s[10:11], vcc
	s_cbranch_execz .LBB357_4
; %bb.2:
	s_load_dword s3, s[0:1], 0x3c
	s_mov_b32 s13, 0
	s_mov_b32 s16, s13
	;; [unrolled: 1-line block ×3, first 2 shown]
	v_mov_b32_e32 v65, 0
	v_lshlrev_b32_e32 v6, 5, v0
	s_waitcnt lgkmcnt(0)
	s_and_b32 s3, s3, 0xffff
	s_mov_b32 s18, s13
	s_mov_b32 s19, s13
	v_mov_b64_e32 v[0:1], s[16:17]
	s_lshl_b32 s12, s3, 4
	s_lshl_b32 s3, s3, 5
	s_mov_b64 s[14:15], 0
	s_mov_b32 s7, 0x20000
	v_mov_b64_e32 v[2:3], s[18:19]
	v_mov_b64_e32 v[4:5], v[64:65]
.LBB357_3:                              ; =>This Inner Loop Header: Depth=1
	v_lshl_add_u64 v[4:5], s[12:13], 0, v[4:5]
	v_cmp_le_i64_e32 vcc, s[24:25], v[4:5]
	buffer_store_dwordx4 v[0:3], v6, s[4:7], 0 offen
	buffer_store_dwordx4 v[0:3], v6, s[4:7], 16 offen
	s_or_b64 s[14:15], vcc, s[14:15]
	v_add_u32_e32 v6, s3, v6
	s_andn2_b64 exec, exec, s[14:15]
	s_cbranch_execnz .LBB357_3
.LBB357_4:
	s_or_b64 exec, exec, s[10:11]
	s_mov_b64 s[10:11], 0
.LBB357_5:
	s_andn2_b64 vcc, exec, s[10:11]
	s_cbranch_vccnz .LBB357_73
; %bb.6:
	v_cmp_gt_i32_e32 vcc, s24, v64
	s_and_saveexec_b64 s[10:11], vcc
	s_cbranch_execz .LBB357_73
; %bb.7:
	s_load_dwordx2 s[14:15], s[0:1], 0x8
	s_load_dwordx2 s[12:13], s[0:1], 0x18
	s_mul_hi_i32 s9, s24, s8
	s_mul_i32 s8, s24, s8
	s_lshl_b32 s10, s24, 2
	s_lshl_b64 s[8:9], s[8:9], 3
	s_waitcnt lgkmcnt(0)
	s_add_u32 s8, s12, s8
	s_addc_u32 s3, s13, s9
	s_lshl_b64 s[18:19], s[24:25], 2
	s_add_u32 s12, s8, s18
	s_addc_u32 s13, s3, s19
	s_and_b32 s9, s3, 0xffff
	s_mul_i32 s3, s2, s25
	s_mul_hi_u32 s16, s2, s24
	s_add_i32 s3, s16, s3
	s_mul_i32 s2, s2, s24
	s_and_b32 s13, s13, 0xffff
	s_lshl_b64 s[2:3], s[2:3], 3
	s_add_u32 s16, s14, s2
	s_addc_u32 s2, s15, s3
	s_add_u32 s20, s16, s18
	s_addc_u32 s3, s2, s19
	s_and_b32 s17, s2, 0xffff
	s_and_b32 s21, s3, 0xffff
	s_mov_b32 s7, 0x20000
	s_add_u32 s0, s0, 48
	s_mov_b32 s11, s7
	v_mov_b32_e32 v65, 0
	s_addc_u32 s1, s1, 0
	s_mov_b64 s[2:3], 0
	s_mov_b32 s18, s10
	s_mov_b32 s19, s7
	s_mov_b32 s27, 0
	s_mov_b32 s28, 0x378e98ab
	s_mov_b32 s29, 0x3b7cd369
	s_mov_b32 s30, 0xbcc618b2
	s_mov_b32 s31, 0x3dda74e4
	s_mov_b32 s33, 0x3f228afd
	s_mov_b32 s34, 0x3e03c728
	s_mov_b32 s35, 0xbfb8aa3b
	s_mov_b32 s36, 0x42ce8ed0
	s_mov_b32 s37, 0xc2b17218
	v_mov_b32_e32 v66, 0x3ba10414
	s_brev_b32 s38, -2
	s_mov_b32 s22, s10
	s_mov_b32 s23, s7
	v_mov_b32_e32 v67, 0xb9c68948
	v_mov_b32_e32 v68, 0x7f800000
                                        ; implicit-def: $vgpr0
                                        ; implicit-def: $vgpr0
	;; [unrolled: 1-line block ×4, first 2 shown]
	s_branch .LBB357_9
.LBB357_8:                              ;   in Loop: Header=BB357_9 Depth=1
	s_or_b64 exec, exec, s[14:15]
	v_bfi_b32 v5, s38, v8, v5
	v_cvt_f16_f32_e32 v15, v1
	v_bfi_b32 v1, s38, v11, v10
	v_mul_f32_e32 v4, 0.5, v4
	v_add_f32_e32 v5, 1.0, v5
	v_cvt_f16_f32_e32 v14, v0
	v_mul_f32_e32 v0, 0.5, v9
	v_add_f32_e32 v1, 1.0, v1
	v_mul_f32_e32 v4, v4, v5
	v_add_f32_e32 v3, v3, v7
	v_add_f32_e32 v2, v2, v6
	v_mul_f32_e32 v5, v0, v1
	;;#ASMSTART
	v_pk_mul_f32 v[0:1], v[4:5], v[2:3]
	;;#ASMEND
	s_load_dword s14, s[0:1], 0xc
	v_cvt_f16_f32_e32 v7, v16
	v_cvt_f16_f32_e32 v6, v48
	;; [unrolled: 1-line block ×14, first 2 shown]
	s_waitcnt lgkmcnt(0)
	s_and_b32 s14, s14, 0xffff
	s_lshl_b32 s26, s14, 4
	v_pack_b32_f16 v0, v6, v16
	v_lshlrev_b32_e32 v6, 1, v64
	v_lshl_add_u64 v[64:65], s[26:27], 0, v[64:65]
	v_pack_b32_f16 v3, v21, v22
	v_pack_b32_f16 v2, v19, v20
	;; [unrolled: 1-line block ×3, first 2 shown]
	v_cmp_le_i64_e32 vcc, s[24:25], v[64:65]
	buffer_store_dwordx4 v[0:3], v6, s[4:7], 0 offen
	s_or_b64 s[2:3], vcc, s[2:3]
	s_nop 0
	v_pack_b32_f16 v3, v4, v5
	v_pack_b32_f16 v2, v14, v15
	;; [unrolled: 1-line block ×4, first 2 shown]
	buffer_store_dwordx4 v[0:3], v6, s[4:7], 16 offen
	s_andn2_b64 exec, exec, s[2:3]
	s_cbranch_execz .LBB357_73
.LBB357_9:                              ; =>This Inner Loop Header: Depth=1
	v_lshlrev_b32_e32 v4, 2, v64
	s_mov_b32 s14, s10
	s_mov_b32 s15, s11
	buffer_load_dwordx4 v[56:59], v4, s[16:19], 0 offen
	buffer_load_dwordx4 v[40:43], v4, s[16:19], 16 offen
	;; [unrolled: 1-line block ×15, first 2 shown]
	s_nop 0
	buffer_load_dwordx4 v[4:7], v4, s[12:15], 48 offen
                                        ; implicit-def: $vgpr69
	s_waitcnt vmcnt(7)
	v_add_f32_e32 v56, v56, v60
	v_mul_f32_e32 v60, 0x3f3504f3, v56
	v_cmp_nlt_f32_e64 s[14:15], |v60|, 1.0
	s_and_saveexec_b64 s[40:41], s[14:15]
	s_xor_b64 s[14:15], exec, s[40:41]
	s_cbranch_execz .LBB357_11
; %bb.10:                               ;   in Loop: Header=BB357_9 Depth=1
	v_fma_f32 v69, |v60|, s28, v67
	v_fma_f32 v69, |v60|, v69, s29
	;; [unrolled: 1-line block ×6, first 2 shown]
	v_fma_f32 v69, |v60|, v69, |v60|
	v_mul_f32_e32 v70, 0xbfb8aa3b, v69
	v_fma_f32 v71, v69, s35, -v70
	v_rndne_f32_e32 v72, v70
	v_fmac_f32_e32 v71, 0xb2a5705f, v69
	v_sub_f32_e32 v70, v70, v72
	v_add_f32_e32 v70, v70, v71
	v_cvt_i32_f32_e32 v71, v72
	v_exp_f32_e32 v70, v70
	v_cmp_nlt_f32_e32 vcc, s36, v69
	v_ldexp_f32 v70, v70, v71
	s_nop 0
	v_cndmask_b32_e32 v70, 0, v70, vcc
	v_cmp_ngt_f32_e32 vcc, s37, v69
	s_nop 1
	v_cndmask_b32_e32 v69, v68, v70, vcc
	v_sub_f32_e32 v69, 1.0, v69
.LBB357_11:                             ;   in Loop: Header=BB357_9 Depth=1
	s_andn2_saveexec_b64 s[14:15], s[14:15]
; %bb.12:                               ;   in Loop: Header=BB357_9 Depth=1
	v_mul_f32_e32 v69, v60, v60
	v_fmamk_f32 v70, v69, 0xba1345e1, v66
	v_fmaak_f32 v70, v69, v70, 0xbcdac9b8
	v_fmaak_f32 v70, v69, v70, 0x3de703be
	;; [unrolled: 1-line block ×4, first 2 shown]
	v_fma_f32 v69, |v60|, v69, |v60|
; %bb.13:                               ;   in Loop: Header=BB357_9 Depth=1
	s_or_b64 exec, exec, s[14:15]
	v_add_f32_e32 v57, v57, v61
	v_mul_f32_e32 v61, 0x3f3504f3, v57
	v_cmp_nlt_f32_e64 s[14:15], |v61|, 1.0
                                        ; implicit-def: $vgpr70
	s_and_saveexec_b64 s[40:41], s[14:15]
	s_xor_b64 s[14:15], exec, s[40:41]
	s_cbranch_execz .LBB357_15
; %bb.14:                               ;   in Loop: Header=BB357_9 Depth=1
	v_fma_f32 v70, |v61|, s28, v67
	v_fma_f32 v70, |v61|, v70, s29
	v_fma_f32 v70, |v61|, v70, s30
	v_fma_f32 v70, |v61|, v70, s31
	v_fma_f32 v70, |v61|, v70, s33
	v_fma_f32 v70, |v61|, v70, s34
	v_fma_f32 v70, |v61|, v70, |v61|
	v_mul_f32_e32 v71, 0xbfb8aa3b, v70
	v_fma_f32 v72, v70, s35, -v71
	v_rndne_f32_e32 v73, v71
	v_fmac_f32_e32 v72, 0xb2a5705f, v70
	v_sub_f32_e32 v71, v71, v73
	v_add_f32_e32 v71, v71, v72
	v_cvt_i32_f32_e32 v72, v73
	v_exp_f32_e32 v71, v71
	v_cmp_nlt_f32_e32 vcc, s36, v70
	v_ldexp_f32 v71, v71, v72
	s_nop 0
	v_cndmask_b32_e32 v71, 0, v71, vcc
	v_cmp_ngt_f32_e32 vcc, s37, v70
	s_nop 1
	v_cndmask_b32_e32 v70, v68, v71, vcc
	v_sub_f32_e32 v70, 1.0, v70
.LBB357_15:                             ;   in Loop: Header=BB357_9 Depth=1
	s_andn2_saveexec_b64 s[14:15], s[14:15]
; %bb.16:                               ;   in Loop: Header=BB357_9 Depth=1
	v_mul_f32_e32 v70, v61, v61
	v_fmamk_f32 v71, v70, 0xba1345e1, v66
	v_fmaak_f32 v71, v70, v71, 0xbcdac9b8
	v_fmaak_f32 v71, v70, v71, 0x3de703be
	v_fmaak_f32 v71, v70, v71, 0xbec09330
	v_fmaak_f32 v70, v70, v71, 0x3e0375d0
	v_fma_f32 v70, |v61|, v70, |v61|
; %bb.17:                               ;   in Loop: Header=BB357_9 Depth=1
	s_or_b64 exec, exec, s[14:15]
	s_waitcnt vmcnt(3)
	v_add_f32_e32 v49, v49, v53
	v_bfi_b32 v53, s38, v70, v61
	v_add_f32_e32 v48, v48, v52
	v_mul_f32_e32 v52, 0.5, v57
	v_add_f32_e32 v53, 1.0, v53
	v_bfi_b32 v60, s38, v69, v60
	v_mul_f32_e32 v57, v52, v53
	v_add_f32_e32 v52, v58, v62
	v_mul_f32_e32 v56, 0.5, v56
	v_add_f32_e32 v60, 1.0, v60
	v_mul_f32_e32 v53, 0x3f3504f3, v52
	v_mul_f32_e32 v56, v56, v60
	v_cmp_nlt_f32_e64 s[14:15], |v53|, 1.0
	;;#ASMSTART
	v_pk_mul_f32 v[48:49], v[56:57], v[48:49]
	;;#ASMEND
                                        ; implicit-def: $vgpr56
	s_and_saveexec_b64 s[40:41], s[14:15]
	s_xor_b64 s[14:15], exec, s[40:41]
	s_cbranch_execz .LBB357_19
; %bb.18:                               ;   in Loop: Header=BB357_9 Depth=1
	v_fma_f32 v56, |v53|, s28, v67
	v_fma_f32 v56, |v53|, v56, s29
	;; [unrolled: 1-line block ×6, first 2 shown]
	v_fma_f32 v56, |v53|, v56, |v53|
	v_mul_f32_e32 v57, 0xbfb8aa3b, v56
	v_fma_f32 v58, v56, s35, -v57
	v_rndne_f32_e32 v60, v57
	v_fmac_f32_e32 v58, 0xb2a5705f, v56
	v_sub_f32_e32 v57, v57, v60
	v_add_f32_e32 v57, v57, v58
	v_cvt_i32_f32_e32 v58, v60
	v_exp_f32_e32 v57, v57
	v_cmp_nlt_f32_e32 vcc, s36, v56
	v_ldexp_f32 v57, v57, v58
	s_nop 0
	v_cndmask_b32_e32 v57, 0, v57, vcc
	v_cmp_ngt_f32_e32 vcc, s37, v56
	s_nop 1
	v_cndmask_b32_e32 v56, v68, v57, vcc
	v_sub_f32_e32 v56, 1.0, v56
.LBB357_19:                             ;   in Loop: Header=BB357_9 Depth=1
	s_andn2_saveexec_b64 s[14:15], s[14:15]
; %bb.20:                               ;   in Loop: Header=BB357_9 Depth=1
	v_mul_f32_e32 v56, v53, v53
	v_fmamk_f32 v57, v56, 0xba1345e1, v66
	v_fmaak_f32 v57, v56, v57, 0xbcdac9b8
	v_fmaak_f32 v57, v56, v57, 0x3de703be
	;; [unrolled: 1-line block ×4, first 2 shown]
	v_fma_f32 v56, |v53|, v56, |v53|
; %bb.21:                               ;   in Loop: Header=BB357_9 Depth=1
	s_or_b64 exec, exec, s[14:15]
	v_add_f32_e32 v57, v59, v63
	v_mul_f32_e32 v58, 0x3f3504f3, v57
	v_cmp_nlt_f32_e64 s[14:15], |v58|, 1.0
                                        ; implicit-def: $vgpr59
	s_and_saveexec_b64 s[40:41], s[14:15]
	s_xor_b64 s[14:15], exec, s[40:41]
	s_cbranch_execz .LBB357_23
; %bb.22:                               ;   in Loop: Header=BB357_9 Depth=1
	v_fma_f32 v59, |v58|, s28, v67
	v_fma_f32 v59, |v58|, v59, s29
	v_fma_f32 v59, |v58|, v59, s30
	v_fma_f32 v59, |v58|, v59, s31
	v_fma_f32 v59, |v58|, v59, s33
	v_fma_f32 v59, |v58|, v59, s34
	v_fma_f32 v59, |v58|, v59, |v58|
	v_mul_f32_e32 v60, 0xbfb8aa3b, v59
	v_fma_f32 v61, v59, s35, -v60
	v_rndne_f32_e32 v62, v60
	v_fmac_f32_e32 v61, 0xb2a5705f, v59
	v_sub_f32_e32 v60, v60, v62
	v_add_f32_e32 v60, v60, v61
	v_cvt_i32_f32_e32 v61, v62
	v_exp_f32_e32 v60, v60
	v_cmp_nlt_f32_e32 vcc, s36, v59
	v_ldexp_f32 v60, v60, v61
	s_nop 0
	v_cndmask_b32_e32 v60, 0, v60, vcc
	v_cmp_ngt_f32_e32 vcc, s37, v59
	s_nop 1
	v_cndmask_b32_e32 v59, v68, v60, vcc
	v_sub_f32_e32 v59, 1.0, v59
.LBB357_23:                             ;   in Loop: Header=BB357_9 Depth=1
	s_andn2_saveexec_b64 s[14:15], s[14:15]
; %bb.24:                               ;   in Loop: Header=BB357_9 Depth=1
	v_mul_f32_e32 v59, v58, v58
	v_fmamk_f32 v60, v59, 0xba1345e1, v66
	v_fmaak_f32 v60, v59, v60, 0xbcdac9b8
	v_fmaak_f32 v60, v59, v60, 0x3de703be
	;; [unrolled: 1-line block ×4, first 2 shown]
	v_fma_f32 v59, |v58|, v59, |v58|
; %bb.25:                               ;   in Loop: Header=BB357_9 Depth=1
	s_or_b64 exec, exec, s[14:15]
	v_bfi_b32 v53, s38, v56, v53
	v_add_f32_e32 v40, v40, v44
	v_mul_f32_e32 v52, 0.5, v52
	v_add_f32_e32 v53, 1.0, v53
	v_add_f32_e32 v50, v50, v54
	v_bfi_b32 v54, s38, v59, v58
	v_mul_f32_e32 v44, 0x3f3504f3, v40
	v_mul_f32_e32 v52, v52, v53
	v_add_f32_e32 v51, v51, v55
	v_mul_f32_e32 v53, 0.5, v57
	v_add_f32_e32 v54, 1.0, v54
	v_cmp_nlt_f32_e64 s[14:15], |v44|, 1.0
	v_mul_f32_e32 v53, v53, v54
	;;#ASMSTART
	v_pk_mul_f32 v[50:51], v[52:53], v[50:51]
	;;#ASMEND
                                        ; implicit-def: $vgpr52
	s_and_saveexec_b64 s[40:41], s[14:15]
	s_xor_b64 s[14:15], exec, s[40:41]
	s_cbranch_execz .LBB357_27
; %bb.26:                               ;   in Loop: Header=BB357_9 Depth=1
	v_fma_f32 v52, |v44|, s28, v67
	v_fma_f32 v52, |v44|, v52, s29
	;; [unrolled: 1-line block ×6, first 2 shown]
	v_fma_f32 v52, |v44|, v52, |v44|
	v_mul_f32_e32 v53, 0xbfb8aa3b, v52
	v_fma_f32 v54, v52, s35, -v53
	v_rndne_f32_e32 v55, v53
	v_fmac_f32_e32 v54, 0xb2a5705f, v52
	v_sub_f32_e32 v53, v53, v55
	v_add_f32_e32 v53, v53, v54
	v_cvt_i32_f32_e32 v54, v55
	v_exp_f32_e32 v53, v53
	v_cmp_nlt_f32_e32 vcc, s36, v52
	v_ldexp_f32 v53, v53, v54
	s_nop 0
	v_cndmask_b32_e32 v53, 0, v53, vcc
	v_cmp_ngt_f32_e32 vcc, s37, v52
	s_nop 1
	v_cndmask_b32_e32 v52, v68, v53, vcc
	v_sub_f32_e32 v52, 1.0, v52
.LBB357_27:                             ;   in Loop: Header=BB357_9 Depth=1
	s_andn2_saveexec_b64 s[14:15], s[14:15]
; %bb.28:                               ;   in Loop: Header=BB357_9 Depth=1
	v_mul_f32_e32 v52, v44, v44
	v_fmamk_f32 v53, v52, 0xba1345e1, v66
	v_fmaak_f32 v53, v52, v53, 0xbcdac9b8
	v_fmaak_f32 v53, v52, v53, 0x3de703be
	;; [unrolled: 1-line block ×4, first 2 shown]
	v_fma_f32 v52, |v44|, v52, |v44|
; %bb.29:                               ;   in Loop: Header=BB357_9 Depth=1
	s_or_b64 exec, exec, s[14:15]
	v_add_f32_e32 v41, v41, v45
	v_mul_f32_e32 v45, 0x3f3504f3, v41
	v_cmp_nlt_f32_e64 s[14:15], |v45|, 1.0
                                        ; implicit-def: $vgpr53
	s_and_saveexec_b64 s[40:41], s[14:15]
	s_xor_b64 s[14:15], exec, s[40:41]
	s_cbranch_execz .LBB357_31
; %bb.30:                               ;   in Loop: Header=BB357_9 Depth=1
	v_fma_f32 v53, |v45|, s28, v67
	v_fma_f32 v53, |v45|, v53, s29
	;; [unrolled: 1-line block ×6, first 2 shown]
	v_fma_f32 v53, |v45|, v53, |v45|
	v_mul_f32_e32 v54, 0xbfb8aa3b, v53
	v_fma_f32 v55, v53, s35, -v54
	v_rndne_f32_e32 v56, v54
	v_fmac_f32_e32 v55, 0xb2a5705f, v53
	v_sub_f32_e32 v54, v54, v56
	v_add_f32_e32 v54, v54, v55
	v_cvt_i32_f32_e32 v55, v56
	v_exp_f32_e32 v54, v54
	v_cmp_nlt_f32_e32 vcc, s36, v53
	v_ldexp_f32 v54, v54, v55
	s_nop 0
	v_cndmask_b32_e32 v54, 0, v54, vcc
	v_cmp_ngt_f32_e32 vcc, s37, v53
	s_nop 1
	v_cndmask_b32_e32 v53, v68, v54, vcc
	v_sub_f32_e32 v53, 1.0, v53
.LBB357_31:                             ;   in Loop: Header=BB357_9 Depth=1
	s_andn2_saveexec_b64 s[14:15], s[14:15]
; %bb.32:                               ;   in Loop: Header=BB357_9 Depth=1
	v_mul_f32_e32 v53, v45, v45
	v_fmamk_f32 v54, v53, 0xba1345e1, v66
	v_fmaak_f32 v54, v53, v54, 0xbcdac9b8
	v_fmaak_f32 v54, v53, v54, 0x3de703be
	;; [unrolled: 1-line block ×4, first 2 shown]
	v_fma_f32 v53, |v45|, v53, |v45|
; %bb.33:                               ;   in Loop: Header=BB357_9 Depth=1
	s_or_b64 exec, exec, s[14:15]
	s_waitcnt vmcnt(2)
	v_add_f32_e32 v33, v33, v37
	v_bfi_b32 v37, s38, v53, v45
	v_add_f32_e32 v32, v32, v36
	v_mul_f32_e32 v36, 0.5, v41
	v_add_f32_e32 v37, 1.0, v37
	v_bfi_b32 v44, s38, v52, v44
	v_mul_f32_e32 v41, v36, v37
	v_add_f32_e32 v36, v42, v46
	v_mul_f32_e32 v40, 0.5, v40
	v_add_f32_e32 v44, 1.0, v44
	v_mul_f32_e32 v37, 0x3f3504f3, v36
	v_mul_f32_e32 v40, v40, v44
	v_cmp_nlt_f32_e64 s[14:15], |v37|, 1.0
	;;#ASMSTART
	v_pk_mul_f32 v[32:33], v[40:41], v[32:33]
	;;#ASMEND
                                        ; implicit-def: $vgpr40
	s_and_saveexec_b64 s[40:41], s[14:15]
	s_xor_b64 s[14:15], exec, s[40:41]
	s_cbranch_execz .LBB357_35
; %bb.34:                               ;   in Loop: Header=BB357_9 Depth=1
	v_fma_f32 v40, |v37|, s28, v67
	v_fma_f32 v40, |v37|, v40, s29
	v_fma_f32 v40, |v37|, v40, s30
	v_fma_f32 v40, |v37|, v40, s31
	v_fma_f32 v40, |v37|, v40, s33
	v_fma_f32 v40, |v37|, v40, s34
	v_fma_f32 v40, |v37|, v40, |v37|
	v_mul_f32_e32 v41, 0xbfb8aa3b, v40
	v_fma_f32 v42, v40, s35, -v41
	v_rndne_f32_e32 v44, v41
	v_fmac_f32_e32 v42, 0xb2a5705f, v40
	v_sub_f32_e32 v41, v41, v44
	v_add_f32_e32 v41, v41, v42
	v_cvt_i32_f32_e32 v42, v44
	v_exp_f32_e32 v41, v41
	v_cmp_nlt_f32_e32 vcc, s36, v40
	v_ldexp_f32 v41, v41, v42
	s_nop 0
	v_cndmask_b32_e32 v41, 0, v41, vcc
	v_cmp_ngt_f32_e32 vcc, s37, v40
	s_nop 1
	v_cndmask_b32_e32 v40, v68, v41, vcc
	v_sub_f32_e32 v40, 1.0, v40
.LBB357_35:                             ;   in Loop: Header=BB357_9 Depth=1
	s_andn2_saveexec_b64 s[14:15], s[14:15]
; %bb.36:                               ;   in Loop: Header=BB357_9 Depth=1
	v_mul_f32_e32 v40, v37, v37
	v_fmamk_f32 v41, v40, 0xba1345e1, v66
	v_fmaak_f32 v41, v40, v41, 0xbcdac9b8
	v_fmaak_f32 v41, v40, v41, 0x3de703be
	;; [unrolled: 1-line block ×4, first 2 shown]
	v_fma_f32 v40, |v37|, v40, |v37|
; %bb.37:                               ;   in Loop: Header=BB357_9 Depth=1
	s_or_b64 exec, exec, s[14:15]
	v_add_f32_e32 v41, v43, v47
	v_mul_f32_e32 v42, 0x3f3504f3, v41
	v_cmp_nlt_f32_e64 s[14:15], |v42|, 1.0
                                        ; implicit-def: $vgpr43
	s_and_saveexec_b64 s[40:41], s[14:15]
	s_xor_b64 s[14:15], exec, s[40:41]
	s_cbranch_execz .LBB357_39
; %bb.38:                               ;   in Loop: Header=BB357_9 Depth=1
	v_fma_f32 v43, |v42|, s28, v67
	v_fma_f32 v43, |v42|, v43, s29
	;; [unrolled: 1-line block ×6, first 2 shown]
	v_fma_f32 v43, |v42|, v43, |v42|
	v_mul_f32_e32 v44, 0xbfb8aa3b, v43
	v_fma_f32 v45, v43, s35, -v44
	v_rndne_f32_e32 v46, v44
	v_fmac_f32_e32 v45, 0xb2a5705f, v43
	v_sub_f32_e32 v44, v44, v46
	v_add_f32_e32 v44, v44, v45
	v_cvt_i32_f32_e32 v45, v46
	v_exp_f32_e32 v44, v44
	v_cmp_nlt_f32_e32 vcc, s36, v43
	v_ldexp_f32 v44, v44, v45
	s_nop 0
	v_cndmask_b32_e32 v44, 0, v44, vcc
	v_cmp_ngt_f32_e32 vcc, s37, v43
	s_nop 1
	v_cndmask_b32_e32 v43, v68, v44, vcc
	v_sub_f32_e32 v43, 1.0, v43
.LBB357_39:                             ;   in Loop: Header=BB357_9 Depth=1
	s_andn2_saveexec_b64 s[14:15], s[14:15]
; %bb.40:                               ;   in Loop: Header=BB357_9 Depth=1
	v_mul_f32_e32 v43, v42, v42
	v_fmamk_f32 v44, v43, 0xba1345e1, v66
	v_fmaak_f32 v44, v43, v44, 0xbcdac9b8
	v_fmaak_f32 v44, v43, v44, 0x3de703be
	;; [unrolled: 1-line block ×4, first 2 shown]
	v_fma_f32 v43, |v42|, v43, |v42|
; %bb.41:                               ;   in Loop: Header=BB357_9 Depth=1
	s_or_b64 exec, exec, s[14:15]
	v_bfi_b32 v37, s38, v40, v37
	v_add_f32_e32 v24, v24, v28
	v_mul_f32_e32 v36, 0.5, v36
	v_add_f32_e32 v37, 1.0, v37
	v_add_f32_e32 v34, v34, v38
	v_bfi_b32 v38, s38, v43, v42
	v_mul_f32_e32 v28, 0x3f3504f3, v24
	v_mul_f32_e32 v36, v36, v37
	v_add_f32_e32 v35, v35, v39
	v_mul_f32_e32 v37, 0.5, v41
	v_add_f32_e32 v38, 1.0, v38
	v_cmp_nlt_f32_e64 s[14:15], |v28|, 1.0
	v_mul_f32_e32 v37, v37, v38
	;;#ASMSTART
	v_pk_mul_f32 v[34:35], v[36:37], v[34:35]
	;;#ASMEND
                                        ; implicit-def: $vgpr36
	s_and_saveexec_b64 s[40:41], s[14:15]
	s_xor_b64 s[14:15], exec, s[40:41]
	s_cbranch_execz .LBB357_43
; %bb.42:                               ;   in Loop: Header=BB357_9 Depth=1
	v_fma_f32 v36, |v28|, s28, v67
	v_fma_f32 v36, |v28|, v36, s29
	;; [unrolled: 1-line block ×6, first 2 shown]
	v_fma_f32 v36, |v28|, v36, |v28|
	v_mul_f32_e32 v37, 0xbfb8aa3b, v36
	v_fma_f32 v38, v36, s35, -v37
	v_rndne_f32_e32 v39, v37
	v_fmac_f32_e32 v38, 0xb2a5705f, v36
	v_sub_f32_e32 v37, v37, v39
	v_add_f32_e32 v37, v37, v38
	v_cvt_i32_f32_e32 v38, v39
	v_exp_f32_e32 v37, v37
	v_cmp_nlt_f32_e32 vcc, s36, v36
	v_ldexp_f32 v37, v37, v38
	s_nop 0
	v_cndmask_b32_e32 v37, 0, v37, vcc
	v_cmp_ngt_f32_e32 vcc, s37, v36
	s_nop 1
	v_cndmask_b32_e32 v36, v68, v37, vcc
	v_sub_f32_e32 v36, 1.0, v36
.LBB357_43:                             ;   in Loop: Header=BB357_9 Depth=1
	s_andn2_saveexec_b64 s[14:15], s[14:15]
; %bb.44:                               ;   in Loop: Header=BB357_9 Depth=1
	v_mul_f32_e32 v36, v28, v28
	v_fmamk_f32 v37, v36, 0xba1345e1, v66
	v_fmaak_f32 v37, v36, v37, 0xbcdac9b8
	v_fmaak_f32 v37, v36, v37, 0x3de703be
	;; [unrolled: 1-line block ×4, first 2 shown]
	v_fma_f32 v36, |v28|, v36, |v28|
; %bb.45:                               ;   in Loop: Header=BB357_9 Depth=1
	s_or_b64 exec, exec, s[14:15]
	v_add_f32_e32 v25, v25, v29
	v_mul_f32_e32 v29, 0x3f3504f3, v25
	v_cmp_nlt_f32_e64 s[14:15], |v29|, 1.0
                                        ; implicit-def: $vgpr37
	s_and_saveexec_b64 s[40:41], s[14:15]
	s_xor_b64 s[14:15], exec, s[40:41]
	s_cbranch_execz .LBB357_47
; %bb.46:                               ;   in Loop: Header=BB357_9 Depth=1
	v_fma_f32 v37, |v29|, s28, v67
	v_fma_f32 v37, |v29|, v37, s29
	;; [unrolled: 1-line block ×6, first 2 shown]
	v_fma_f32 v37, |v29|, v37, |v29|
	v_mul_f32_e32 v38, 0xbfb8aa3b, v37
	v_fma_f32 v39, v37, s35, -v38
	v_rndne_f32_e32 v40, v38
	v_fmac_f32_e32 v39, 0xb2a5705f, v37
	v_sub_f32_e32 v38, v38, v40
	v_add_f32_e32 v38, v38, v39
	v_cvt_i32_f32_e32 v39, v40
	v_exp_f32_e32 v38, v38
	v_cmp_nlt_f32_e32 vcc, s36, v37
	v_ldexp_f32 v38, v38, v39
	s_nop 0
	v_cndmask_b32_e32 v38, 0, v38, vcc
	v_cmp_ngt_f32_e32 vcc, s37, v37
	s_nop 1
	v_cndmask_b32_e32 v37, v68, v38, vcc
	v_sub_f32_e32 v37, 1.0, v37
.LBB357_47:                             ;   in Loop: Header=BB357_9 Depth=1
	s_andn2_saveexec_b64 s[14:15], s[14:15]
; %bb.48:                               ;   in Loop: Header=BB357_9 Depth=1
	v_mul_f32_e32 v37, v29, v29
	v_fmamk_f32 v38, v37, 0xba1345e1, v66
	v_fmaak_f32 v38, v37, v38, 0xbcdac9b8
	v_fmaak_f32 v38, v37, v38, 0x3de703be
	;; [unrolled: 1-line block ×4, first 2 shown]
	v_fma_f32 v37, |v29|, v37, |v29|
; %bb.49:                               ;   in Loop: Header=BB357_9 Depth=1
	s_or_b64 exec, exec, s[14:15]
	s_waitcnt vmcnt(1)
	v_add_f32_e32 v17, v17, v21
	v_bfi_b32 v21, s38, v37, v29
	v_add_f32_e32 v16, v16, v20
	v_mul_f32_e32 v20, 0.5, v25
	v_add_f32_e32 v21, 1.0, v21
	v_bfi_b32 v28, s38, v36, v28
	v_mul_f32_e32 v25, v20, v21
	v_add_f32_e32 v20, v26, v30
	v_mul_f32_e32 v24, 0.5, v24
	v_add_f32_e32 v28, 1.0, v28
	v_mul_f32_e32 v21, 0x3f3504f3, v20
	v_mul_f32_e32 v24, v24, v28
	v_cmp_nlt_f32_e64 s[14:15], |v21|, 1.0
	;;#ASMSTART
	v_pk_mul_f32 v[16:17], v[24:25], v[16:17]
	;;#ASMEND
                                        ; implicit-def: $vgpr24
	s_and_saveexec_b64 s[40:41], s[14:15]
	s_xor_b64 s[14:15], exec, s[40:41]
	s_cbranch_execz .LBB357_51
; %bb.50:                               ;   in Loop: Header=BB357_9 Depth=1
	v_fma_f32 v24, |v21|, s28, v67
	v_fma_f32 v24, |v21|, v24, s29
	;; [unrolled: 1-line block ×6, first 2 shown]
	v_fma_f32 v24, |v21|, v24, |v21|
	v_mul_f32_e32 v25, 0xbfb8aa3b, v24
	v_fma_f32 v26, v24, s35, -v25
	v_rndne_f32_e32 v28, v25
	v_fmac_f32_e32 v26, 0xb2a5705f, v24
	v_sub_f32_e32 v25, v25, v28
	v_add_f32_e32 v25, v25, v26
	v_cvt_i32_f32_e32 v26, v28
	v_exp_f32_e32 v25, v25
	v_cmp_nlt_f32_e32 vcc, s36, v24
	v_ldexp_f32 v25, v25, v26
	s_nop 0
	v_cndmask_b32_e32 v25, 0, v25, vcc
	v_cmp_ngt_f32_e32 vcc, s37, v24
	s_nop 1
	v_cndmask_b32_e32 v24, v68, v25, vcc
	v_sub_f32_e32 v24, 1.0, v24
.LBB357_51:                             ;   in Loop: Header=BB357_9 Depth=1
	s_andn2_saveexec_b64 s[14:15], s[14:15]
; %bb.52:                               ;   in Loop: Header=BB357_9 Depth=1
	v_mul_f32_e32 v24, v21, v21
	v_fmamk_f32 v25, v24, 0xba1345e1, v66
	v_fmaak_f32 v25, v24, v25, 0xbcdac9b8
	v_fmaak_f32 v25, v24, v25, 0x3de703be
	;; [unrolled: 1-line block ×4, first 2 shown]
	v_fma_f32 v24, |v21|, v24, |v21|
; %bb.53:                               ;   in Loop: Header=BB357_9 Depth=1
	s_or_b64 exec, exec, s[14:15]
	v_add_f32_e32 v25, v27, v31
	v_mul_f32_e32 v26, 0x3f3504f3, v25
	v_cmp_nlt_f32_e64 s[14:15], |v26|, 1.0
                                        ; implicit-def: $vgpr27
	s_and_saveexec_b64 s[40:41], s[14:15]
	s_xor_b64 s[14:15], exec, s[40:41]
	s_cbranch_execz .LBB357_55
; %bb.54:                               ;   in Loop: Header=BB357_9 Depth=1
	v_fma_f32 v27, |v26|, s28, v67
	v_fma_f32 v27, |v26|, v27, s29
	;; [unrolled: 1-line block ×6, first 2 shown]
	v_fma_f32 v27, |v26|, v27, |v26|
	v_mul_f32_e32 v28, 0xbfb8aa3b, v27
	v_fma_f32 v29, v27, s35, -v28
	v_rndne_f32_e32 v30, v28
	v_fmac_f32_e32 v29, 0xb2a5705f, v27
	v_sub_f32_e32 v28, v28, v30
	v_add_f32_e32 v28, v28, v29
	v_cvt_i32_f32_e32 v29, v30
	v_exp_f32_e32 v28, v28
	v_cmp_nlt_f32_e32 vcc, s36, v27
	v_ldexp_f32 v28, v28, v29
	s_nop 0
	v_cndmask_b32_e32 v28, 0, v28, vcc
	v_cmp_ngt_f32_e32 vcc, s37, v27
	s_nop 1
	v_cndmask_b32_e32 v27, v68, v28, vcc
	v_sub_f32_e32 v27, 1.0, v27
.LBB357_55:                             ;   in Loop: Header=BB357_9 Depth=1
	s_andn2_saveexec_b64 s[14:15], s[14:15]
; %bb.56:                               ;   in Loop: Header=BB357_9 Depth=1
	v_mul_f32_e32 v27, v26, v26
	v_fmamk_f32 v28, v27, 0xba1345e1, v66
	v_fmaak_f32 v28, v27, v28, 0xbcdac9b8
	v_fmaak_f32 v28, v27, v28, 0x3de703be
	;; [unrolled: 1-line block ×4, first 2 shown]
	v_fma_f32 v27, |v26|, v27, |v26|
; %bb.57:                               ;   in Loop: Header=BB357_9 Depth=1
	s_or_b64 exec, exec, s[14:15]
	v_bfi_b32 v21, s38, v24, v21
	v_add_f32_e32 v8, v8, v12
	v_mul_f32_e32 v20, 0.5, v20
	v_add_f32_e32 v21, 1.0, v21
	v_add_f32_e32 v18, v18, v22
	v_bfi_b32 v22, s38, v27, v26
	v_mul_f32_e32 v12, 0x3f3504f3, v8
	v_mul_f32_e32 v20, v20, v21
	v_add_f32_e32 v19, v19, v23
	v_mul_f32_e32 v21, 0.5, v25
	v_add_f32_e32 v22, 1.0, v22
	v_cmp_nlt_f32_e64 s[14:15], |v12|, 1.0
	v_mul_f32_e32 v21, v21, v22
	;;#ASMSTART
	v_pk_mul_f32 v[18:19], v[20:21], v[18:19]
	;;#ASMEND
                                        ; implicit-def: $vgpr20
	s_and_saveexec_b64 s[40:41], s[14:15]
	s_xor_b64 s[14:15], exec, s[40:41]
	s_cbranch_execz .LBB357_59
; %bb.58:                               ;   in Loop: Header=BB357_9 Depth=1
	v_fma_f32 v20, |v12|, s28, v67
	v_fma_f32 v20, |v12|, v20, s29
	;; [unrolled: 1-line block ×6, first 2 shown]
	v_fma_f32 v20, |v12|, v20, |v12|
	v_mul_f32_e32 v21, 0xbfb8aa3b, v20
	v_fma_f32 v22, v20, s35, -v21
	v_rndne_f32_e32 v23, v21
	v_fmac_f32_e32 v22, 0xb2a5705f, v20
	v_sub_f32_e32 v21, v21, v23
	v_add_f32_e32 v21, v21, v22
	v_cvt_i32_f32_e32 v22, v23
	v_exp_f32_e32 v21, v21
	v_cmp_nlt_f32_e32 vcc, s36, v20
	v_ldexp_f32 v21, v21, v22
	s_nop 0
	v_cndmask_b32_e32 v21, 0, v21, vcc
	v_cmp_ngt_f32_e32 vcc, s37, v20
	s_nop 1
	v_cndmask_b32_e32 v20, v68, v21, vcc
	v_sub_f32_e32 v20, 1.0, v20
.LBB357_59:                             ;   in Loop: Header=BB357_9 Depth=1
	s_andn2_saveexec_b64 s[14:15], s[14:15]
; %bb.60:                               ;   in Loop: Header=BB357_9 Depth=1
	v_mul_f32_e32 v20, v12, v12
	v_fmamk_f32 v21, v20, 0xba1345e1, v66
	v_fmaak_f32 v21, v20, v21, 0xbcdac9b8
	v_fmaak_f32 v21, v20, v21, 0x3de703be
	v_fmaak_f32 v21, v20, v21, 0xbec09330
	v_fmaak_f32 v20, v20, v21, 0x3e0375d0
	v_fma_f32 v20, |v12|, v20, |v12|
; %bb.61:                               ;   in Loop: Header=BB357_9 Depth=1
	s_or_b64 exec, exec, s[14:15]
	v_add_f32_e32 v9, v9, v13
	v_mul_f32_e32 v13, 0x3f3504f3, v9
	v_cmp_nlt_f32_e64 s[14:15], |v13|, 1.0
                                        ; implicit-def: $vgpr21
	s_and_saveexec_b64 s[40:41], s[14:15]
	s_xor_b64 s[14:15], exec, s[40:41]
	s_cbranch_execz .LBB357_63
; %bb.62:                               ;   in Loop: Header=BB357_9 Depth=1
	v_fma_f32 v21, |v13|, s28, v67
	v_fma_f32 v21, |v13|, v21, s29
	;; [unrolled: 1-line block ×6, first 2 shown]
	v_fma_f32 v21, |v13|, v21, |v13|
	v_mul_f32_e32 v22, 0xbfb8aa3b, v21
	v_fma_f32 v23, v21, s35, -v22
	v_rndne_f32_e32 v24, v22
	v_fmac_f32_e32 v23, 0xb2a5705f, v21
	v_sub_f32_e32 v22, v22, v24
	v_add_f32_e32 v22, v22, v23
	v_cvt_i32_f32_e32 v23, v24
	v_exp_f32_e32 v22, v22
	v_cmp_nlt_f32_e32 vcc, s36, v21
	v_ldexp_f32 v22, v22, v23
	s_nop 0
	v_cndmask_b32_e32 v22, 0, v22, vcc
	v_cmp_ngt_f32_e32 vcc, s37, v21
	s_nop 1
	v_cndmask_b32_e32 v21, v68, v22, vcc
	v_sub_f32_e32 v21, 1.0, v21
.LBB357_63:                             ;   in Loop: Header=BB357_9 Depth=1
	s_andn2_saveexec_b64 s[14:15], s[14:15]
; %bb.64:                               ;   in Loop: Header=BB357_9 Depth=1
	v_mul_f32_e32 v21, v13, v13
	v_fmamk_f32 v22, v21, 0xba1345e1, v66
	v_fmaak_f32 v22, v21, v22, 0xbcdac9b8
	v_fmaak_f32 v22, v21, v22, 0x3de703be
	v_fmaak_f32 v22, v21, v22, 0xbec09330
	v_fmaak_f32 v21, v21, v22, 0x3e0375d0
	v_fma_f32 v21, |v13|, v21, |v13|
; %bb.65:                               ;   in Loop: Header=BB357_9 Depth=1
	s_or_b64 exec, exec, s[14:15]
	s_waitcnt vmcnt(0)
	v_add_f32_e32 v1, v1, v5
	v_bfi_b32 v5, s38, v21, v13
	v_add_f32_e32 v0, v0, v4
	v_mul_f32_e32 v4, 0.5, v9
	v_add_f32_e32 v5, 1.0, v5
	v_bfi_b32 v12, s38, v20, v12
	v_mul_f32_e32 v9, v4, v5
	v_add_f32_e32 v4, v10, v14
	v_mul_f32_e32 v8, 0.5, v8
	v_add_f32_e32 v12, 1.0, v12
	v_mul_f32_e32 v5, 0x3f3504f3, v4
	v_mul_f32_e32 v8, v8, v12
	v_cmp_nlt_f32_e64 s[14:15], |v5|, 1.0
	;;#ASMSTART
	v_pk_mul_f32 v[0:1], v[8:9], v[0:1]
	;;#ASMEND
                                        ; implicit-def: $vgpr8
	s_and_saveexec_b64 s[40:41], s[14:15]
	s_xor_b64 s[14:15], exec, s[40:41]
	s_cbranch_execz .LBB357_67
; %bb.66:                               ;   in Loop: Header=BB357_9 Depth=1
	v_fma_f32 v8, |v5|, s28, v67
	v_fma_f32 v8, |v5|, v8, s29
	;; [unrolled: 1-line block ×6, first 2 shown]
	v_fma_f32 v8, |v5|, v8, |v5|
	v_mul_f32_e32 v9, 0xbfb8aa3b, v8
	v_fma_f32 v10, v8, s35, -v9
	v_rndne_f32_e32 v12, v9
	v_fmac_f32_e32 v10, 0xb2a5705f, v8
	v_sub_f32_e32 v9, v9, v12
	v_add_f32_e32 v9, v9, v10
	v_cvt_i32_f32_e32 v10, v12
	v_exp_f32_e32 v9, v9
	v_cmp_nlt_f32_e32 vcc, s36, v8
	v_ldexp_f32 v9, v9, v10
	s_nop 0
	v_cndmask_b32_e32 v9, 0, v9, vcc
	v_cmp_ngt_f32_e32 vcc, s37, v8
	s_nop 1
	v_cndmask_b32_e32 v8, v68, v9, vcc
	v_sub_f32_e32 v8, 1.0, v8
.LBB357_67:                             ;   in Loop: Header=BB357_9 Depth=1
	s_andn2_saveexec_b64 s[14:15], s[14:15]
; %bb.68:                               ;   in Loop: Header=BB357_9 Depth=1
	v_mul_f32_e32 v8, v5, v5
	v_fmamk_f32 v9, v8, 0xba1345e1, v66
	v_fmaak_f32 v9, v8, v9, 0xbcdac9b8
	v_fmaak_f32 v9, v8, v9, 0x3de703be
	;; [unrolled: 1-line block ×4, first 2 shown]
	v_fma_f32 v8, |v5|, v8, |v5|
; %bb.69:                               ;   in Loop: Header=BB357_9 Depth=1
	s_or_b64 exec, exec, s[14:15]
	v_add_f32_e32 v9, v11, v15
	v_mul_f32_e32 v10, 0x3f3504f3, v9
	v_cmp_nlt_f32_e64 s[14:15], |v10|, 1.0
                                        ; implicit-def: $vgpr11
	s_and_saveexec_b64 s[40:41], s[14:15]
	s_xor_b64 s[14:15], exec, s[40:41]
	s_cbranch_execz .LBB357_71
; %bb.70:                               ;   in Loop: Header=BB357_9 Depth=1
	v_fma_f32 v11, |v10|, s28, v67
	v_fma_f32 v11, |v10|, v11, s29
	;; [unrolled: 1-line block ×6, first 2 shown]
	v_fma_f32 v11, |v10|, v11, |v10|
	v_mul_f32_e32 v12, 0xbfb8aa3b, v11
	v_fma_f32 v13, v11, s35, -v12
	v_rndne_f32_e32 v14, v12
	v_fmac_f32_e32 v13, 0xb2a5705f, v11
	v_sub_f32_e32 v12, v12, v14
	v_add_f32_e32 v12, v12, v13
	v_cvt_i32_f32_e32 v13, v14
	v_exp_f32_e32 v12, v12
	v_cmp_nlt_f32_e32 vcc, s36, v11
	v_ldexp_f32 v12, v12, v13
	s_nop 0
	v_cndmask_b32_e32 v12, 0, v12, vcc
	v_cmp_ngt_f32_e32 vcc, s37, v11
	s_nop 1
	v_cndmask_b32_e32 v11, v68, v12, vcc
	v_sub_f32_e32 v11, 1.0, v11
.LBB357_71:                             ;   in Loop: Header=BB357_9 Depth=1
	s_andn2_saveexec_b64 s[14:15], s[14:15]
	s_cbranch_execz .LBB357_8
; %bb.72:                               ;   in Loop: Header=BB357_9 Depth=1
	v_mul_f32_e32 v11, v10, v10
	v_fmamk_f32 v12, v11, 0xba1345e1, v66
	v_fmaak_f32 v12, v11, v12, 0xbcdac9b8
	v_fmaak_f32 v12, v11, v12, 0x3de703be
	;; [unrolled: 1-line block ×4, first 2 shown]
	v_fma_f32 v11, |v10|, v11, |v10|
	s_branch .LBB357_8
.LBB357_73:
	s_endpgm
	.section	.rodata,"a",@progbits
	.p2align	6, 0x0
	.amdhsa_kernel _ZN5aiter23act_and_mul_bias_kernelIfDF16_hfTnPFfRKT2_EXadL_ZNS_11gelu_kernelIfEEfRKT_EELi16EEEvPT0_PS8_PKT1_PS2_il
		.amdhsa_group_segment_fixed_size 0
		.amdhsa_private_segment_fixed_size 0
		.amdhsa_kernarg_size 304
		.amdhsa_user_sgpr_count 2
		.amdhsa_user_sgpr_dispatch_ptr 0
		.amdhsa_user_sgpr_queue_ptr 0
		.amdhsa_user_sgpr_kernarg_segment_ptr 1
		.amdhsa_user_sgpr_dispatch_id 0
		.amdhsa_user_sgpr_kernarg_preload_length 0
		.amdhsa_user_sgpr_kernarg_preload_offset 0
		.amdhsa_user_sgpr_private_segment_size 0
		.amdhsa_uses_dynamic_stack 0
		.amdhsa_enable_private_segment 0
		.amdhsa_system_sgpr_workgroup_id_x 1
		.amdhsa_system_sgpr_workgroup_id_y 0
		.amdhsa_system_sgpr_workgroup_id_z 0
		.amdhsa_system_sgpr_workgroup_info 0
		.amdhsa_system_vgpr_workitem_id 0
		.amdhsa_next_free_vgpr 74
		.amdhsa_next_free_sgpr 42
		.amdhsa_accum_offset 76
		.amdhsa_reserve_vcc 1
		.amdhsa_float_round_mode_32 0
		.amdhsa_float_round_mode_16_64 0
		.amdhsa_float_denorm_mode_32 3
		.amdhsa_float_denorm_mode_16_64 3
		.amdhsa_dx10_clamp 1
		.amdhsa_ieee_mode 1
		.amdhsa_fp16_overflow 0
		.amdhsa_tg_split 0
		.amdhsa_exception_fp_ieee_invalid_op 0
		.amdhsa_exception_fp_denorm_src 0
		.amdhsa_exception_fp_ieee_div_zero 0
		.amdhsa_exception_fp_ieee_overflow 0
		.amdhsa_exception_fp_ieee_underflow 0
		.amdhsa_exception_fp_ieee_inexact 0
		.amdhsa_exception_int_div_zero 0
	.end_amdhsa_kernel
	.section	.text._ZN5aiter23act_and_mul_bias_kernelIfDF16_hfTnPFfRKT2_EXadL_ZNS_11gelu_kernelIfEEfRKT_EELi16EEEvPT0_PS8_PKT1_PS2_il,"axG",@progbits,_ZN5aiter23act_and_mul_bias_kernelIfDF16_hfTnPFfRKT2_EXadL_ZNS_11gelu_kernelIfEEfRKT_EELi16EEEvPT0_PS8_PKT1_PS2_il,comdat
.Lfunc_end357:
	.size	_ZN5aiter23act_and_mul_bias_kernelIfDF16_hfTnPFfRKT2_EXadL_ZNS_11gelu_kernelIfEEfRKT_EELi16EEEvPT0_PS8_PKT1_PS2_il, .Lfunc_end357-_ZN5aiter23act_and_mul_bias_kernelIfDF16_hfTnPFfRKT2_EXadL_ZNS_11gelu_kernelIfEEfRKT_EELi16EEEvPT0_PS8_PKT1_PS2_il
                                        ; -- End function
	.section	.AMDGPU.csdata,"",@progbits
; Kernel info:
; codeLenInByte = 5064
; NumSgprs: 48
; NumVgprs: 74
; NumAgprs: 0
; TotalNumVgprs: 74
; ScratchSize: 0
; MemoryBound: 0
; FloatMode: 240
; IeeeMode: 1
; LDSByteSize: 0 bytes/workgroup (compile time only)
; SGPRBlocks: 5
; VGPRBlocks: 9
; NumSGPRsForWavesPerEU: 48
; NumVGPRsForWavesPerEU: 74
; AccumOffset: 76
; Occupancy: 6
; WaveLimiterHint : 0
; COMPUTE_PGM_RSRC2:SCRATCH_EN: 0
; COMPUTE_PGM_RSRC2:USER_SGPR: 2
; COMPUTE_PGM_RSRC2:TRAP_HANDLER: 0
; COMPUTE_PGM_RSRC2:TGID_X_EN: 1
; COMPUTE_PGM_RSRC2:TGID_Y_EN: 0
; COMPUTE_PGM_RSRC2:TGID_Z_EN: 0
; COMPUTE_PGM_RSRC2:TIDIG_COMP_CNT: 0
; COMPUTE_PGM_RSRC3_GFX90A:ACCUM_OFFSET: 18
; COMPUTE_PGM_RSRC3_GFX90A:TG_SPLIT: 0
	.section	.text._ZN5aiter23act_and_mul_bias_kernelIfDF16_hfTnPFfRKT2_EXadL_ZNS_11gelu_kernelIfEEfRKT_EELi8EEEvPT0_PS8_PKT1_PS2_il,"axG",@progbits,_ZN5aiter23act_and_mul_bias_kernelIfDF16_hfTnPFfRKT2_EXadL_ZNS_11gelu_kernelIfEEfRKT_EELi8EEEvPT0_PS8_PKT1_PS2_il,comdat
	.protected	_ZN5aiter23act_and_mul_bias_kernelIfDF16_hfTnPFfRKT2_EXadL_ZNS_11gelu_kernelIfEEfRKT_EELi8EEEvPT0_PS8_PKT1_PS2_il ; -- Begin function _ZN5aiter23act_and_mul_bias_kernelIfDF16_hfTnPFfRKT2_EXadL_ZNS_11gelu_kernelIfEEfRKT_EELi8EEEvPT0_PS8_PKT1_PS2_il
	.globl	_ZN5aiter23act_and_mul_bias_kernelIfDF16_hfTnPFfRKT2_EXadL_ZNS_11gelu_kernelIfEEfRKT_EELi8EEEvPT0_PS8_PKT1_PS2_il
	.p2align	8
	.type	_ZN5aiter23act_and_mul_bias_kernelIfDF16_hfTnPFfRKT2_EXadL_ZNS_11gelu_kernelIfEEfRKT_EELi8EEEvPT0_PS8_PKT1_PS2_il,@function
_ZN5aiter23act_and_mul_bias_kernelIfDF16_hfTnPFfRKT2_EXadL_ZNS_11gelu_kernelIfEEfRKT_EELi8EEEvPT0_PS8_PKT1_PS2_il: ; @_ZN5aiter23act_and_mul_bias_kernelIfDF16_hfTnPFfRKT2_EXadL_ZNS_11gelu_kernelIfEEfRKT_EELi8EEEvPT0_PS8_PKT1_PS2_il
; %bb.0:
	s_load_dwordx2 s[4:5], s[0:1], 0x10
	s_load_dword s24, s[0:1], 0x20
	s_load_dwordx2 s[6:7], s[0:1], 0x28
	v_mov_b32_e32 v1, s2
	s_mov_b32 s9, 0
	s_waitcnt lgkmcnt(0)
	global_load_ubyte v1, v1, s[4:5]
	s_load_dwordx2 s[4:5], s[0:1], 0x0
	s_ashr_i32 s25, s24, 31
	s_mul_hi_u32 s3, s24, s2
	v_mov_b64_e32 v[2:3], s[6:7]
	s_mul_i32 s6, s25, s2
	s_mul_i32 s12, s24, s2
	s_add_i32 s13, s3, s6
	s_lshl_b64 s[6:7], s[12:13], 1
	s_mov_b64 s[10:11], -1
	v_lshlrev_b32_e32 v32, 3, v0
	s_waitcnt vmcnt(0)
	v_readfirstlane_b32 s3, v1
	s_and_b32 s8, s3, 0xffff
	s_waitcnt lgkmcnt(0)
	s_add_u32 s4, s4, s6
	s_addc_u32 s3, s5, s7
	s_add_i32 s6, s24, 1
	s_lshr_b32 s7, s6, 31
	s_add_i32 s6, s6, s7
	v_cmp_lt_i64_e32 vcc, s[8:9], v[2:3]
	s_and_b32 s5, s3, 0xffff
	s_lshl_b32 s3, s6, 1
	s_and_b32 s6, s3, -4
	s_cbranch_vccnz .LBB358_5
; %bb.1:
	v_cmp_gt_i32_e32 vcc, s24, v32
	s_and_saveexec_b64 s[10:11], vcc
	s_cbranch_execz .LBB358_4
; %bb.2:
	s_load_dword s3, s[0:1], 0x3c
	v_mov_b32_e32 v33, 0
	s_mov_b32 s13, 0
	v_lshlrev_b32_e32 v6, 4, v0
	s_mov_b64 s[14:15], 0
	s_waitcnt lgkmcnt(0)
	s_and_b32 s3, s3, 0xffff
	s_lshl_b32 s12, s3, 3
	s_lshl_b32 s3, s3, 4
	s_mov_b32 s7, 0x20000
	v_mov_b32_e32 v0, v33
	v_mov_b32_e32 v1, v33
	;; [unrolled: 1-line block ×4, first 2 shown]
	v_mov_b64_e32 v[4:5], v[32:33]
.LBB358_3:                              ; =>This Inner Loop Header: Depth=1
	v_lshl_add_u64 v[4:5], s[12:13], 0, v[4:5]
	v_cmp_le_i64_e32 vcc, s[24:25], v[4:5]
	buffer_store_dwordx4 v[0:3], v6, s[4:7], 0 offen
	s_or_b64 s[14:15], vcc, s[14:15]
	v_add_u32_e32 v6, s3, v6
	s_andn2_b64 exec, exec, s[14:15]
	s_cbranch_execnz .LBB358_3
.LBB358_4:
	s_or_b64 exec, exec, s[10:11]
	s_mov_b64 s[10:11], 0
.LBB358_5:
	s_andn2_b64 vcc, exec, s[10:11]
	s_cbranch_vccnz .LBB358_41
; %bb.6:
	v_cmp_gt_i32_e32 vcc, s24, v32
	s_and_saveexec_b64 s[10:11], vcc
	s_cbranch_execz .LBB358_41
; %bb.7:
	s_load_dwordx2 s[14:15], s[0:1], 0x8
	s_load_dwordx2 s[12:13], s[0:1], 0x18
	s_mul_hi_i32 s9, s24, s8
	s_mul_i32 s8, s24, s8
	s_lshl_b32 s10, s24, 2
	s_lshl_b64 s[8:9], s[8:9], 3
	s_waitcnt lgkmcnt(0)
	s_add_u32 s8, s12, s8
	s_addc_u32 s3, s13, s9
	s_lshl_b64 s[18:19], s[24:25], 2
	s_add_u32 s12, s8, s18
	s_addc_u32 s13, s3, s19
	s_and_b32 s9, s3, 0xffff
	s_mul_i32 s3, s2, s25
	s_mul_hi_u32 s16, s2, s24
	s_add_i32 s3, s16, s3
	s_mul_i32 s2, s2, s24
	s_and_b32 s13, s13, 0xffff
	s_lshl_b64 s[2:3], s[2:3], 3
	s_add_u32 s16, s14, s2
	s_addc_u32 s2, s15, s3
	s_add_u32 s20, s16, s18
	s_addc_u32 s3, s2, s19
	s_and_b32 s17, s2, 0xffff
	s_and_b32 s21, s3, 0xffff
	s_mov_b32 s7, 0x20000
	s_add_u32 s0, s0, 48
	s_mov_b32 s11, s7
	v_mov_b32_e32 v33, 0
	s_addc_u32 s1, s1, 0
	s_mov_b64 s[2:3], 0
	s_mov_b32 s18, s10
	s_mov_b32 s19, s7
	s_mov_b32 s27, 0
	s_mov_b32 s28, 0x378e98ab
	s_mov_b32 s29, 0x3b7cd369
	s_mov_b32 s30, 0xbcc618b2
	s_mov_b32 s31, 0x3dda74e4
	s_mov_b32 s33, 0x3f228afd
	s_mov_b32 s34, 0x3e03c728
	s_mov_b32 s35, 0xbfb8aa3b
	s_mov_b32 s36, 0x42ce8ed0
	s_mov_b32 s37, 0xc2b17218
	v_mov_b32_e32 v34, 0x3ba10414
	s_brev_b32 s38, -2
	s_mov_b32 s22, s10
	s_mov_b32 s23, s7
	v_mov_b32_e32 v35, 0xb9c68948
	v_mov_b32_e32 v36, 0x7f800000
                                        ; implicit-def: $vgpr0
                                        ; implicit-def: $vgpr0
	;; [unrolled: 1-line block ×4, first 2 shown]
	s_branch .LBB358_9
.LBB358_8:                              ;   in Loop: Header=BB358_9 Depth=1
	s_or_b64 exec, exec, s[14:15]
	v_bfi_b32 v5, s38, v8, v5
	v_mul_f32_e32 v4, 0.5, v4
	v_add_f32_e32 v5, 1.0, v5
	v_add_f32_e32 v2, v2, v6
	v_bfi_b32 v6, s38, v11, v10
	v_mul_f32_e32 v4, v4, v5
	v_add_f32_e32 v3, v3, v7
	v_mul_f32_e32 v5, 0.5, v9
	v_add_f32_e32 v6, 1.0, v6
	v_mul_f32_e32 v5, v5, v6
	;;#ASMSTART
	v_pk_mul_f32 v[2:3], v[4:5], v[2:3]
	;;#ASMEND
	s_load_dword s14, s[0:1], 0xc
	v_cvt_f16_f32_e32 v12, v18
	v_cvt_f16_f32_e32 v2, v2
	;; [unrolled: 1-line block ×8, first 2 shown]
	s_waitcnt lgkmcnt(0)
	s_and_b32 s14, s14, 0xffff
	s_lshl_b32 s26, s14, 3
	v_pack_b32_f16 v3, v2, v3
	v_pack_b32_f16 v2, v0, v1
	;; [unrolled: 1-line block ×3, first 2 shown]
	v_lshlrev_b32_e32 v4, 1, v32
	v_lshl_add_u64 v[32:33], s[26:27], 0, v[32:33]
	v_cmp_le_i64_e32 vcc, s[24:25], v[32:33]
	v_pack_b32_f16 v0, v7, v8
	s_or_b64 s[2:3], vcc, s[2:3]
	buffer_store_dwordx4 v[0:3], v4, s[4:7], 0 offen
	s_andn2_b64 exec, exec, s[2:3]
	s_cbranch_execz .LBB358_41
.LBB358_9:                              ; =>This Inner Loop Header: Depth=1
	v_lshlrev_b32_e32 v37, 2, v32
	buffer_load_dwordx4 v[24:27], v37, s[16:19], 0 offen
	buffer_load_dwordx4 v[8:11], v37, s[16:19], 16 offen
	;; [unrolled: 1-line block ×6, first 2 shown]
	s_mov_b32 s14, s10
	s_mov_b32 s15, s11
	buffer_load_dwordx4 v[20:23], v37, s[12:15], 0 offen
	buffer_load_dwordx4 v[4:7], v37, s[12:15], 16 offen
                                        ; implicit-def: $vgpr37
	s_waitcnt vmcnt(3)
	v_add_f32_e32 v24, v24, v28
	v_mul_f32_e32 v28, 0x3f3504f3, v24
	v_cmp_nlt_f32_e64 s[14:15], |v28|, 1.0
	s_and_saveexec_b64 s[40:41], s[14:15]
	s_xor_b64 s[14:15], exec, s[40:41]
	s_cbranch_execz .LBB358_11
; %bb.10:                               ;   in Loop: Header=BB358_9 Depth=1
	v_fma_f32 v37, |v28|, s28, v35
	v_fma_f32 v37, |v28|, v37, s29
	;; [unrolled: 1-line block ×6, first 2 shown]
	v_fma_f32 v37, |v28|, v37, |v28|
	v_mul_f32_e32 v38, 0xbfb8aa3b, v37
	v_fma_f32 v39, v37, s35, -v38
	v_rndne_f32_e32 v40, v38
	v_fmac_f32_e32 v39, 0xb2a5705f, v37
	v_sub_f32_e32 v38, v38, v40
	v_add_f32_e32 v38, v38, v39
	v_cvt_i32_f32_e32 v39, v40
	v_exp_f32_e32 v38, v38
	v_cmp_nlt_f32_e32 vcc, s36, v37
	v_ldexp_f32 v38, v38, v39
	s_nop 0
	v_cndmask_b32_e32 v38, 0, v38, vcc
	v_cmp_ngt_f32_e32 vcc, s37, v37
	s_nop 1
	v_cndmask_b32_e32 v37, v36, v38, vcc
	v_sub_f32_e32 v37, 1.0, v37
.LBB358_11:                             ;   in Loop: Header=BB358_9 Depth=1
	s_andn2_saveexec_b64 s[14:15], s[14:15]
; %bb.12:                               ;   in Loop: Header=BB358_9 Depth=1
	v_mul_f32_e32 v37, v28, v28
	v_fmamk_f32 v38, v37, 0xba1345e1, v34
	v_fmaak_f32 v38, v37, v38, 0xbcdac9b8
	v_fmaak_f32 v38, v37, v38, 0x3de703be
	v_fmaak_f32 v38, v37, v38, 0xbec09330
	v_fmaak_f32 v37, v37, v38, 0x3e0375d0
	v_fma_f32 v37, |v28|, v37, |v28|
; %bb.13:                               ;   in Loop: Header=BB358_9 Depth=1
	s_or_b64 exec, exec, s[14:15]
	v_add_f32_e32 v25, v25, v29
	v_mul_f32_e32 v29, 0x3f3504f3, v25
	v_cmp_nlt_f32_e64 s[14:15], |v29|, 1.0
                                        ; implicit-def: $vgpr38
	s_and_saveexec_b64 s[40:41], s[14:15]
	s_xor_b64 s[14:15], exec, s[40:41]
	s_cbranch_execz .LBB358_15
; %bb.14:                               ;   in Loop: Header=BB358_9 Depth=1
	v_fma_f32 v38, |v29|, s28, v35
	v_fma_f32 v38, |v29|, v38, s29
	;; [unrolled: 1-line block ×6, first 2 shown]
	v_fma_f32 v38, |v29|, v38, |v29|
	v_mul_f32_e32 v39, 0xbfb8aa3b, v38
	v_fma_f32 v40, v38, s35, -v39
	v_rndne_f32_e32 v41, v39
	v_fmac_f32_e32 v40, 0xb2a5705f, v38
	v_sub_f32_e32 v39, v39, v41
	v_add_f32_e32 v39, v39, v40
	v_cvt_i32_f32_e32 v40, v41
	v_exp_f32_e32 v39, v39
	v_cmp_nlt_f32_e32 vcc, s36, v38
	v_ldexp_f32 v39, v39, v40
	s_nop 0
	v_cndmask_b32_e32 v39, 0, v39, vcc
	v_cmp_ngt_f32_e32 vcc, s37, v38
	s_nop 1
	v_cndmask_b32_e32 v38, v36, v39, vcc
	v_sub_f32_e32 v38, 1.0, v38
.LBB358_15:                             ;   in Loop: Header=BB358_9 Depth=1
	s_andn2_saveexec_b64 s[14:15], s[14:15]
; %bb.16:                               ;   in Loop: Header=BB358_9 Depth=1
	v_mul_f32_e32 v38, v29, v29
	v_fmamk_f32 v39, v38, 0xba1345e1, v34
	v_fmaak_f32 v39, v38, v39, 0xbcdac9b8
	v_fmaak_f32 v39, v38, v39, 0x3de703be
	;; [unrolled: 1-line block ×4, first 2 shown]
	v_fma_f32 v38, |v29|, v38, |v29|
; %bb.17:                               ;   in Loop: Header=BB358_9 Depth=1
	s_or_b64 exec, exec, s[14:15]
	s_waitcnt vmcnt(1)
	v_add_f32_e32 v17, v17, v21
	v_bfi_b32 v21, s38, v38, v29
	v_add_f32_e32 v16, v16, v20
	v_mul_f32_e32 v20, 0.5, v25
	v_add_f32_e32 v21, 1.0, v21
	v_bfi_b32 v28, s38, v37, v28
	v_mul_f32_e32 v25, v20, v21
	v_add_f32_e32 v20, v26, v30
	v_mul_f32_e32 v24, 0.5, v24
	v_add_f32_e32 v28, 1.0, v28
	v_mul_f32_e32 v21, 0x3f3504f3, v20
	v_mul_f32_e32 v24, v24, v28
	v_cmp_nlt_f32_e64 s[14:15], |v21|, 1.0
	;;#ASMSTART
	v_pk_mul_f32 v[16:17], v[24:25], v[16:17]
	;;#ASMEND
                                        ; implicit-def: $vgpr24
	s_and_saveexec_b64 s[40:41], s[14:15]
	s_xor_b64 s[14:15], exec, s[40:41]
	s_cbranch_execz .LBB358_19
; %bb.18:                               ;   in Loop: Header=BB358_9 Depth=1
	v_fma_f32 v24, |v21|, s28, v35
	v_fma_f32 v24, |v21|, v24, s29
	;; [unrolled: 1-line block ×6, first 2 shown]
	v_fma_f32 v24, |v21|, v24, |v21|
	v_mul_f32_e32 v25, 0xbfb8aa3b, v24
	v_fma_f32 v26, v24, s35, -v25
	v_rndne_f32_e32 v28, v25
	v_fmac_f32_e32 v26, 0xb2a5705f, v24
	v_sub_f32_e32 v25, v25, v28
	v_add_f32_e32 v25, v25, v26
	v_cvt_i32_f32_e32 v26, v28
	v_exp_f32_e32 v25, v25
	v_cmp_nlt_f32_e32 vcc, s36, v24
	v_ldexp_f32 v25, v25, v26
	s_nop 0
	v_cndmask_b32_e32 v25, 0, v25, vcc
	v_cmp_ngt_f32_e32 vcc, s37, v24
	s_nop 1
	v_cndmask_b32_e32 v24, v36, v25, vcc
	v_sub_f32_e32 v24, 1.0, v24
.LBB358_19:                             ;   in Loop: Header=BB358_9 Depth=1
	s_andn2_saveexec_b64 s[14:15], s[14:15]
; %bb.20:                               ;   in Loop: Header=BB358_9 Depth=1
	v_mul_f32_e32 v24, v21, v21
	v_fmamk_f32 v25, v24, 0xba1345e1, v34
	v_fmaak_f32 v25, v24, v25, 0xbcdac9b8
	v_fmaak_f32 v25, v24, v25, 0x3de703be
	;; [unrolled: 1-line block ×4, first 2 shown]
	v_fma_f32 v24, |v21|, v24, |v21|
; %bb.21:                               ;   in Loop: Header=BB358_9 Depth=1
	s_or_b64 exec, exec, s[14:15]
	v_add_f32_e32 v25, v27, v31
	v_mul_f32_e32 v26, 0x3f3504f3, v25
	v_cmp_nlt_f32_e64 s[14:15], |v26|, 1.0
                                        ; implicit-def: $vgpr27
	s_and_saveexec_b64 s[40:41], s[14:15]
	s_xor_b64 s[14:15], exec, s[40:41]
	s_cbranch_execz .LBB358_23
; %bb.22:                               ;   in Loop: Header=BB358_9 Depth=1
	v_fma_f32 v27, |v26|, s28, v35
	v_fma_f32 v27, |v26|, v27, s29
	;; [unrolled: 1-line block ×6, first 2 shown]
	v_fma_f32 v27, |v26|, v27, |v26|
	v_mul_f32_e32 v28, 0xbfb8aa3b, v27
	v_fma_f32 v29, v27, s35, -v28
	v_rndne_f32_e32 v30, v28
	v_fmac_f32_e32 v29, 0xb2a5705f, v27
	v_sub_f32_e32 v28, v28, v30
	v_add_f32_e32 v28, v28, v29
	v_cvt_i32_f32_e32 v29, v30
	v_exp_f32_e32 v28, v28
	v_cmp_nlt_f32_e32 vcc, s36, v27
	v_ldexp_f32 v28, v28, v29
	s_nop 0
	v_cndmask_b32_e32 v28, 0, v28, vcc
	v_cmp_ngt_f32_e32 vcc, s37, v27
	s_nop 1
	v_cndmask_b32_e32 v27, v36, v28, vcc
	v_sub_f32_e32 v27, 1.0, v27
.LBB358_23:                             ;   in Loop: Header=BB358_9 Depth=1
	s_andn2_saveexec_b64 s[14:15], s[14:15]
; %bb.24:                               ;   in Loop: Header=BB358_9 Depth=1
	v_mul_f32_e32 v27, v26, v26
	v_fmamk_f32 v28, v27, 0xba1345e1, v34
	v_fmaak_f32 v28, v27, v28, 0xbcdac9b8
	v_fmaak_f32 v28, v27, v28, 0x3de703be
	;; [unrolled: 1-line block ×4, first 2 shown]
	v_fma_f32 v27, |v26|, v27, |v26|
; %bb.25:                               ;   in Loop: Header=BB358_9 Depth=1
	s_or_b64 exec, exec, s[14:15]
	v_bfi_b32 v21, s38, v24, v21
	v_add_f32_e32 v8, v8, v12
	v_mul_f32_e32 v20, 0.5, v20
	v_add_f32_e32 v21, 1.0, v21
	v_add_f32_e32 v18, v18, v22
	v_bfi_b32 v22, s38, v27, v26
	v_mul_f32_e32 v12, 0x3f3504f3, v8
	v_mul_f32_e32 v20, v20, v21
	v_add_f32_e32 v19, v19, v23
	v_mul_f32_e32 v21, 0.5, v25
	v_add_f32_e32 v22, 1.0, v22
	v_cmp_nlt_f32_e64 s[14:15], |v12|, 1.0
	v_mul_f32_e32 v21, v21, v22
	;;#ASMSTART
	v_pk_mul_f32 v[18:19], v[20:21], v[18:19]
	;;#ASMEND
                                        ; implicit-def: $vgpr20
	s_and_saveexec_b64 s[40:41], s[14:15]
	s_xor_b64 s[14:15], exec, s[40:41]
	s_cbranch_execz .LBB358_27
; %bb.26:                               ;   in Loop: Header=BB358_9 Depth=1
	v_fma_f32 v20, |v12|, s28, v35
	v_fma_f32 v20, |v12|, v20, s29
	;; [unrolled: 1-line block ×6, first 2 shown]
	v_fma_f32 v20, |v12|, v20, |v12|
	v_mul_f32_e32 v21, 0xbfb8aa3b, v20
	v_fma_f32 v22, v20, s35, -v21
	v_rndne_f32_e32 v23, v21
	v_fmac_f32_e32 v22, 0xb2a5705f, v20
	v_sub_f32_e32 v21, v21, v23
	v_add_f32_e32 v21, v21, v22
	v_cvt_i32_f32_e32 v22, v23
	v_exp_f32_e32 v21, v21
	v_cmp_nlt_f32_e32 vcc, s36, v20
	v_ldexp_f32 v21, v21, v22
	s_nop 0
	v_cndmask_b32_e32 v21, 0, v21, vcc
	v_cmp_ngt_f32_e32 vcc, s37, v20
	s_nop 1
	v_cndmask_b32_e32 v20, v36, v21, vcc
	v_sub_f32_e32 v20, 1.0, v20
.LBB358_27:                             ;   in Loop: Header=BB358_9 Depth=1
	s_andn2_saveexec_b64 s[14:15], s[14:15]
; %bb.28:                               ;   in Loop: Header=BB358_9 Depth=1
	v_mul_f32_e32 v20, v12, v12
	v_fmamk_f32 v21, v20, 0xba1345e1, v34
	v_fmaak_f32 v21, v20, v21, 0xbcdac9b8
	v_fmaak_f32 v21, v20, v21, 0x3de703be
	;; [unrolled: 1-line block ×4, first 2 shown]
	v_fma_f32 v20, |v12|, v20, |v12|
; %bb.29:                               ;   in Loop: Header=BB358_9 Depth=1
	s_or_b64 exec, exec, s[14:15]
	v_add_f32_e32 v9, v9, v13
	v_mul_f32_e32 v13, 0x3f3504f3, v9
	v_cmp_nlt_f32_e64 s[14:15], |v13|, 1.0
                                        ; implicit-def: $vgpr21
	s_and_saveexec_b64 s[40:41], s[14:15]
	s_xor_b64 s[14:15], exec, s[40:41]
	s_cbranch_execz .LBB358_31
; %bb.30:                               ;   in Loop: Header=BB358_9 Depth=1
	v_fma_f32 v21, |v13|, s28, v35
	v_fma_f32 v21, |v13|, v21, s29
	v_fma_f32 v21, |v13|, v21, s30
	v_fma_f32 v21, |v13|, v21, s31
	v_fma_f32 v21, |v13|, v21, s33
	v_fma_f32 v21, |v13|, v21, s34
	v_fma_f32 v21, |v13|, v21, |v13|
	v_mul_f32_e32 v22, 0xbfb8aa3b, v21
	v_fma_f32 v23, v21, s35, -v22
	v_rndne_f32_e32 v24, v22
	v_fmac_f32_e32 v23, 0xb2a5705f, v21
	v_sub_f32_e32 v22, v22, v24
	v_add_f32_e32 v22, v22, v23
	v_cvt_i32_f32_e32 v23, v24
	v_exp_f32_e32 v22, v22
	v_cmp_nlt_f32_e32 vcc, s36, v21
	v_ldexp_f32 v22, v22, v23
	s_nop 0
	v_cndmask_b32_e32 v22, 0, v22, vcc
	v_cmp_ngt_f32_e32 vcc, s37, v21
	s_nop 1
	v_cndmask_b32_e32 v21, v36, v22, vcc
	v_sub_f32_e32 v21, 1.0, v21
.LBB358_31:                             ;   in Loop: Header=BB358_9 Depth=1
	s_andn2_saveexec_b64 s[14:15], s[14:15]
; %bb.32:                               ;   in Loop: Header=BB358_9 Depth=1
	v_mul_f32_e32 v21, v13, v13
	v_fmamk_f32 v22, v21, 0xba1345e1, v34
	v_fmaak_f32 v22, v21, v22, 0xbcdac9b8
	v_fmaak_f32 v22, v21, v22, 0x3de703be
	;; [unrolled: 1-line block ×4, first 2 shown]
	v_fma_f32 v21, |v13|, v21, |v13|
; %bb.33:                               ;   in Loop: Header=BB358_9 Depth=1
	s_or_b64 exec, exec, s[14:15]
	s_waitcnt vmcnt(0)
	v_add_f32_e32 v1, v1, v5
	v_bfi_b32 v5, s38, v21, v13
	v_add_f32_e32 v0, v0, v4
	v_mul_f32_e32 v4, 0.5, v9
	v_add_f32_e32 v5, 1.0, v5
	v_bfi_b32 v12, s38, v20, v12
	v_mul_f32_e32 v9, v4, v5
	v_add_f32_e32 v4, v10, v14
	v_mul_f32_e32 v8, 0.5, v8
	v_add_f32_e32 v12, 1.0, v12
	v_mul_f32_e32 v5, 0x3f3504f3, v4
	v_mul_f32_e32 v8, v8, v12
	v_cmp_nlt_f32_e64 s[14:15], |v5|, 1.0
	;;#ASMSTART
	v_pk_mul_f32 v[0:1], v[8:9], v[0:1]
	;;#ASMEND
                                        ; implicit-def: $vgpr8
	s_and_saveexec_b64 s[40:41], s[14:15]
	s_xor_b64 s[14:15], exec, s[40:41]
	s_cbranch_execz .LBB358_35
; %bb.34:                               ;   in Loop: Header=BB358_9 Depth=1
	v_fma_f32 v8, |v5|, s28, v35
	v_fma_f32 v8, |v5|, v8, s29
	;; [unrolled: 1-line block ×6, first 2 shown]
	v_fma_f32 v8, |v5|, v8, |v5|
	v_mul_f32_e32 v9, 0xbfb8aa3b, v8
	v_fma_f32 v10, v8, s35, -v9
	v_rndne_f32_e32 v12, v9
	v_fmac_f32_e32 v10, 0xb2a5705f, v8
	v_sub_f32_e32 v9, v9, v12
	v_add_f32_e32 v9, v9, v10
	v_cvt_i32_f32_e32 v10, v12
	v_exp_f32_e32 v9, v9
	v_cmp_nlt_f32_e32 vcc, s36, v8
	v_ldexp_f32 v9, v9, v10
	s_nop 0
	v_cndmask_b32_e32 v9, 0, v9, vcc
	v_cmp_ngt_f32_e32 vcc, s37, v8
	s_nop 1
	v_cndmask_b32_e32 v8, v36, v9, vcc
	v_sub_f32_e32 v8, 1.0, v8
.LBB358_35:                             ;   in Loop: Header=BB358_9 Depth=1
	s_andn2_saveexec_b64 s[14:15], s[14:15]
; %bb.36:                               ;   in Loop: Header=BB358_9 Depth=1
	v_mul_f32_e32 v8, v5, v5
	v_fmamk_f32 v9, v8, 0xba1345e1, v34
	v_fmaak_f32 v9, v8, v9, 0xbcdac9b8
	v_fmaak_f32 v9, v8, v9, 0x3de703be
	v_fmaak_f32 v9, v8, v9, 0xbec09330
	v_fmaak_f32 v8, v8, v9, 0x3e0375d0
	v_fma_f32 v8, |v5|, v8, |v5|
; %bb.37:                               ;   in Loop: Header=BB358_9 Depth=1
	s_or_b64 exec, exec, s[14:15]
	v_add_f32_e32 v9, v11, v15
	v_mul_f32_e32 v10, 0x3f3504f3, v9
	v_cmp_nlt_f32_e64 s[14:15], |v10|, 1.0
                                        ; implicit-def: $vgpr11
	s_and_saveexec_b64 s[40:41], s[14:15]
	s_xor_b64 s[14:15], exec, s[40:41]
	s_cbranch_execz .LBB358_39
; %bb.38:                               ;   in Loop: Header=BB358_9 Depth=1
	v_fma_f32 v11, |v10|, s28, v35
	v_fma_f32 v11, |v10|, v11, s29
	;; [unrolled: 1-line block ×6, first 2 shown]
	v_fma_f32 v11, |v10|, v11, |v10|
	v_mul_f32_e32 v12, 0xbfb8aa3b, v11
	v_fma_f32 v13, v11, s35, -v12
	v_rndne_f32_e32 v14, v12
	v_fmac_f32_e32 v13, 0xb2a5705f, v11
	v_sub_f32_e32 v12, v12, v14
	v_add_f32_e32 v12, v12, v13
	v_cvt_i32_f32_e32 v13, v14
	v_exp_f32_e32 v12, v12
	v_cmp_nlt_f32_e32 vcc, s36, v11
	v_ldexp_f32 v12, v12, v13
	s_nop 0
	v_cndmask_b32_e32 v12, 0, v12, vcc
	v_cmp_ngt_f32_e32 vcc, s37, v11
	s_nop 1
	v_cndmask_b32_e32 v11, v36, v12, vcc
	v_sub_f32_e32 v11, 1.0, v11
.LBB358_39:                             ;   in Loop: Header=BB358_9 Depth=1
	s_andn2_saveexec_b64 s[14:15], s[14:15]
	s_cbranch_execz .LBB358_8
; %bb.40:                               ;   in Loop: Header=BB358_9 Depth=1
	v_mul_f32_e32 v11, v10, v10
	v_fmamk_f32 v12, v11, 0xba1345e1, v34
	v_fmaak_f32 v12, v11, v12, 0xbcdac9b8
	v_fmaak_f32 v12, v11, v12, 0x3de703be
	;; [unrolled: 1-line block ×4, first 2 shown]
	v_fma_f32 v11, |v10|, v11, |v10|
	s_branch .LBB358_8
.LBB358_41:
	s_endpgm
	.section	.rodata,"a",@progbits
	.p2align	6, 0x0
	.amdhsa_kernel _ZN5aiter23act_and_mul_bias_kernelIfDF16_hfTnPFfRKT2_EXadL_ZNS_11gelu_kernelIfEEfRKT_EELi8EEEvPT0_PS8_PKT1_PS2_il
		.amdhsa_group_segment_fixed_size 0
		.amdhsa_private_segment_fixed_size 0
		.amdhsa_kernarg_size 304
		.amdhsa_user_sgpr_count 2
		.amdhsa_user_sgpr_dispatch_ptr 0
		.amdhsa_user_sgpr_queue_ptr 0
		.amdhsa_user_sgpr_kernarg_segment_ptr 1
		.amdhsa_user_sgpr_dispatch_id 0
		.amdhsa_user_sgpr_kernarg_preload_length 0
		.amdhsa_user_sgpr_kernarg_preload_offset 0
		.amdhsa_user_sgpr_private_segment_size 0
		.amdhsa_uses_dynamic_stack 0
		.amdhsa_enable_private_segment 0
		.amdhsa_system_sgpr_workgroup_id_x 1
		.amdhsa_system_sgpr_workgroup_id_y 0
		.amdhsa_system_sgpr_workgroup_id_z 0
		.amdhsa_system_sgpr_workgroup_info 0
		.amdhsa_system_vgpr_workitem_id 0
		.amdhsa_next_free_vgpr 42
		.amdhsa_next_free_sgpr 42
		.amdhsa_accum_offset 44
		.amdhsa_reserve_vcc 1
		.amdhsa_float_round_mode_32 0
		.amdhsa_float_round_mode_16_64 0
		.amdhsa_float_denorm_mode_32 3
		.amdhsa_float_denorm_mode_16_64 3
		.amdhsa_dx10_clamp 1
		.amdhsa_ieee_mode 1
		.amdhsa_fp16_overflow 0
		.amdhsa_tg_split 0
		.amdhsa_exception_fp_ieee_invalid_op 0
		.amdhsa_exception_fp_denorm_src 0
		.amdhsa_exception_fp_ieee_div_zero 0
		.amdhsa_exception_fp_ieee_overflow 0
		.amdhsa_exception_fp_ieee_underflow 0
		.amdhsa_exception_fp_ieee_inexact 0
		.amdhsa_exception_int_div_zero 0
	.end_amdhsa_kernel
	.section	.text._ZN5aiter23act_and_mul_bias_kernelIfDF16_hfTnPFfRKT2_EXadL_ZNS_11gelu_kernelIfEEfRKT_EELi8EEEvPT0_PS8_PKT1_PS2_il,"axG",@progbits,_ZN5aiter23act_and_mul_bias_kernelIfDF16_hfTnPFfRKT2_EXadL_ZNS_11gelu_kernelIfEEfRKT_EELi8EEEvPT0_PS8_PKT1_PS2_il,comdat
.Lfunc_end358:
	.size	_ZN5aiter23act_and_mul_bias_kernelIfDF16_hfTnPFfRKT2_EXadL_ZNS_11gelu_kernelIfEEfRKT_EELi8EEEvPT0_PS8_PKT1_PS2_il, .Lfunc_end358-_ZN5aiter23act_and_mul_bias_kernelIfDF16_hfTnPFfRKT2_EXadL_ZNS_11gelu_kernelIfEEfRKT_EELi8EEEvPT0_PS8_PKT1_PS2_il
                                        ; -- End function
	.section	.AMDGPU.csdata,"",@progbits
; Kernel info:
; codeLenInByte = 2848
; NumSgprs: 48
; NumVgprs: 42
; NumAgprs: 0
; TotalNumVgprs: 42
; ScratchSize: 0
; MemoryBound: 0
; FloatMode: 240
; IeeeMode: 1
; LDSByteSize: 0 bytes/workgroup (compile time only)
; SGPRBlocks: 5
; VGPRBlocks: 5
; NumSGPRsForWavesPerEU: 48
; NumVGPRsForWavesPerEU: 42
; AccumOffset: 44
; Occupancy: 8
; WaveLimiterHint : 0
; COMPUTE_PGM_RSRC2:SCRATCH_EN: 0
; COMPUTE_PGM_RSRC2:USER_SGPR: 2
; COMPUTE_PGM_RSRC2:TRAP_HANDLER: 0
; COMPUTE_PGM_RSRC2:TGID_X_EN: 1
; COMPUTE_PGM_RSRC2:TGID_Y_EN: 0
; COMPUTE_PGM_RSRC2:TGID_Z_EN: 0
; COMPUTE_PGM_RSRC2:TIDIG_COMP_CNT: 0
; COMPUTE_PGM_RSRC3_GFX90A:ACCUM_OFFSET: 10
; COMPUTE_PGM_RSRC3_GFX90A:TG_SPLIT: 0
	.section	.text._ZN5aiter23act_and_mul_bias_kernelIfDF16_hfTnPFfRKT2_EXadL_ZNS_11gelu_kernelIfEEfRKT_EELi4EEEvPT0_PS8_PKT1_PS2_il,"axG",@progbits,_ZN5aiter23act_and_mul_bias_kernelIfDF16_hfTnPFfRKT2_EXadL_ZNS_11gelu_kernelIfEEfRKT_EELi4EEEvPT0_PS8_PKT1_PS2_il,comdat
	.protected	_ZN5aiter23act_and_mul_bias_kernelIfDF16_hfTnPFfRKT2_EXadL_ZNS_11gelu_kernelIfEEfRKT_EELi4EEEvPT0_PS8_PKT1_PS2_il ; -- Begin function _ZN5aiter23act_and_mul_bias_kernelIfDF16_hfTnPFfRKT2_EXadL_ZNS_11gelu_kernelIfEEfRKT_EELi4EEEvPT0_PS8_PKT1_PS2_il
	.globl	_ZN5aiter23act_and_mul_bias_kernelIfDF16_hfTnPFfRKT2_EXadL_ZNS_11gelu_kernelIfEEfRKT_EELi4EEEvPT0_PS8_PKT1_PS2_il
	.p2align	8
	.type	_ZN5aiter23act_and_mul_bias_kernelIfDF16_hfTnPFfRKT2_EXadL_ZNS_11gelu_kernelIfEEfRKT_EELi4EEEvPT0_PS8_PKT1_PS2_il,@function
_ZN5aiter23act_and_mul_bias_kernelIfDF16_hfTnPFfRKT2_EXadL_ZNS_11gelu_kernelIfEEfRKT_EELi4EEEvPT0_PS8_PKT1_PS2_il: ; @_ZN5aiter23act_and_mul_bias_kernelIfDF16_hfTnPFfRKT2_EXadL_ZNS_11gelu_kernelIfEEfRKT_EELi4EEEvPT0_PS8_PKT1_PS2_il
; %bb.0:
	s_load_dwordx2 s[4:5], s[0:1], 0x10
	s_load_dword s24, s[0:1], 0x20
	s_load_dwordx2 s[6:7], s[0:1], 0x28
	v_mov_b32_e32 v1, s2
	s_mov_b32 s9, 0
	s_waitcnt lgkmcnt(0)
	global_load_ubyte v1, v1, s[4:5]
	s_load_dwordx2 s[4:5], s[0:1], 0x0
	s_ashr_i32 s25, s24, 31
	s_mul_hi_u32 s3, s24, s2
	v_mov_b64_e32 v[2:3], s[6:7]
	s_mul_i32 s6, s25, s2
	s_mul_i32 s12, s24, s2
	s_add_i32 s13, s3, s6
	s_lshl_b64 s[6:7], s[12:13], 1
	s_mov_b64 s[10:11], -1
	v_lshlrev_b32_e32 v16, 2, v0
	s_waitcnt vmcnt(0)
	v_readfirstlane_b32 s3, v1
	s_and_b32 s8, s3, 0xffff
	s_waitcnt lgkmcnt(0)
	s_add_u32 s4, s4, s6
	s_addc_u32 s3, s5, s7
	s_add_i32 s6, s24, 1
	s_lshr_b32 s7, s6, 31
	s_add_i32 s6, s6, s7
	v_cmp_lt_i64_e32 vcc, s[8:9], v[2:3]
	s_and_b32 s5, s3, 0xffff
	s_lshl_b32 s3, s6, 1
	s_and_b32 s6, s3, -4
	s_cbranch_vccnz .LBB359_5
; %bb.1:
	v_cmp_gt_i32_e32 vcc, s24, v16
	s_and_saveexec_b64 s[10:11], vcc
	s_cbranch_execz .LBB359_4
; %bb.2:
	s_load_dword s3, s[0:1], 0x3c
	v_mov_b32_e32 v17, 0
	s_mov_b32 s13, 0
	v_lshlrev_b32_e32 v4, 3, v0
	s_mov_b64 s[14:15], 0
	s_waitcnt lgkmcnt(0)
	s_and_b32 s3, s3, 0xffff
	s_lshl_b32 s12, s3, 2
	s_lshl_b32 s3, s3, 3
	s_mov_b32 s7, 0x20000
	v_mov_b32_e32 v0, v17
	v_mov_b32_e32 v1, v17
	v_mov_b64_e32 v[2:3], v[16:17]
.LBB359_3:                              ; =>This Inner Loop Header: Depth=1
	v_lshl_add_u64 v[2:3], s[12:13], 0, v[2:3]
	v_cmp_le_i64_e32 vcc, s[24:25], v[2:3]
	buffer_store_dwordx2 v[0:1], v4, s[4:7], 0 offen
	s_or_b64 s[14:15], vcc, s[14:15]
	v_add_u32_e32 v4, s3, v4
	s_andn2_b64 exec, exec, s[14:15]
	s_cbranch_execnz .LBB359_3
.LBB359_4:
	s_or_b64 exec, exec, s[10:11]
	s_mov_b64 s[10:11], 0
.LBB359_5:
	s_andn2_b64 vcc, exec, s[10:11]
	s_cbranch_vccnz .LBB359_25
; %bb.6:
	v_cmp_gt_i32_e32 vcc, s24, v16
	s_and_saveexec_b64 s[10:11], vcc
	s_cbranch_execz .LBB359_25
; %bb.7:
	s_load_dwordx2 s[14:15], s[0:1], 0x8
	s_load_dwordx2 s[12:13], s[0:1], 0x18
	s_mul_hi_i32 s9, s24, s8
	s_mul_i32 s8, s24, s8
	s_lshl_b32 s10, s24, 2
	s_lshl_b64 s[8:9], s[8:9], 3
	s_waitcnt lgkmcnt(0)
	s_add_u32 s8, s12, s8
	s_addc_u32 s3, s13, s9
	s_lshl_b64 s[18:19], s[24:25], 2
	s_add_u32 s12, s8, s18
	s_addc_u32 s13, s3, s19
	s_and_b32 s9, s3, 0xffff
	s_mul_i32 s3, s2, s25
	s_mul_hi_u32 s16, s2, s24
	s_add_i32 s3, s16, s3
	s_mul_i32 s2, s2, s24
	s_and_b32 s13, s13, 0xffff
	s_lshl_b64 s[2:3], s[2:3], 3
	s_add_u32 s16, s14, s2
	s_addc_u32 s2, s15, s3
	s_add_u32 s20, s16, s18
	s_addc_u32 s3, s2, s19
	s_and_b32 s17, s2, 0xffff
	s_and_b32 s21, s3, 0xffff
	s_mov_b32 s7, 0x20000
	s_add_u32 s0, s0, 48
	s_mov_b32 s11, s7
	v_mov_b32_e32 v17, 0
	s_addc_u32 s1, s1, 0
	s_mov_b64 s[2:3], 0
	s_mov_b32 s18, s10
	s_mov_b32 s19, s7
	;; [unrolled: 1-line block ×12, first 2 shown]
	v_mov_b32_e32 v18, 0x3ba10414
	s_brev_b32 s38, -2
	s_mov_b32 s22, s10
	s_mov_b32 s23, s7
	v_mov_b32_e32 v19, 0xb9c68948
	v_mov_b32_e32 v20, 0x7f800000
                                        ; implicit-def: $vgpr0
                                        ; implicit-def: $vgpr0
                                        ; implicit-def: $vgpr0
                                        ; implicit-def: $vgpr0
	s_branch .LBB359_9
.LBB359_8:                              ;   in Loop: Header=BB359_9 Depth=1
	s_or_b64 exec, exec, s[14:15]
	v_bfi_b32 v5, s38, v8, v5
	v_mul_f32_e32 v4, 0.5, v4
	v_add_f32_e32 v5, 1.0, v5
	v_add_f32_e32 v2, v2, v6
	v_bfi_b32 v6, s38, v11, v10
	v_mul_f32_e32 v4, v4, v5
	v_add_f32_e32 v3, v3, v7
	v_mul_f32_e32 v5, 0.5, v9
	v_add_f32_e32 v6, 1.0, v6
	v_mul_f32_e32 v5, v5, v6
	;;#ASMSTART
	v_pk_mul_f32 v[2:3], v[4:5], v[2:3]
	;;#ASMEND
	s_load_dword s14, s[0:1], 0xc
	v_cvt_f16_f32_e32 v2, v2
	v_cvt_f16_f32_e32 v3, v3
	;; [unrolled: 1-line block ×4, first 2 shown]
	s_waitcnt lgkmcnt(0)
	s_and_b32 s14, s14, 0xffff
	s_lshl_b32 s26, s14, 2
	v_pack_b32_f16 v1, v2, v3
	v_lshlrev_b32_e32 v2, 1, v16
	v_lshl_add_u64 v[16:17], s[26:27], 0, v[16:17]
	v_cmp_le_i64_e32 vcc, s[24:25], v[16:17]
	v_pack_b32_f16 v0, v0, v4
	s_or_b64 s[2:3], vcc, s[2:3]
	buffer_store_dwordx2 v[0:1], v2, s[4:7], 0 offen
	s_andn2_b64 exec, exec, s[2:3]
	s_cbranch_execz .LBB359_25
.LBB359_9:                              ; =>This Inner Loop Header: Depth=1
	v_lshlrev_b32_e32 v4, 2, v16
	buffer_load_dwordx4 v[8:11], v4, s[16:19], 0 offen
	buffer_load_dwordx4 v[0:3], v4, s[20:23], 0 offen
	;; [unrolled: 1-line block ×3, first 2 shown]
	s_mov_b32 s14, s10
	s_mov_b32 s15, s11
	buffer_load_dwordx4 v[4:7], v4, s[12:15], 0 offen
                                        ; implicit-def: $vgpr21
	s_waitcnt vmcnt(1)
	v_add_f32_e32 v8, v8, v12
	v_mul_f32_e32 v12, 0x3f3504f3, v8
	v_cmp_nlt_f32_e64 s[14:15], |v12|, 1.0
	s_and_saveexec_b64 s[40:41], s[14:15]
	s_xor_b64 s[14:15], exec, s[40:41]
	s_cbranch_execz .LBB359_11
; %bb.10:                               ;   in Loop: Header=BB359_9 Depth=1
	v_fma_f32 v21, |v12|, s28, v19
	v_fma_f32 v21, |v12|, v21, s29
	;; [unrolled: 1-line block ×6, first 2 shown]
	v_fma_f32 v21, |v12|, v21, |v12|
	v_mul_f32_e32 v22, 0xbfb8aa3b, v21
	v_fma_f32 v23, v21, s35, -v22
	v_rndne_f32_e32 v24, v22
	v_fmac_f32_e32 v23, 0xb2a5705f, v21
	v_sub_f32_e32 v22, v22, v24
	v_add_f32_e32 v22, v22, v23
	v_cvt_i32_f32_e32 v23, v24
	v_exp_f32_e32 v22, v22
	v_cmp_nlt_f32_e32 vcc, s36, v21
	v_ldexp_f32 v22, v22, v23
	s_nop 0
	v_cndmask_b32_e32 v22, 0, v22, vcc
	v_cmp_ngt_f32_e32 vcc, s37, v21
	s_nop 1
	v_cndmask_b32_e32 v21, v20, v22, vcc
	v_sub_f32_e32 v21, 1.0, v21
.LBB359_11:                             ;   in Loop: Header=BB359_9 Depth=1
	s_andn2_saveexec_b64 s[14:15], s[14:15]
; %bb.12:                               ;   in Loop: Header=BB359_9 Depth=1
	v_mul_f32_e32 v21, v12, v12
	v_fmamk_f32 v22, v21, 0xba1345e1, v18
	v_fmaak_f32 v22, v21, v22, 0xbcdac9b8
	v_fmaak_f32 v22, v21, v22, 0x3de703be
	;; [unrolled: 1-line block ×4, first 2 shown]
	v_fma_f32 v21, |v12|, v21, |v12|
; %bb.13:                               ;   in Loop: Header=BB359_9 Depth=1
	s_or_b64 exec, exec, s[14:15]
	v_add_f32_e32 v9, v9, v13
	v_mul_f32_e32 v13, 0x3f3504f3, v9
	v_cmp_nlt_f32_e64 s[14:15], |v13|, 1.0
                                        ; implicit-def: $vgpr22
	s_and_saveexec_b64 s[40:41], s[14:15]
	s_xor_b64 s[14:15], exec, s[40:41]
	s_cbranch_execz .LBB359_15
; %bb.14:                               ;   in Loop: Header=BB359_9 Depth=1
	v_fma_f32 v22, |v13|, s28, v19
	v_fma_f32 v22, |v13|, v22, s29
	;; [unrolled: 1-line block ×6, first 2 shown]
	v_fma_f32 v22, |v13|, v22, |v13|
	v_mul_f32_e32 v23, 0xbfb8aa3b, v22
	v_fma_f32 v24, v22, s35, -v23
	v_rndne_f32_e32 v25, v23
	v_fmac_f32_e32 v24, 0xb2a5705f, v22
	v_sub_f32_e32 v23, v23, v25
	v_add_f32_e32 v23, v23, v24
	v_cvt_i32_f32_e32 v24, v25
	v_exp_f32_e32 v23, v23
	v_cmp_nlt_f32_e32 vcc, s36, v22
	v_ldexp_f32 v23, v23, v24
	s_nop 0
	v_cndmask_b32_e32 v23, 0, v23, vcc
	v_cmp_ngt_f32_e32 vcc, s37, v22
	s_nop 1
	v_cndmask_b32_e32 v22, v20, v23, vcc
	v_sub_f32_e32 v22, 1.0, v22
.LBB359_15:                             ;   in Loop: Header=BB359_9 Depth=1
	s_andn2_saveexec_b64 s[14:15], s[14:15]
; %bb.16:                               ;   in Loop: Header=BB359_9 Depth=1
	v_mul_f32_e32 v22, v13, v13
	v_fmamk_f32 v23, v22, 0xba1345e1, v18
	v_fmaak_f32 v23, v22, v23, 0xbcdac9b8
	v_fmaak_f32 v23, v22, v23, 0x3de703be
	;; [unrolled: 1-line block ×4, first 2 shown]
	v_fma_f32 v22, |v13|, v22, |v13|
; %bb.17:                               ;   in Loop: Header=BB359_9 Depth=1
	s_or_b64 exec, exec, s[14:15]
	s_waitcnt vmcnt(0)
	v_add_f32_e32 v1, v1, v5
	v_bfi_b32 v5, s38, v22, v13
	v_add_f32_e32 v0, v0, v4
	v_mul_f32_e32 v4, 0.5, v9
	v_add_f32_e32 v5, 1.0, v5
	v_bfi_b32 v12, s38, v21, v12
	v_mul_f32_e32 v9, v4, v5
	v_add_f32_e32 v4, v10, v14
	v_mul_f32_e32 v8, 0.5, v8
	v_add_f32_e32 v12, 1.0, v12
	v_mul_f32_e32 v5, 0x3f3504f3, v4
	v_mul_f32_e32 v8, v8, v12
	v_cmp_nlt_f32_e64 s[14:15], |v5|, 1.0
	;;#ASMSTART
	v_pk_mul_f32 v[0:1], v[8:9], v[0:1]
	;;#ASMEND
                                        ; implicit-def: $vgpr8
	s_and_saveexec_b64 s[40:41], s[14:15]
	s_xor_b64 s[14:15], exec, s[40:41]
	s_cbranch_execz .LBB359_19
; %bb.18:                               ;   in Loop: Header=BB359_9 Depth=1
	v_fma_f32 v8, |v5|, s28, v19
	v_fma_f32 v8, |v5|, v8, s29
	;; [unrolled: 1-line block ×6, first 2 shown]
	v_fma_f32 v8, |v5|, v8, |v5|
	v_mul_f32_e32 v9, 0xbfb8aa3b, v8
	v_fma_f32 v10, v8, s35, -v9
	v_rndne_f32_e32 v12, v9
	v_fmac_f32_e32 v10, 0xb2a5705f, v8
	v_sub_f32_e32 v9, v9, v12
	v_add_f32_e32 v9, v9, v10
	v_cvt_i32_f32_e32 v10, v12
	v_exp_f32_e32 v9, v9
	v_cmp_nlt_f32_e32 vcc, s36, v8
	v_ldexp_f32 v9, v9, v10
	s_nop 0
	v_cndmask_b32_e32 v9, 0, v9, vcc
	v_cmp_ngt_f32_e32 vcc, s37, v8
	s_nop 1
	v_cndmask_b32_e32 v8, v20, v9, vcc
	v_sub_f32_e32 v8, 1.0, v8
.LBB359_19:                             ;   in Loop: Header=BB359_9 Depth=1
	s_andn2_saveexec_b64 s[14:15], s[14:15]
; %bb.20:                               ;   in Loop: Header=BB359_9 Depth=1
	v_mul_f32_e32 v8, v5, v5
	v_fmamk_f32 v9, v8, 0xba1345e1, v18
	v_fmaak_f32 v9, v8, v9, 0xbcdac9b8
	v_fmaak_f32 v9, v8, v9, 0x3de703be
	v_fmaak_f32 v9, v8, v9, 0xbec09330
	v_fmaak_f32 v8, v8, v9, 0x3e0375d0
	v_fma_f32 v8, |v5|, v8, |v5|
; %bb.21:                               ;   in Loop: Header=BB359_9 Depth=1
	s_or_b64 exec, exec, s[14:15]
	v_add_f32_e32 v9, v11, v15
	v_mul_f32_e32 v10, 0x3f3504f3, v9
	v_cmp_nlt_f32_e64 s[14:15], |v10|, 1.0
                                        ; implicit-def: $vgpr11
	s_and_saveexec_b64 s[40:41], s[14:15]
	s_xor_b64 s[14:15], exec, s[40:41]
	s_cbranch_execz .LBB359_23
; %bb.22:                               ;   in Loop: Header=BB359_9 Depth=1
	v_fma_f32 v11, |v10|, s28, v19
	v_fma_f32 v11, |v10|, v11, s29
	;; [unrolled: 1-line block ×6, first 2 shown]
	v_fma_f32 v11, |v10|, v11, |v10|
	v_mul_f32_e32 v12, 0xbfb8aa3b, v11
	v_fma_f32 v13, v11, s35, -v12
	v_rndne_f32_e32 v14, v12
	v_fmac_f32_e32 v13, 0xb2a5705f, v11
	v_sub_f32_e32 v12, v12, v14
	v_add_f32_e32 v12, v12, v13
	v_cvt_i32_f32_e32 v13, v14
	v_exp_f32_e32 v12, v12
	v_cmp_nlt_f32_e32 vcc, s36, v11
	v_ldexp_f32 v12, v12, v13
	s_nop 0
	v_cndmask_b32_e32 v12, 0, v12, vcc
	v_cmp_ngt_f32_e32 vcc, s37, v11
	s_nop 1
	v_cndmask_b32_e32 v11, v20, v12, vcc
	v_sub_f32_e32 v11, 1.0, v11
.LBB359_23:                             ;   in Loop: Header=BB359_9 Depth=1
	s_andn2_saveexec_b64 s[14:15], s[14:15]
	s_cbranch_execz .LBB359_8
; %bb.24:                               ;   in Loop: Header=BB359_9 Depth=1
	v_mul_f32_e32 v11, v10, v10
	v_fmamk_f32 v12, v11, 0xba1345e1, v18
	v_fmaak_f32 v12, v11, v12, 0xbcdac9b8
	v_fmaak_f32 v12, v11, v12, 0x3de703be
	;; [unrolled: 1-line block ×4, first 2 shown]
	v_fma_f32 v11, |v10|, v11, |v10|
	s_branch .LBB359_8
.LBB359_25:
	s_endpgm
	.section	.rodata,"a",@progbits
	.p2align	6, 0x0
	.amdhsa_kernel _ZN5aiter23act_and_mul_bias_kernelIfDF16_hfTnPFfRKT2_EXadL_ZNS_11gelu_kernelIfEEfRKT_EELi4EEEvPT0_PS8_PKT1_PS2_il
		.amdhsa_group_segment_fixed_size 0
		.amdhsa_private_segment_fixed_size 0
		.amdhsa_kernarg_size 304
		.amdhsa_user_sgpr_count 2
		.amdhsa_user_sgpr_dispatch_ptr 0
		.amdhsa_user_sgpr_queue_ptr 0
		.amdhsa_user_sgpr_kernarg_segment_ptr 1
		.amdhsa_user_sgpr_dispatch_id 0
		.amdhsa_user_sgpr_kernarg_preload_length 0
		.amdhsa_user_sgpr_kernarg_preload_offset 0
		.amdhsa_user_sgpr_private_segment_size 0
		.amdhsa_uses_dynamic_stack 0
		.amdhsa_enable_private_segment 0
		.amdhsa_system_sgpr_workgroup_id_x 1
		.amdhsa_system_sgpr_workgroup_id_y 0
		.amdhsa_system_sgpr_workgroup_id_z 0
		.amdhsa_system_sgpr_workgroup_info 0
		.amdhsa_system_vgpr_workitem_id 0
		.amdhsa_next_free_vgpr 26
		.amdhsa_next_free_sgpr 42
		.amdhsa_accum_offset 28
		.amdhsa_reserve_vcc 1
		.amdhsa_float_round_mode_32 0
		.amdhsa_float_round_mode_16_64 0
		.amdhsa_float_denorm_mode_32 3
		.amdhsa_float_denorm_mode_16_64 3
		.amdhsa_dx10_clamp 1
		.amdhsa_ieee_mode 1
		.amdhsa_fp16_overflow 0
		.amdhsa_tg_split 0
		.amdhsa_exception_fp_ieee_invalid_op 0
		.amdhsa_exception_fp_denorm_src 0
		.amdhsa_exception_fp_ieee_div_zero 0
		.amdhsa_exception_fp_ieee_overflow 0
		.amdhsa_exception_fp_ieee_underflow 0
		.amdhsa_exception_fp_ieee_inexact 0
		.amdhsa_exception_int_div_zero 0
	.end_amdhsa_kernel
	.section	.text._ZN5aiter23act_and_mul_bias_kernelIfDF16_hfTnPFfRKT2_EXadL_ZNS_11gelu_kernelIfEEfRKT_EELi4EEEvPT0_PS8_PKT1_PS2_il,"axG",@progbits,_ZN5aiter23act_and_mul_bias_kernelIfDF16_hfTnPFfRKT2_EXadL_ZNS_11gelu_kernelIfEEfRKT_EELi4EEEvPT0_PS8_PKT1_PS2_il,comdat
.Lfunc_end359:
	.size	_ZN5aiter23act_and_mul_bias_kernelIfDF16_hfTnPFfRKT2_EXadL_ZNS_11gelu_kernelIfEEfRKT_EELi4EEEvPT0_PS8_PKT1_PS2_il, .Lfunc_end359-_ZN5aiter23act_and_mul_bias_kernelIfDF16_hfTnPFfRKT2_EXadL_ZNS_11gelu_kernelIfEEfRKT_EELi4EEEvPT0_PS8_PKT1_PS2_il
                                        ; -- End function
	.section	.AMDGPU.csdata,"",@progbits
; Kernel info:
; codeLenInByte = 1748
; NumSgprs: 48
; NumVgprs: 26
; NumAgprs: 0
; TotalNumVgprs: 26
; ScratchSize: 0
; MemoryBound: 0
; FloatMode: 240
; IeeeMode: 1
; LDSByteSize: 0 bytes/workgroup (compile time only)
; SGPRBlocks: 5
; VGPRBlocks: 3
; NumSGPRsForWavesPerEU: 48
; NumVGPRsForWavesPerEU: 26
; AccumOffset: 28
; Occupancy: 8
; WaveLimiterHint : 0
; COMPUTE_PGM_RSRC2:SCRATCH_EN: 0
; COMPUTE_PGM_RSRC2:USER_SGPR: 2
; COMPUTE_PGM_RSRC2:TRAP_HANDLER: 0
; COMPUTE_PGM_RSRC2:TGID_X_EN: 1
; COMPUTE_PGM_RSRC2:TGID_Y_EN: 0
; COMPUTE_PGM_RSRC2:TGID_Z_EN: 0
; COMPUTE_PGM_RSRC2:TIDIG_COMP_CNT: 0
; COMPUTE_PGM_RSRC3_GFX90A:ACCUM_OFFSET: 6
; COMPUTE_PGM_RSRC3_GFX90A:TG_SPLIT: 0
	.section	.text._ZN5aiter23act_and_mul_bias_kernelIfDF16_hfTnPFfRKT2_EXadL_ZNS_11gelu_kernelIfEEfRKT_EELi2EEEvPT0_PS8_PKT1_PS2_il,"axG",@progbits,_ZN5aiter23act_and_mul_bias_kernelIfDF16_hfTnPFfRKT2_EXadL_ZNS_11gelu_kernelIfEEfRKT_EELi2EEEvPT0_PS8_PKT1_PS2_il,comdat
	.protected	_ZN5aiter23act_and_mul_bias_kernelIfDF16_hfTnPFfRKT2_EXadL_ZNS_11gelu_kernelIfEEfRKT_EELi2EEEvPT0_PS8_PKT1_PS2_il ; -- Begin function _ZN5aiter23act_and_mul_bias_kernelIfDF16_hfTnPFfRKT2_EXadL_ZNS_11gelu_kernelIfEEfRKT_EELi2EEEvPT0_PS8_PKT1_PS2_il
	.globl	_ZN5aiter23act_and_mul_bias_kernelIfDF16_hfTnPFfRKT2_EXadL_ZNS_11gelu_kernelIfEEfRKT_EELi2EEEvPT0_PS8_PKT1_PS2_il
	.p2align	8
	.type	_ZN5aiter23act_and_mul_bias_kernelIfDF16_hfTnPFfRKT2_EXadL_ZNS_11gelu_kernelIfEEfRKT_EELi2EEEvPT0_PS8_PKT1_PS2_il,@function
_ZN5aiter23act_and_mul_bias_kernelIfDF16_hfTnPFfRKT2_EXadL_ZNS_11gelu_kernelIfEEfRKT_EELi2EEEvPT0_PS8_PKT1_PS2_il: ; @_ZN5aiter23act_and_mul_bias_kernelIfDF16_hfTnPFfRKT2_EXadL_ZNS_11gelu_kernelIfEEfRKT_EELi2EEEvPT0_PS8_PKT1_PS2_il
; %bb.0:
	s_load_dwordx2 s[4:5], s[0:1], 0x10
	s_load_dword s24, s[0:1], 0x20
	s_load_dwordx2 s[6:7], s[0:1], 0x28
	v_mov_b32_e32 v1, s2
	s_mov_b32 s9, 0
	s_waitcnt lgkmcnt(0)
	global_load_ubyte v1, v1, s[4:5]
	s_load_dwordx2 s[4:5], s[0:1], 0x0
	s_ashr_i32 s25, s24, 31
	s_mul_hi_u32 s3, s24, s2
	v_mov_b64_e32 v[4:5], s[6:7]
	s_mul_i32 s6, s25, s2
	s_mul_i32 s12, s24, s2
	s_add_i32 s13, s3, s6
	s_lshl_b64 s[6:7], s[12:13], 1
	s_mov_b64 s[10:11], -1
	v_lshlrev_b32_e32 v2, 1, v0
	s_waitcnt vmcnt(0)
	v_readfirstlane_b32 s3, v1
	s_and_b32 s8, s3, 0xffff
	s_waitcnt lgkmcnt(0)
	s_add_u32 s4, s4, s6
	s_addc_u32 s3, s5, s7
	s_add_i32 s6, s24, 1
	s_lshr_b32 s7, s6, 31
	s_add_i32 s6, s6, s7
	v_cmp_lt_i64_e32 vcc, s[8:9], v[4:5]
	s_and_b32 s5, s3, 0xffff
	s_lshl_b32 s3, s6, 1
	s_and_b32 s6, s3, -4
	s_cbranch_vccnz .LBB360_5
; %bb.1:
	v_cmp_gt_i32_e32 vcc, s24, v2
	s_and_saveexec_b64 s[10:11], vcc
	s_cbranch_execz .LBB360_4
; %bb.2:
	s_load_dword s3, s[0:1], 0x3c
	v_mov_b32_e32 v3, 0
	s_mov_b32 s13, 0
	v_lshlrev_b32_e32 v4, 2, v0
	s_mov_b64 s[14:15], 0
	s_waitcnt lgkmcnt(0)
	s_and_b32 s3, s3, 0xffff
	s_lshl_b32 s12, s3, 1
	s_lshl_b32 s3, s3, 2
	s_mov_b32 s7, 0x20000
	v_mov_b64_e32 v[0:1], v[2:3]
.LBB360_3:                              ; =>This Inner Loop Header: Depth=1
	v_lshl_add_u64 v[0:1], s[12:13], 0, v[0:1]
	v_cmp_le_i64_e32 vcc, s[24:25], v[0:1]
	buffer_store_dword v3, v4, s[4:7], 0 offen
	s_or_b64 s[14:15], vcc, s[14:15]
	v_add_u32_e32 v4, s3, v4
	s_andn2_b64 exec, exec, s[14:15]
	s_cbranch_execnz .LBB360_3
.LBB360_4:
	s_or_b64 exec, exec, s[10:11]
	s_mov_b64 s[10:11], 0
.LBB360_5:
	s_andn2_b64 vcc, exec, s[10:11]
	s_cbranch_vccnz .LBB360_13
; %bb.6:
	v_cmp_gt_i32_e32 vcc, s24, v2
	s_and_saveexec_b64 s[10:11], vcc
	s_cbranch_execz .LBB360_13
; %bb.7:
	s_load_dwordx2 s[14:15], s[0:1], 0x8
	s_load_dwordx2 s[12:13], s[0:1], 0x18
	s_mul_hi_i32 s9, s24, s8
	s_mul_i32 s8, s24, s8
	s_lshl_b32 s10, s24, 2
	s_lshl_b64 s[8:9], s[8:9], 3
	s_waitcnt lgkmcnt(0)
	s_add_u32 s8, s12, s8
	s_addc_u32 s3, s13, s9
	s_lshl_b64 s[18:19], s[24:25], 2
	s_add_u32 s12, s8, s18
	s_addc_u32 s13, s3, s19
	s_and_b32 s9, s3, 0xffff
	s_mul_i32 s3, s2, s25
	s_mul_hi_u32 s16, s2, s24
	s_add_i32 s3, s16, s3
	s_mul_i32 s2, s2, s24
	s_and_b32 s13, s13, 0xffff
	s_lshl_b64 s[2:3], s[2:3], 3
	s_add_u32 s16, s14, s2
	s_addc_u32 s2, s15, s3
	s_add_u32 s20, s16, s18
	s_addc_u32 s3, s2, s19
	s_and_b32 s17, s2, 0xffff
	s_and_b32 s21, s3, 0xffff
	s_mov_b32 s7, 0x20000
	s_add_u32 s0, s0, 48
	s_mov_b32 s11, s7
	v_mov_b32_e32 v3, 0
	s_addc_u32 s1, s1, 0
	s_mov_b64 s[2:3], 0
	s_mov_b32 s18, s10
	s_mov_b32 s19, s7
	;; [unrolled: 1-line block ×13, first 2 shown]
	v_mov_b32_e32 v12, 0x3ba10414
	v_mov_b32_e32 v13, 0xb9c68948
	;; [unrolled: 1-line block ×3, first 2 shown]
	s_brev_b32 s39, -2
	s_mov_b32 s22, s10
	s_mov_b32 s23, s7
                                        ; implicit-def: $vgpr0
                                        ; implicit-def: $vgpr0
	;; [unrolled: 1-line block ×4, first 2 shown]
	s_branch .LBB360_9
.LBB360_8:                              ;   in Loop: Header=BB360_9 Depth=1
	s_or_b64 exec, exec, s[14:15]
	v_fma_f32 v10, |v5|, s29, v13
	v_fma_f32 v10, |v5|, v10, s30
	v_fma_f32 v10, |v5|, v10, s31
	v_fma_f32 v10, |v5|, v10, s33
	v_fma_f32 v10, |v5|, v10, s34
	v_fma_f32 v10, |v5|, v10, s35
	v_fma_f32 v10, |v5|, v10, |v5|
	v_mul_f32_e32 v16, 0xbfb8aa3b, v10
	v_fma_f32 v17, v10, s36, -v16
	v_rndne_f32_e32 v18, v16
	v_fmac_f32_e32 v17, 0xb2a5705f, v10
	v_sub_f32_e32 v16, v16, v18
	v_add_f32_e32 v16, v16, v17
	v_exp_f32_e32 v16, v16
	v_cvt_i32_f32_e32 v17, v18
	s_waitcnt vmcnt(0)
	v_pk_add_f32 v[0:1], v[0:1], v[8:9]
	v_fmamk_f32 v9, v11, 0xba1345e1, v12
	v_fmaak_f32 v9, v11, v9, 0xbcdac9b8
	v_ldexp_f32 v8, v16, v17
	v_cmp_nlt_f32_e32 vcc, s37, v10
	v_fmaak_f32 v9, v11, v9, 0x3de703be
	v_fmaak_f32 v9, v11, v9, 0xbec09330
	v_cndmask_b32_e32 v8, 0, v8, vcc
	v_cmp_ngt_f32_e32 vcc, s38, v10
	v_fmaak_f32 v9, v11, v9, 0x3e0375d0
	v_fma_f32 v9, |v5|, v9, |v5|
	v_cndmask_b32_e32 v8, v14, v8, vcc
	v_sub_f32_e32 v8, 1.0, v8
	v_cmp_lt_f32_e64 vcc, |v5|, 1.0
	v_bfi_b32 v4, s39, v15, v4
	v_mul_f32_e32 v7, 0.5, v7
	v_cndmask_b32_e32 v8, v8, v9, vcc
	v_bfi_b32 v5, s39, v8, v5
	v_mul_f32_e32 v6, 0.5, v6
	v_pk_add_f32 v[4:5], v[4:5], 1.0 op_sel_hi:[1,0]
	s_nop 0
	v_pk_mul_f32 v[4:5], v[6:7], v[4:5]
	s_nop 0
	;;#ASMSTART
	v_pk_mul_f32 v[0:1], v[4:5], v[0:1]
	;;#ASMEND
	s_load_dword s14, s[0:1], 0xc
	v_cvt_f16_f32_e32 v0, v0
	v_cvt_f16_f32_e32 v1, v1
	s_waitcnt lgkmcnt(0)
	s_and_b32 s14, s14, 0xffff
	s_lshl_b32 s26, s14, 1
	v_pack_b32_f16 v0, v0, v1
	v_lshlrev_b32_e32 v1, 1, v2
	v_lshl_add_u64 v[2:3], s[26:27], 0, v[2:3]
	v_cmp_le_i64_e32 vcc, s[24:25], v[2:3]
	s_or_b64 s[2:3], vcc, s[2:3]
	buffer_store_dword v0, v1, s[4:7], 0 offen
	s_andn2_b64 exec, exec, s[2:3]
	s_cbranch_execz .LBB360_13
.LBB360_9:                              ; =>This Inner Loop Header: Depth=1
	v_lshlrev_b32_e32 v8, 2, v2
	buffer_load_dwordx2 v[4:5], v8, s[16:19], 0 offen
	buffer_load_dwordx2 v[0:1], v8, s[20:23], 0 offen
	buffer_load_dwordx2 v[6:7], v8, s[8:11], 0 offen
	s_mov_b32 s14, s10
	s_mov_b32 s15, s11
	buffer_load_dwordx2 v[8:9], v8, s[12:15], 0 offen
                                        ; implicit-def: $vgpr15
	s_waitcnt vmcnt(1)
	v_pk_add_f32 v[6:7], v[4:5], v[6:7]
	s_nop 0
	v_pk_mul_f32 v[4:5], v[6:7], s[28:29] op_sel_hi:[1,0]
	s_nop 0
	v_cmp_nlt_f32_e64 s[14:15], |v4|, 1.0
	s_and_saveexec_b64 s[40:41], s[14:15]
	s_xor_b64 s[14:15], exec, s[40:41]
	s_cbranch_execz .LBB360_11
; %bb.10:                               ;   in Loop: Header=BB360_9 Depth=1
	v_fma_f32 v10, |v4|, s29, v13
	v_fma_f32 v10, |v4|, v10, s30
	;; [unrolled: 1-line block ×6, first 2 shown]
	v_fma_f32 v10, |v4|, v10, |v4|
	v_mul_f32_e32 v11, 0xbfb8aa3b, v10
	v_fma_f32 v15, v10, s36, -v11
	v_rndne_f32_e32 v16, v11
	v_fmac_f32_e32 v15, 0xb2a5705f, v10
	v_sub_f32_e32 v11, v11, v16
	v_add_f32_e32 v11, v11, v15
	v_cvt_i32_f32_e32 v15, v16
	v_exp_f32_e32 v11, v11
	v_cmp_nlt_f32_e32 vcc, s37, v10
	v_ldexp_f32 v11, v11, v15
	s_nop 0
	v_cndmask_b32_e32 v11, 0, v11, vcc
	v_cmp_ngt_f32_e32 vcc, s38, v10
	s_nop 1
	v_cndmask_b32_e32 v10, v14, v11, vcc
	v_sub_f32_e32 v15, 1.0, v10
.LBB360_11:                             ;   in Loop: Header=BB360_9 Depth=1
	s_or_saveexec_b64 s[14:15], s[14:15]
	v_pk_mul_f32 v[10:11], v[4:5], v[4:5]
	s_xor_b64 exec, exec, s[14:15]
	s_cbranch_execz .LBB360_8
; %bb.12:                               ;   in Loop: Header=BB360_9 Depth=1
	v_fmamk_f32 v15, v10, 0xba1345e1, v12
	v_fmaak_f32 v15, v10, v15, 0xbcdac9b8
	v_fmaak_f32 v15, v10, v15, 0x3de703be
	;; [unrolled: 1-line block ×4, first 2 shown]
	v_fma_f32 v15, |v4|, v10, |v4|
	s_branch .LBB360_8
.LBB360_13:
	s_endpgm
	.section	.rodata,"a",@progbits
	.p2align	6, 0x0
	.amdhsa_kernel _ZN5aiter23act_and_mul_bias_kernelIfDF16_hfTnPFfRKT2_EXadL_ZNS_11gelu_kernelIfEEfRKT_EELi2EEEvPT0_PS8_PKT1_PS2_il
		.amdhsa_group_segment_fixed_size 0
		.amdhsa_private_segment_fixed_size 0
		.amdhsa_kernarg_size 304
		.amdhsa_user_sgpr_count 2
		.amdhsa_user_sgpr_dispatch_ptr 0
		.amdhsa_user_sgpr_queue_ptr 0
		.amdhsa_user_sgpr_kernarg_segment_ptr 1
		.amdhsa_user_sgpr_dispatch_id 0
		.amdhsa_user_sgpr_kernarg_preload_length 0
		.amdhsa_user_sgpr_kernarg_preload_offset 0
		.amdhsa_user_sgpr_private_segment_size 0
		.amdhsa_uses_dynamic_stack 0
		.amdhsa_enable_private_segment 0
		.amdhsa_system_sgpr_workgroup_id_x 1
		.amdhsa_system_sgpr_workgroup_id_y 0
		.amdhsa_system_sgpr_workgroup_id_z 0
		.amdhsa_system_sgpr_workgroup_info 0
		.amdhsa_system_vgpr_workitem_id 0
		.amdhsa_next_free_vgpr 19
		.amdhsa_next_free_sgpr 42
		.amdhsa_accum_offset 20
		.amdhsa_reserve_vcc 1
		.amdhsa_float_round_mode_32 0
		.amdhsa_float_round_mode_16_64 0
		.amdhsa_float_denorm_mode_32 3
		.amdhsa_float_denorm_mode_16_64 3
		.amdhsa_dx10_clamp 1
		.amdhsa_ieee_mode 1
		.amdhsa_fp16_overflow 0
		.amdhsa_tg_split 0
		.amdhsa_exception_fp_ieee_invalid_op 0
		.amdhsa_exception_fp_denorm_src 0
		.amdhsa_exception_fp_ieee_div_zero 0
		.amdhsa_exception_fp_ieee_overflow 0
		.amdhsa_exception_fp_ieee_underflow 0
		.amdhsa_exception_fp_ieee_inexact 0
		.amdhsa_exception_int_div_zero 0
	.end_amdhsa_kernel
	.section	.text._ZN5aiter23act_and_mul_bias_kernelIfDF16_hfTnPFfRKT2_EXadL_ZNS_11gelu_kernelIfEEfRKT_EELi2EEEvPT0_PS8_PKT1_PS2_il,"axG",@progbits,_ZN5aiter23act_and_mul_bias_kernelIfDF16_hfTnPFfRKT2_EXadL_ZNS_11gelu_kernelIfEEfRKT_EELi2EEEvPT0_PS8_PKT1_PS2_il,comdat
.Lfunc_end360:
	.size	_ZN5aiter23act_and_mul_bias_kernelIfDF16_hfTnPFfRKT2_EXadL_ZNS_11gelu_kernelIfEEfRKT_EELi2EEEvPT0_PS8_PKT1_PS2_il, .Lfunc_end360-_ZN5aiter23act_and_mul_bias_kernelIfDF16_hfTnPFfRKT2_EXadL_ZNS_11gelu_kernelIfEEfRKT_EELi2EEEvPT0_PS8_PKT1_PS2_il
                                        ; -- End function
	.section	.AMDGPU.csdata,"",@progbits
; Kernel info:
; codeLenInByte = 1208
; NumSgprs: 48
; NumVgprs: 19
; NumAgprs: 0
; TotalNumVgprs: 19
; ScratchSize: 0
; MemoryBound: 0
; FloatMode: 240
; IeeeMode: 1
; LDSByteSize: 0 bytes/workgroup (compile time only)
; SGPRBlocks: 5
; VGPRBlocks: 2
; NumSGPRsForWavesPerEU: 48
; NumVGPRsForWavesPerEU: 19
; AccumOffset: 20
; Occupancy: 8
; WaveLimiterHint : 0
; COMPUTE_PGM_RSRC2:SCRATCH_EN: 0
; COMPUTE_PGM_RSRC2:USER_SGPR: 2
; COMPUTE_PGM_RSRC2:TRAP_HANDLER: 0
; COMPUTE_PGM_RSRC2:TGID_X_EN: 1
; COMPUTE_PGM_RSRC2:TGID_Y_EN: 0
; COMPUTE_PGM_RSRC2:TGID_Z_EN: 0
; COMPUTE_PGM_RSRC2:TIDIG_COMP_CNT: 0
; COMPUTE_PGM_RSRC3_GFX90A:ACCUM_OFFSET: 4
; COMPUTE_PGM_RSRC3_GFX90A:TG_SPLIT: 0
	.section	.text._ZN5aiter23act_and_mul_bias_kernelIfDF16_hfTnPFfRKT2_EXadL_ZNS_11gelu_kernelIfEEfRKT_EELi1EEEvPT0_PS8_PKT1_PS2_il,"axG",@progbits,_ZN5aiter23act_and_mul_bias_kernelIfDF16_hfTnPFfRKT2_EXadL_ZNS_11gelu_kernelIfEEfRKT_EELi1EEEvPT0_PS8_PKT1_PS2_il,comdat
	.protected	_ZN5aiter23act_and_mul_bias_kernelIfDF16_hfTnPFfRKT2_EXadL_ZNS_11gelu_kernelIfEEfRKT_EELi1EEEvPT0_PS8_PKT1_PS2_il ; -- Begin function _ZN5aiter23act_and_mul_bias_kernelIfDF16_hfTnPFfRKT2_EXadL_ZNS_11gelu_kernelIfEEfRKT_EELi1EEEvPT0_PS8_PKT1_PS2_il
	.globl	_ZN5aiter23act_and_mul_bias_kernelIfDF16_hfTnPFfRKT2_EXadL_ZNS_11gelu_kernelIfEEfRKT_EELi1EEEvPT0_PS8_PKT1_PS2_il
	.p2align	8
	.type	_ZN5aiter23act_and_mul_bias_kernelIfDF16_hfTnPFfRKT2_EXadL_ZNS_11gelu_kernelIfEEfRKT_EELi1EEEvPT0_PS8_PKT1_PS2_il,@function
_ZN5aiter23act_and_mul_bias_kernelIfDF16_hfTnPFfRKT2_EXadL_ZNS_11gelu_kernelIfEEfRKT_EELi1EEEvPT0_PS8_PKT1_PS2_il: ; @_ZN5aiter23act_and_mul_bias_kernelIfDF16_hfTnPFfRKT2_EXadL_ZNS_11gelu_kernelIfEEfRKT_EELi1EEEvPT0_PS8_PKT1_PS2_il
; %bb.0:
	s_load_dwordx2 s[4:5], s[0:1], 0x10
	s_load_dword s20, s[0:1], 0x20
	s_load_dwordx2 s[8:9], s[0:1], 0x28
	v_mov_b32_e32 v1, s2
	s_load_dwordx2 s[10:11], s[0:1], 0x0
	s_waitcnt lgkmcnt(0)
	global_load_ubyte v1, v1, s[4:5]
	s_ashr_i32 s21, s20, 31
	s_mul_hi_u32 s3, s20, s2
	v_mov_b64_e32 v[2:3], s[8:9]
	s_mul_i32 s8, s21, s2
	s_mul_i32 s14, s20, s2
	s_add_i32 s15, s3, s8
	s_lshl_b64 s[8:9], s[14:15], 1
	s_mov_b32 s13, 0
	s_mov_b64 s[6:7], -1
	v_cmp_gt_i32_e64 s[4:5], s20, v0
	s_waitcnt vmcnt(0)
	v_readfirstlane_b32 s3, v1
	s_and_b32 s12, s3, 0xffff
	s_add_u32 s8, s10, s8
	s_addc_u32 s3, s11, s9
	s_add_i32 s10, s20, 1
	s_lshr_b32 s11, s10, 31
	s_add_i32 s10, s10, s11
	v_cmp_lt_i64_e32 vcc, s[12:13], v[2:3]
	s_and_b32 s9, s3, 0xffff
	s_lshl_b32 s3, s10, 1
	s_and_b32 s10, s3, -4
	s_cbranch_vccnz .LBB361_5
; %bb.1:
	s_and_saveexec_b64 s[6:7], s[4:5]
	s_cbranch_execz .LBB361_4
; %bb.2:
	s_load_dword s3, s[0:1], 0x3c
	v_mov_b32_e32 v1, 0
	s_mov_b32 s5, 0
	v_lshlrev_b32_e32 v4, 1, v0
	s_mov_b64 s[14:15], 0
	s_waitcnt lgkmcnt(0)
	s_and_b32 s4, s3, 0xffff
	s_lshl_b32 s3, s4, 1
	s_mov_b32 s11, 0x20000
	v_mov_b64_e32 v[2:3], v[0:1]
.LBB361_3:                              ; =>This Inner Loop Header: Depth=1
	v_lshl_add_u64 v[2:3], v[2:3], 0, s[4:5]
	v_cmp_le_i64_e32 vcc, s[20:21], v[2:3]
	buffer_store_short v1, v4, s[8:11], 0 offen
	s_or_b64 s[14:15], vcc, s[14:15]
	v_add_u32_e32 v4, s3, v4
	s_andn2_b64 exec, exec, s[14:15]
	s_cbranch_execnz .LBB361_3
.LBB361_4:
	s_or_b64 exec, exec, s[6:7]
	s_mov_b64 s[6:7], 0
.LBB361_5:
	s_andn2_b64 vcc, exec, s[6:7]
	s_cbranch_vccnz .LBB361_13
; %bb.6:
	v_cmp_gt_i32_e32 vcc, s20, v0
	s_and_saveexec_b64 s[4:5], vcc
	s_cbranch_execz .LBB361_13
; %bb.7:
	s_load_dwordx2 s[14:15], s[0:1], 0x8
	s_load_dwordx2 s[4:5], s[0:1], 0x18
	s_mul_hi_i32 s13, s20, s12
	s_mul_i32 s12, s20, s12
	s_lshl_b32 s6, s20, 2
	s_lshl_b64 s[12:13], s[12:13], 3
	s_waitcnt lgkmcnt(0)
	s_add_u32 s4, s4, s12
	s_load_dword s18, s[0:1], 0x3c
	s_addc_u32 s1, s5, s13
	s_lshl_b64 s[16:17], s[20:21], 2
	s_add_u32 s0, s4, s16
	s_addc_u32 s3, s1, s17
	s_and_b32 s5, s1, 0xffff
	s_and_b32 s1, s3, 0xffff
	s_mul_i32 s3, s2, s21
	s_mul_hi_u32 s12, s2, s20
	s_add_i32 s3, s12, s3
	s_mul_i32 s2, s2, s20
	s_lshl_b64 s[2:3], s[2:3], 3
	s_add_u32 s12, s14, s2
	s_addc_u32 s2, s15, s3
	s_add_u32 s16, s12, s16
	s_mov_b32 s11, 0x20000
	s_addc_u32 s3, s2, s17
	s_waitcnt lgkmcnt(0)
	s_and_b32 s22, s18, 0xffff
                                        ; implicit-def: $vgpr5
                                        ; implicit-def: $vgpr5
	;; [unrolled: 1-line block ×4, first 2 shown]
	s_mov_b32 s7, s11
	s_and_b32 s13, s2, 0xffff
	s_and_b32 s17, s3, 0xffff
	s_mov_b32 s23, 0
	v_mov_b32_e32 v1, 0
	v_lshlrev_b32_e32 v2, 1, v0
	s_lshl_b32 s26, s22, 1
	v_lshlrev_b32_e32 v3, 2, v0
	s_lshl_b32 s27, s22, 2
	s_mov_b64 s[24:25], 0
	s_mov_b32 s19, s11
	s_mov_b32 s18, s6
	;; [unrolled: 1-line block ×13, first 2 shown]
	v_mov_b32_e32 v4, 0x3ba10414
	s_brev_b32 s38, -2
	v_mov_b32_e32 v5, 0xb9c68948
	v_mov_b32_e32 v6, 0x7f800000
	s_branch .LBB361_9
.LBB361_8:                              ;   in Loop: Header=BB361_9 Depth=1
	s_or_b64 exec, exec, s[2:3]
	s_waitcnt vmcnt(0)
	v_add_f32_e32 v7, v7, v8
	v_mul_f32_e32 v8, 0.5, v9
	v_bfi_b32 v9, s38, v11, v10
	v_add_f32_e32 v9, 1.0, v9
	v_mul_f32_e32 v8, v8, v9
	v_lshl_add_u64 v[0:1], v[0:1], 0, s[22:23]
	v_fma_mixlo_f16 v7, v7, v8, 0
	v_cmp_le_i64_e32 vcc, s[20:21], v[0:1]
	buffer_store_short v7, v2, s[8:11], 0 offen
	v_add_u32_e32 v2, s26, v2
	s_or_b64 s[24:25], vcc, s[24:25]
	v_add_u32_e32 v3, s27, v3
	s_andn2_b64 exec, exec, s[24:25]
	s_cbranch_execz .LBB361_13
.LBB361_9:                              ; =>This Inner Loop Header: Depth=1
	buffer_load_dword v9, v3, s[12:15], 0 offen
	buffer_load_dword v7, v3, s[16:19], 0 offen
	;; [unrolled: 1-line block ×3, first 2 shown]
	s_mov_b32 s2, s6
	s_mov_b32 s3, s7
	buffer_load_dword v8, v3, s[0:3], 0 offen
                                        ; implicit-def: $vgpr11
	s_waitcnt vmcnt(1)
	v_add_f32_e32 v9, v9, v10
	v_mul_f32_e32 v10, 0x3f3504f3, v9
	v_cmp_nlt_f32_e64 s[2:3], |v10|, 1.0
	s_and_saveexec_b64 s[40:41], s[2:3]
	s_xor_b64 s[2:3], exec, s[40:41]
	s_cbranch_execz .LBB361_11
; %bb.10:                               ;   in Loop: Header=BB361_9 Depth=1
	v_fma_f32 v11, |v10|, s28, v5
	v_fma_f32 v11, |v10|, v11, s29
	v_fma_f32 v11, |v10|, v11, s30
	v_fma_f32 v11, |v10|, v11, s31
	v_fma_f32 v11, |v10|, v11, s33
	v_fma_f32 v11, |v10|, v11, s34
	v_fma_f32 v11, |v10|, v11, |v10|
	v_mul_f32_e32 v12, 0xbfb8aa3b, v11
	v_fma_f32 v13, v11, s35, -v12
	v_rndne_f32_e32 v14, v12
	v_fmac_f32_e32 v13, 0xb2a5705f, v11
	v_sub_f32_e32 v12, v12, v14
	v_add_f32_e32 v12, v12, v13
	v_cvt_i32_f32_e32 v13, v14
	v_exp_f32_e32 v12, v12
	v_cmp_nlt_f32_e32 vcc, s36, v11
	v_ldexp_f32 v12, v12, v13
	s_nop 0
	v_cndmask_b32_e32 v12, 0, v12, vcc
	v_cmp_ngt_f32_e32 vcc, s37, v11
	s_nop 1
	v_cndmask_b32_e32 v11, v6, v12, vcc
	v_sub_f32_e32 v11, 1.0, v11
.LBB361_11:                             ;   in Loop: Header=BB361_9 Depth=1
	s_andn2_saveexec_b64 s[2:3], s[2:3]
	s_cbranch_execz .LBB361_8
; %bb.12:                               ;   in Loop: Header=BB361_9 Depth=1
	v_mul_f32_e32 v11, v10, v10
	v_fmamk_f32 v12, v11, 0xba1345e1, v4
	v_fmaak_f32 v12, v11, v12, 0xbcdac9b8
	v_fmaak_f32 v12, v11, v12, 0x3de703be
	;; [unrolled: 1-line block ×4, first 2 shown]
	v_fma_f32 v11, |v10|, v11, |v10|
	s_branch .LBB361_8
.LBB361_13:
	s_endpgm
	.section	.rodata,"a",@progbits
	.p2align	6, 0x0
	.amdhsa_kernel _ZN5aiter23act_and_mul_bias_kernelIfDF16_hfTnPFfRKT2_EXadL_ZNS_11gelu_kernelIfEEfRKT_EELi1EEEvPT0_PS8_PKT1_PS2_il
		.amdhsa_group_segment_fixed_size 0
		.amdhsa_private_segment_fixed_size 0
		.amdhsa_kernarg_size 304
		.amdhsa_user_sgpr_count 2
		.amdhsa_user_sgpr_dispatch_ptr 0
		.amdhsa_user_sgpr_queue_ptr 0
		.amdhsa_user_sgpr_kernarg_segment_ptr 1
		.amdhsa_user_sgpr_dispatch_id 0
		.amdhsa_user_sgpr_kernarg_preload_length 0
		.amdhsa_user_sgpr_kernarg_preload_offset 0
		.amdhsa_user_sgpr_private_segment_size 0
		.amdhsa_uses_dynamic_stack 0
		.amdhsa_enable_private_segment 0
		.amdhsa_system_sgpr_workgroup_id_x 1
		.amdhsa_system_sgpr_workgroup_id_y 0
		.amdhsa_system_sgpr_workgroup_id_z 0
		.amdhsa_system_sgpr_workgroup_info 0
		.amdhsa_system_vgpr_workitem_id 0
		.amdhsa_next_free_vgpr 15
		.amdhsa_next_free_sgpr 42
		.amdhsa_accum_offset 16
		.amdhsa_reserve_vcc 1
		.amdhsa_float_round_mode_32 0
		.amdhsa_float_round_mode_16_64 0
		.amdhsa_float_denorm_mode_32 3
		.amdhsa_float_denorm_mode_16_64 3
		.amdhsa_dx10_clamp 1
		.amdhsa_ieee_mode 1
		.amdhsa_fp16_overflow 0
		.amdhsa_tg_split 0
		.amdhsa_exception_fp_ieee_invalid_op 0
		.amdhsa_exception_fp_denorm_src 0
		.amdhsa_exception_fp_ieee_div_zero 0
		.amdhsa_exception_fp_ieee_overflow 0
		.amdhsa_exception_fp_ieee_underflow 0
		.amdhsa_exception_fp_ieee_inexact 0
		.amdhsa_exception_int_div_zero 0
	.end_amdhsa_kernel
	.section	.text._ZN5aiter23act_and_mul_bias_kernelIfDF16_hfTnPFfRKT2_EXadL_ZNS_11gelu_kernelIfEEfRKT_EELi1EEEvPT0_PS8_PKT1_PS2_il,"axG",@progbits,_ZN5aiter23act_and_mul_bias_kernelIfDF16_hfTnPFfRKT2_EXadL_ZNS_11gelu_kernelIfEEfRKT_EELi1EEEvPT0_PS8_PKT1_PS2_il,comdat
.Lfunc_end361:
	.size	_ZN5aiter23act_and_mul_bias_kernelIfDF16_hfTnPFfRKT2_EXadL_ZNS_11gelu_kernelIfEEfRKT_EELi1EEEvPT0_PS8_PKT1_PS2_il, .Lfunc_end361-_ZN5aiter23act_and_mul_bias_kernelIfDF16_hfTnPFfRKT2_EXadL_ZNS_11gelu_kernelIfEEfRKT_EELi1EEEvPT0_PS8_PKT1_PS2_il
                                        ; -- End function
	.section	.AMDGPU.csdata,"",@progbits
; Kernel info:
; codeLenInByte = 940
; NumSgprs: 48
; NumVgprs: 15
; NumAgprs: 0
; TotalNumVgprs: 15
; ScratchSize: 0
; MemoryBound: 0
; FloatMode: 240
; IeeeMode: 1
; LDSByteSize: 0 bytes/workgroup (compile time only)
; SGPRBlocks: 5
; VGPRBlocks: 1
; NumSGPRsForWavesPerEU: 48
; NumVGPRsForWavesPerEU: 15
; AccumOffset: 16
; Occupancy: 8
; WaveLimiterHint : 0
; COMPUTE_PGM_RSRC2:SCRATCH_EN: 0
; COMPUTE_PGM_RSRC2:USER_SGPR: 2
; COMPUTE_PGM_RSRC2:TRAP_HANDLER: 0
; COMPUTE_PGM_RSRC2:TGID_X_EN: 1
; COMPUTE_PGM_RSRC2:TGID_Y_EN: 0
; COMPUTE_PGM_RSRC2:TGID_Z_EN: 0
; COMPUTE_PGM_RSRC2:TIDIG_COMP_CNT: 0
; COMPUTE_PGM_RSRC3_GFX90A:ACCUM_OFFSET: 3
; COMPUTE_PGM_RSRC3_GFX90A:TG_SPLIT: 0
	.section	.text._ZN5aiter23act_and_mul_bias_kernelIffhfTnPFfRKT2_EXadL_ZNS_11gelu_kernelIfEEfRKT_EELi16EEEvPT0_PS8_PKT1_PS2_il,"axG",@progbits,_ZN5aiter23act_and_mul_bias_kernelIffhfTnPFfRKT2_EXadL_ZNS_11gelu_kernelIfEEfRKT_EELi16EEEvPT0_PS8_PKT1_PS2_il,comdat
	.protected	_ZN5aiter23act_and_mul_bias_kernelIffhfTnPFfRKT2_EXadL_ZNS_11gelu_kernelIfEEfRKT_EELi16EEEvPT0_PS8_PKT1_PS2_il ; -- Begin function _ZN5aiter23act_and_mul_bias_kernelIffhfTnPFfRKT2_EXadL_ZNS_11gelu_kernelIfEEfRKT_EELi16EEEvPT0_PS8_PKT1_PS2_il
	.globl	_ZN5aiter23act_and_mul_bias_kernelIffhfTnPFfRKT2_EXadL_ZNS_11gelu_kernelIfEEfRKT_EELi16EEEvPT0_PS8_PKT1_PS2_il
	.p2align	8
	.type	_ZN5aiter23act_and_mul_bias_kernelIffhfTnPFfRKT2_EXadL_ZNS_11gelu_kernelIfEEfRKT_EELi16EEEvPT0_PS8_PKT1_PS2_il,@function
_ZN5aiter23act_and_mul_bias_kernelIffhfTnPFfRKT2_EXadL_ZNS_11gelu_kernelIfEEfRKT_EELi16EEEvPT0_PS8_PKT1_PS2_il: ; @_ZN5aiter23act_and_mul_bias_kernelIffhfTnPFfRKT2_EXadL_ZNS_11gelu_kernelIfEEfRKT_EELi16EEEvPT0_PS8_PKT1_PS2_il
; %bb.0:
	s_load_dwordx2 s[4:5], s[0:1], 0x10
	s_load_dword s24, s[0:1], 0x20
	s_load_dwordx2 s[12:13], s[0:1], 0x28
	v_mov_b32_e32 v1, s2
	s_mov_b32 s9, 0
	s_waitcnt lgkmcnt(0)
	global_load_ubyte v1, v1, s[4:5]
	s_load_dwordx2 s[4:5], s[0:1], 0x0
	s_ashr_i32 s25, s24, 31
	s_mul_hi_u32 s3, s24, s2
	s_mul_i32 s7, s25, s2
	s_mul_i32 s14, s24, s2
	s_add_i32 s15, s3, s7
	s_lshl_b32 s6, s24, 2
	v_mov_b64_e32 v[2:3], s[12:13]
	s_lshl_b64 s[12:13], s[14:15], 2
	s_mov_b64 s[10:11], -1
	v_lshlrev_b32_e32 v64, 4, v0
	s_waitcnt vmcnt(0)
	v_readfirstlane_b32 s3, v1
	s_and_b32 s8, s3, 0xffff
	s_waitcnt lgkmcnt(0)
	s_add_u32 s4, s4, s12
	v_cmp_lt_i64_e32 vcc, s[8:9], v[2:3]
	s_addc_u32 s3, s5, s13
	s_and_b32 s5, s3, 0xffff
	s_cbranch_vccnz .LBB362_5
; %bb.1:
	v_cmp_gt_i32_e32 vcc, s24, v64
	s_and_saveexec_b64 s[10:11], vcc
	s_cbranch_execz .LBB362_4
; %bb.2:
	s_load_dword s3, s[0:1], 0x3c
	s_mov_b32 s13, 0
	s_mov_b32 s16, s13
	;; [unrolled: 1-line block ×3, first 2 shown]
	v_mov_b32_e32 v65, 0
	v_lshlrev_b32_e32 v6, 6, v0
	s_waitcnt lgkmcnt(0)
	s_and_b32 s3, s3, 0xffff
	s_mov_b32 s18, s13
	s_mov_b32 s19, s13
	v_mov_b64_e32 v[0:1], s[16:17]
	s_lshl_b32 s12, s3, 4
	s_lshl_b32 s3, s3, 6
	s_mov_b64 s[14:15], 0
	s_mov_b32 s7, 0x20000
	v_mov_b64_e32 v[2:3], s[18:19]
	v_mov_b64_e32 v[4:5], v[64:65]
.LBB362_3:                              ; =>This Inner Loop Header: Depth=1
	v_lshl_add_u64 v[4:5], s[12:13], 0, v[4:5]
	v_cmp_le_i64_e32 vcc, s[24:25], v[4:5]
	buffer_store_dwordx4 v[0:3], v6, s[4:7], 0 offen
	buffer_store_dwordx4 v[0:3], v6, s[4:7], 16 offen
	;; [unrolled: 1-line block ×4, first 2 shown]
	s_or_b64 s[14:15], vcc, s[14:15]
	v_add_u32_e32 v6, s3, v6
	s_andn2_b64 exec, exec, s[14:15]
	s_cbranch_execnz .LBB362_3
.LBB362_4:
	s_or_b64 exec, exec, s[10:11]
	s_mov_b64 s[10:11], 0
.LBB362_5:
	s_andn2_b64 vcc, exec, s[10:11]
	s_cbranch_vccnz .LBB362_73
; %bb.6:
	v_cmp_gt_i32_e32 vcc, s24, v64
	s_and_saveexec_b64 s[10:11], vcc
	s_cbranch_execz .LBB362_73
; %bb.7:
	s_load_dwordx2 s[10:11], s[0:1], 0x18
	s_load_dwordx2 s[14:15], s[0:1], 0x8
	s_mul_hi_i32 s9, s24, s8
	s_mul_i32 s8, s24, s8
	s_lshl_b64 s[8:9], s[8:9], 3
	s_waitcnt lgkmcnt(0)
	s_add_u32 s8, s10, s8
	s_addc_u32 s3, s11, s9
	s_lshl_b64 s[10:11], s[24:25], 2
	s_add_u32 s12, s8, s10
	s_addc_u32 s13, s3, s11
	s_and_b32 s9, s3, 0xffff
	s_mul_i32 s3, s2, s25
	s_mul_hi_u32 s16, s2, s24
	s_add_i32 s3, s16, s3
	s_mul_i32 s2, s2, s24
	s_and_b32 s13, s13, 0xffff
	s_lshl_b64 s[2:3], s[2:3], 3
	s_add_u32 s16, s14, s2
	s_addc_u32 s2, s15, s3
	s_add_u32 s20, s16, s10
	s_addc_u32 s3, s2, s11
	s_and_b32 s17, s2, 0xffff
	s_and_b32 s21, s3, 0xffff
	s_mov_b32 s7, 0x20000
	s_add_u32 s0, s0, 48
	v_mov_b32_e32 v65, 0
	s_addc_u32 s1, s1, 0
	s_mov_b64 s[2:3], 0
	s_mov_b32 s11, s7
	s_mov_b32 s10, s6
	s_mov_b32 s18, s6
	s_mov_b32 s19, s7
	s_mov_b32 s27, 0
	s_mov_b32 s28, 0x378e98ab
	s_mov_b32 s29, 0x3b7cd369
	s_mov_b32 s30, 0xbcc618b2
	s_mov_b32 s31, 0x3dda74e4
	s_mov_b32 s33, 0x3f228afd
	s_mov_b32 s34, 0x3e03c728
	s_mov_b32 s35, 0xbfb8aa3b
	s_mov_b32 s36, 0x42ce8ed0
	s_mov_b32 s37, 0xc2b17218
	v_mov_b32_e32 v66, 0x3ba10414
	s_brev_b32 s38, -2
	s_mov_b32 s22, s6
	s_mov_b32 s23, s7
	v_mov_b32_e32 v67, 0xb9c68948
	v_mov_b32_e32 v68, 0x7f800000
                                        ; implicit-def: $vgpr0
                                        ; implicit-def: $vgpr0
	;; [unrolled: 1-line block ×4, first 2 shown]
	s_branch .LBB362_9
.LBB362_8:                              ;   in Loop: Header=BB362_9 Depth=1
	s_or_b64 exec, exec, s[14:15]
	v_bfi_b32 v5, s38, v8, v5
	v_mul_f32_e32 v4, 0.5, v4
	v_add_f32_e32 v5, 1.0, v5
	v_add_f32_e32 v2, v2, v6
	v_bfi_b32 v6, s38, v11, v10
	v_mul_f32_e32 v4, v4, v5
	v_add_f32_e32 v3, v3, v7
	v_mul_f32_e32 v5, 0.5, v9
	v_add_f32_e32 v6, 1.0, v6
	v_mul_f32_e32 v5, v5, v6
	;;#ASMSTART
	v_pk_mul_f32 v[2:3], v[4:5], v[2:3]
	;;#ASMEND
	s_load_dword s14, s[0:1], 0xc
	buffer_store_dwordx4 v[16:19], v69, s[4:7], 0 offen
	buffer_store_dwordx4 v[36:39], v69, s[4:7], 16 offen
	;; [unrolled: 1-line block ×4, first 2 shown]
	s_waitcnt lgkmcnt(0)
	s_and_b32 s14, s14, 0xffff
	s_lshl_b32 s26, s14, 4
	v_lshl_add_u64 v[64:65], s[26:27], 0, v[64:65]
	v_cmp_le_i64_e32 vcc, s[24:25], v[64:65]
	s_or_b64 s[2:3], vcc, s[2:3]
	s_andn2_b64 exec, exec, s[2:3]
	s_cbranch_execz .LBB362_73
.LBB362_9:                              ; =>This Inner Loop Header: Depth=1
	v_lshlrev_b32_e32 v69, 2, v64
	s_mov_b32 s14, s10
	s_mov_b32 s15, s11
	buffer_load_dwordx4 v[56:59], v69, s[16:19], 0 offen
	buffer_load_dwordx4 v[44:47], v69, s[16:19], 16 offen
	;; [unrolled: 1-line block ×16, first 2 shown]
                                        ; implicit-def: $vgpr70
	s_waitcnt vmcnt(7)
	v_add_f32_e32 v56, v56, v60
	v_mul_f32_e32 v60, 0x3f3504f3, v56
	v_cmp_nlt_f32_e64 s[14:15], |v60|, 1.0
	s_and_saveexec_b64 s[40:41], s[14:15]
	s_xor_b64 s[14:15], exec, s[40:41]
	s_cbranch_execz .LBB362_11
; %bb.10:                               ;   in Loop: Header=BB362_9 Depth=1
	v_fma_f32 v70, |v60|, s28, v67
	v_fma_f32 v70, |v60|, v70, s29
	;; [unrolled: 1-line block ×6, first 2 shown]
	v_fma_f32 v70, |v60|, v70, |v60|
	v_mul_f32_e32 v71, 0xbfb8aa3b, v70
	v_fma_f32 v72, v70, s35, -v71
	v_rndne_f32_e32 v73, v71
	v_fmac_f32_e32 v72, 0xb2a5705f, v70
	v_sub_f32_e32 v71, v71, v73
	v_add_f32_e32 v71, v71, v72
	v_cvt_i32_f32_e32 v72, v73
	v_exp_f32_e32 v71, v71
	v_cmp_nlt_f32_e32 vcc, s36, v70
	v_ldexp_f32 v71, v71, v72
	s_nop 0
	v_cndmask_b32_e32 v71, 0, v71, vcc
	v_cmp_ngt_f32_e32 vcc, s37, v70
	s_nop 1
	v_cndmask_b32_e32 v70, v68, v71, vcc
	v_sub_f32_e32 v70, 1.0, v70
.LBB362_11:                             ;   in Loop: Header=BB362_9 Depth=1
	s_andn2_saveexec_b64 s[14:15], s[14:15]
; %bb.12:                               ;   in Loop: Header=BB362_9 Depth=1
	v_mul_f32_e32 v70, v60, v60
	v_fmamk_f32 v71, v70, 0xba1345e1, v66
	v_fmaak_f32 v71, v70, v71, 0xbcdac9b8
	v_fmaak_f32 v71, v70, v71, 0x3de703be
	;; [unrolled: 1-line block ×4, first 2 shown]
	v_fma_f32 v70, |v60|, v70, |v60|
; %bb.13:                               ;   in Loop: Header=BB362_9 Depth=1
	s_or_b64 exec, exec, s[14:15]
	v_add_f32_e32 v57, v57, v61
	v_mul_f32_e32 v61, 0x3f3504f3, v57
	v_cmp_nlt_f32_e64 s[14:15], |v61|, 1.0
                                        ; implicit-def: $vgpr71
	s_and_saveexec_b64 s[40:41], s[14:15]
	s_xor_b64 s[14:15], exec, s[40:41]
	s_cbranch_execz .LBB362_15
; %bb.14:                               ;   in Loop: Header=BB362_9 Depth=1
	v_fma_f32 v71, |v61|, s28, v67
	v_fma_f32 v71, |v61|, v71, s29
	v_fma_f32 v71, |v61|, v71, s30
	v_fma_f32 v71, |v61|, v71, s31
	v_fma_f32 v71, |v61|, v71, s33
	v_fma_f32 v71, |v61|, v71, s34
	v_fma_f32 v71, |v61|, v71, |v61|
	v_mul_f32_e32 v72, 0xbfb8aa3b, v71
	v_fma_f32 v73, v71, s35, -v72
	v_rndne_f32_e32 v74, v72
	v_fmac_f32_e32 v73, 0xb2a5705f, v71
	v_sub_f32_e32 v72, v72, v74
	v_add_f32_e32 v72, v72, v73
	v_cvt_i32_f32_e32 v73, v74
	v_exp_f32_e32 v72, v72
	v_cmp_nlt_f32_e32 vcc, s36, v71
	v_ldexp_f32 v72, v72, v73
	s_nop 0
	v_cndmask_b32_e32 v72, 0, v72, vcc
	v_cmp_ngt_f32_e32 vcc, s37, v71
	s_nop 1
	v_cndmask_b32_e32 v71, v68, v72, vcc
	v_sub_f32_e32 v71, 1.0, v71
.LBB362_15:                             ;   in Loop: Header=BB362_9 Depth=1
	s_andn2_saveexec_b64 s[14:15], s[14:15]
; %bb.16:                               ;   in Loop: Header=BB362_9 Depth=1
	v_mul_f32_e32 v71, v61, v61
	v_fmamk_f32 v72, v71, 0xba1345e1, v66
	v_fmaak_f32 v72, v71, v72, 0xbcdac9b8
	v_fmaak_f32 v72, v71, v72, 0x3de703be
	;; [unrolled: 1-line block ×4, first 2 shown]
	v_fma_f32 v71, |v61|, v71, |v61|
; %bb.17:                               ;   in Loop: Header=BB362_9 Depth=1
	s_or_b64 exec, exec, s[14:15]
	s_waitcnt vmcnt(3)
	v_add_f32_e32 v17, v17, v53
	v_bfi_b32 v53, s38, v71, v61
	v_add_f32_e32 v16, v16, v52
	v_mul_f32_e32 v52, 0.5, v57
	v_add_f32_e32 v53, 1.0, v53
	v_bfi_b32 v60, s38, v70, v60
	v_mul_f32_e32 v57, v52, v53
	v_add_f32_e32 v52, v58, v62
	v_mul_f32_e32 v56, 0.5, v56
	v_add_f32_e32 v60, 1.0, v60
	v_mul_f32_e32 v53, 0x3f3504f3, v52
	v_mul_f32_e32 v56, v56, v60
	v_cmp_nlt_f32_e64 s[14:15], |v53|, 1.0
	;;#ASMSTART
	v_pk_mul_f32 v[16:17], v[56:57], v[16:17]
	;;#ASMEND
                                        ; implicit-def: $vgpr56
	s_and_saveexec_b64 s[40:41], s[14:15]
	s_xor_b64 s[14:15], exec, s[40:41]
	s_cbranch_execz .LBB362_19
; %bb.18:                               ;   in Loop: Header=BB362_9 Depth=1
	v_fma_f32 v56, |v53|, s28, v67
	v_fma_f32 v56, |v53|, v56, s29
	;; [unrolled: 1-line block ×6, first 2 shown]
	v_fma_f32 v56, |v53|, v56, |v53|
	v_mul_f32_e32 v57, 0xbfb8aa3b, v56
	v_fma_f32 v58, v56, s35, -v57
	v_rndne_f32_e32 v60, v57
	v_fmac_f32_e32 v58, 0xb2a5705f, v56
	v_sub_f32_e32 v57, v57, v60
	v_add_f32_e32 v57, v57, v58
	v_cvt_i32_f32_e32 v58, v60
	v_exp_f32_e32 v57, v57
	v_cmp_nlt_f32_e32 vcc, s36, v56
	v_ldexp_f32 v57, v57, v58
	s_nop 0
	v_cndmask_b32_e32 v57, 0, v57, vcc
	v_cmp_ngt_f32_e32 vcc, s37, v56
	s_nop 1
	v_cndmask_b32_e32 v56, v68, v57, vcc
	v_sub_f32_e32 v56, 1.0, v56
.LBB362_19:                             ;   in Loop: Header=BB362_9 Depth=1
	s_andn2_saveexec_b64 s[14:15], s[14:15]
; %bb.20:                               ;   in Loop: Header=BB362_9 Depth=1
	v_mul_f32_e32 v56, v53, v53
	v_fmamk_f32 v57, v56, 0xba1345e1, v66
	v_fmaak_f32 v57, v56, v57, 0xbcdac9b8
	v_fmaak_f32 v57, v56, v57, 0x3de703be
	;; [unrolled: 1-line block ×4, first 2 shown]
	v_fma_f32 v56, |v53|, v56, |v53|
; %bb.21:                               ;   in Loop: Header=BB362_9 Depth=1
	s_or_b64 exec, exec, s[14:15]
	v_add_f32_e32 v57, v59, v63
	v_mul_f32_e32 v58, 0x3f3504f3, v57
	v_cmp_nlt_f32_e64 s[14:15], |v58|, 1.0
                                        ; implicit-def: $vgpr59
	s_and_saveexec_b64 s[40:41], s[14:15]
	s_xor_b64 s[14:15], exec, s[40:41]
	s_cbranch_execz .LBB362_23
; %bb.22:                               ;   in Loop: Header=BB362_9 Depth=1
	v_fma_f32 v59, |v58|, s28, v67
	v_fma_f32 v59, |v58|, v59, s29
	v_fma_f32 v59, |v58|, v59, s30
	v_fma_f32 v59, |v58|, v59, s31
	v_fma_f32 v59, |v58|, v59, s33
	v_fma_f32 v59, |v58|, v59, s34
	v_fma_f32 v59, |v58|, v59, |v58|
	v_mul_f32_e32 v60, 0xbfb8aa3b, v59
	v_fma_f32 v61, v59, s35, -v60
	v_rndne_f32_e32 v62, v60
	v_fmac_f32_e32 v61, 0xb2a5705f, v59
	v_sub_f32_e32 v60, v60, v62
	v_add_f32_e32 v60, v60, v61
	v_cvt_i32_f32_e32 v61, v62
	v_exp_f32_e32 v60, v60
	v_cmp_nlt_f32_e32 vcc, s36, v59
	v_ldexp_f32 v60, v60, v61
	s_nop 0
	v_cndmask_b32_e32 v60, 0, v60, vcc
	v_cmp_ngt_f32_e32 vcc, s37, v59
	s_nop 1
	v_cndmask_b32_e32 v59, v68, v60, vcc
	v_sub_f32_e32 v59, 1.0, v59
.LBB362_23:                             ;   in Loop: Header=BB362_9 Depth=1
	s_andn2_saveexec_b64 s[14:15], s[14:15]
; %bb.24:                               ;   in Loop: Header=BB362_9 Depth=1
	v_mul_f32_e32 v59, v58, v58
	v_fmamk_f32 v60, v59, 0xba1345e1, v66
	v_fmaak_f32 v60, v59, v60, 0xbcdac9b8
	v_fmaak_f32 v60, v59, v60, 0x3de703be
	;; [unrolled: 1-line block ×4, first 2 shown]
	v_fma_f32 v59, |v58|, v59, |v58|
; %bb.25:                               ;   in Loop: Header=BB362_9 Depth=1
	s_or_b64 exec, exec, s[14:15]
	v_bfi_b32 v53, s38, v56, v53
	v_add_f32_e32 v44, v44, v48
	v_mul_f32_e32 v52, 0.5, v52
	v_add_f32_e32 v53, 1.0, v53
	v_add_f32_e32 v18, v18, v54
	v_bfi_b32 v54, s38, v59, v58
	v_mul_f32_e32 v48, 0x3f3504f3, v44
	v_mul_f32_e32 v52, v52, v53
	v_add_f32_e32 v19, v19, v55
	v_mul_f32_e32 v53, 0.5, v57
	v_add_f32_e32 v54, 1.0, v54
	v_cmp_nlt_f32_e64 s[14:15], |v48|, 1.0
	v_mul_f32_e32 v53, v53, v54
	;;#ASMSTART
	v_pk_mul_f32 v[18:19], v[52:53], v[18:19]
	;;#ASMEND
                                        ; implicit-def: $vgpr52
	s_and_saveexec_b64 s[40:41], s[14:15]
	s_xor_b64 s[14:15], exec, s[40:41]
	s_cbranch_execz .LBB362_27
; %bb.26:                               ;   in Loop: Header=BB362_9 Depth=1
	v_fma_f32 v52, |v48|, s28, v67
	v_fma_f32 v52, |v48|, v52, s29
	;; [unrolled: 1-line block ×6, first 2 shown]
	v_fma_f32 v52, |v48|, v52, |v48|
	v_mul_f32_e32 v53, 0xbfb8aa3b, v52
	v_fma_f32 v54, v52, s35, -v53
	v_rndne_f32_e32 v55, v53
	v_fmac_f32_e32 v54, 0xb2a5705f, v52
	v_sub_f32_e32 v53, v53, v55
	v_add_f32_e32 v53, v53, v54
	v_cvt_i32_f32_e32 v54, v55
	v_exp_f32_e32 v53, v53
	v_cmp_nlt_f32_e32 vcc, s36, v52
	v_ldexp_f32 v53, v53, v54
	s_nop 0
	v_cndmask_b32_e32 v53, 0, v53, vcc
	v_cmp_ngt_f32_e32 vcc, s37, v52
	s_nop 1
	v_cndmask_b32_e32 v52, v68, v53, vcc
	v_sub_f32_e32 v52, 1.0, v52
.LBB362_27:                             ;   in Loop: Header=BB362_9 Depth=1
	s_andn2_saveexec_b64 s[14:15], s[14:15]
; %bb.28:                               ;   in Loop: Header=BB362_9 Depth=1
	v_mul_f32_e32 v52, v48, v48
	v_fmamk_f32 v53, v52, 0xba1345e1, v66
	v_fmaak_f32 v53, v52, v53, 0xbcdac9b8
	v_fmaak_f32 v53, v52, v53, 0x3de703be
	;; [unrolled: 1-line block ×4, first 2 shown]
	v_fma_f32 v52, |v48|, v52, |v48|
; %bb.29:                               ;   in Loop: Header=BB362_9 Depth=1
	s_or_b64 exec, exec, s[14:15]
	v_add_f32_e32 v45, v45, v49
	v_mul_f32_e32 v49, 0x3f3504f3, v45
	v_cmp_nlt_f32_e64 s[14:15], |v49|, 1.0
                                        ; implicit-def: $vgpr53
	s_and_saveexec_b64 s[40:41], s[14:15]
	s_xor_b64 s[14:15], exec, s[40:41]
	s_cbranch_execz .LBB362_31
; %bb.30:                               ;   in Loop: Header=BB362_9 Depth=1
	v_fma_f32 v53, |v49|, s28, v67
	v_fma_f32 v53, |v49|, v53, s29
	;; [unrolled: 1-line block ×6, first 2 shown]
	v_fma_f32 v53, |v49|, v53, |v49|
	v_mul_f32_e32 v54, 0xbfb8aa3b, v53
	v_fma_f32 v55, v53, s35, -v54
	v_rndne_f32_e32 v56, v54
	v_fmac_f32_e32 v55, 0xb2a5705f, v53
	v_sub_f32_e32 v54, v54, v56
	v_add_f32_e32 v54, v54, v55
	v_cvt_i32_f32_e32 v55, v56
	v_exp_f32_e32 v54, v54
	v_cmp_nlt_f32_e32 vcc, s36, v53
	v_ldexp_f32 v54, v54, v55
	s_nop 0
	v_cndmask_b32_e32 v54, 0, v54, vcc
	v_cmp_ngt_f32_e32 vcc, s37, v53
	s_nop 1
	v_cndmask_b32_e32 v53, v68, v54, vcc
	v_sub_f32_e32 v53, 1.0, v53
.LBB362_31:                             ;   in Loop: Header=BB362_9 Depth=1
	s_andn2_saveexec_b64 s[14:15], s[14:15]
; %bb.32:                               ;   in Loop: Header=BB362_9 Depth=1
	v_mul_f32_e32 v53, v49, v49
	v_fmamk_f32 v54, v53, 0xba1345e1, v66
	v_fmaak_f32 v54, v53, v54, 0xbcdac9b8
	v_fmaak_f32 v54, v53, v54, 0x3de703be
	;; [unrolled: 1-line block ×4, first 2 shown]
	v_fma_f32 v53, |v49|, v53, |v49|
; %bb.33:                               ;   in Loop: Header=BB362_9 Depth=1
	s_or_b64 exec, exec, s[14:15]
	s_waitcnt vmcnt(2)
	v_add_f32_e32 v37, v37, v41
	v_bfi_b32 v41, s38, v53, v49
	v_add_f32_e32 v36, v36, v40
	v_mul_f32_e32 v40, 0.5, v45
	v_add_f32_e32 v41, 1.0, v41
	v_bfi_b32 v48, s38, v52, v48
	v_mul_f32_e32 v45, v40, v41
	v_add_f32_e32 v40, v46, v50
	v_mul_f32_e32 v44, 0.5, v44
	v_add_f32_e32 v48, 1.0, v48
	v_mul_f32_e32 v41, 0x3f3504f3, v40
	v_mul_f32_e32 v44, v44, v48
	v_cmp_nlt_f32_e64 s[14:15], |v41|, 1.0
	;;#ASMSTART
	v_pk_mul_f32 v[36:37], v[44:45], v[36:37]
	;;#ASMEND
                                        ; implicit-def: $vgpr44
	s_and_saveexec_b64 s[40:41], s[14:15]
	s_xor_b64 s[14:15], exec, s[40:41]
	s_cbranch_execz .LBB362_35
; %bb.34:                               ;   in Loop: Header=BB362_9 Depth=1
	v_fma_f32 v44, |v41|, s28, v67
	v_fma_f32 v44, |v41|, v44, s29
	;; [unrolled: 1-line block ×6, first 2 shown]
	v_fma_f32 v44, |v41|, v44, |v41|
	v_mul_f32_e32 v45, 0xbfb8aa3b, v44
	v_fma_f32 v46, v44, s35, -v45
	v_rndne_f32_e32 v48, v45
	v_fmac_f32_e32 v46, 0xb2a5705f, v44
	v_sub_f32_e32 v45, v45, v48
	v_add_f32_e32 v45, v45, v46
	v_cvt_i32_f32_e32 v46, v48
	v_exp_f32_e32 v45, v45
	v_cmp_nlt_f32_e32 vcc, s36, v44
	v_ldexp_f32 v45, v45, v46
	s_nop 0
	v_cndmask_b32_e32 v45, 0, v45, vcc
	v_cmp_ngt_f32_e32 vcc, s37, v44
	s_nop 1
	v_cndmask_b32_e32 v44, v68, v45, vcc
	v_sub_f32_e32 v44, 1.0, v44
.LBB362_35:                             ;   in Loop: Header=BB362_9 Depth=1
	s_andn2_saveexec_b64 s[14:15], s[14:15]
; %bb.36:                               ;   in Loop: Header=BB362_9 Depth=1
	v_mul_f32_e32 v44, v41, v41
	v_fmamk_f32 v45, v44, 0xba1345e1, v66
	v_fmaak_f32 v45, v44, v45, 0xbcdac9b8
	v_fmaak_f32 v45, v44, v45, 0x3de703be
	;; [unrolled: 1-line block ×4, first 2 shown]
	v_fma_f32 v44, |v41|, v44, |v41|
; %bb.37:                               ;   in Loop: Header=BB362_9 Depth=1
	s_or_b64 exec, exec, s[14:15]
	v_add_f32_e32 v45, v47, v51
	v_mul_f32_e32 v46, 0x3f3504f3, v45
	v_cmp_nlt_f32_e64 s[14:15], |v46|, 1.0
                                        ; implicit-def: $vgpr47
	s_and_saveexec_b64 s[40:41], s[14:15]
	s_xor_b64 s[14:15], exec, s[40:41]
	s_cbranch_execz .LBB362_39
; %bb.38:                               ;   in Loop: Header=BB362_9 Depth=1
	v_fma_f32 v47, |v46|, s28, v67
	v_fma_f32 v47, |v46|, v47, s29
	;; [unrolled: 1-line block ×6, first 2 shown]
	v_fma_f32 v47, |v46|, v47, |v46|
	v_mul_f32_e32 v48, 0xbfb8aa3b, v47
	v_fma_f32 v49, v47, s35, -v48
	v_rndne_f32_e32 v50, v48
	v_fmac_f32_e32 v49, 0xb2a5705f, v47
	v_sub_f32_e32 v48, v48, v50
	v_add_f32_e32 v48, v48, v49
	v_cvt_i32_f32_e32 v49, v50
	v_exp_f32_e32 v48, v48
	v_cmp_nlt_f32_e32 vcc, s36, v47
	v_ldexp_f32 v48, v48, v49
	s_nop 0
	v_cndmask_b32_e32 v48, 0, v48, vcc
	v_cmp_ngt_f32_e32 vcc, s37, v47
	s_nop 1
	v_cndmask_b32_e32 v47, v68, v48, vcc
	v_sub_f32_e32 v47, 1.0, v47
.LBB362_39:                             ;   in Loop: Header=BB362_9 Depth=1
	s_andn2_saveexec_b64 s[14:15], s[14:15]
; %bb.40:                               ;   in Loop: Header=BB362_9 Depth=1
	v_mul_f32_e32 v47, v46, v46
	v_fmamk_f32 v48, v47, 0xba1345e1, v66
	v_fmaak_f32 v48, v47, v48, 0xbcdac9b8
	v_fmaak_f32 v48, v47, v48, 0x3de703be
	;; [unrolled: 1-line block ×4, first 2 shown]
	v_fma_f32 v47, |v46|, v47, |v46|
; %bb.41:                               ;   in Loop: Header=BB362_9 Depth=1
	s_or_b64 exec, exec, s[14:15]
	v_bfi_b32 v41, s38, v44, v41
	v_add_f32_e32 v28, v28, v32
	v_mul_f32_e32 v40, 0.5, v40
	v_add_f32_e32 v41, 1.0, v41
	v_add_f32_e32 v38, v38, v42
	v_bfi_b32 v42, s38, v47, v46
	v_mul_f32_e32 v32, 0x3f3504f3, v28
	v_mul_f32_e32 v40, v40, v41
	v_add_f32_e32 v39, v39, v43
	v_mul_f32_e32 v41, 0.5, v45
	v_add_f32_e32 v42, 1.0, v42
	v_cmp_nlt_f32_e64 s[14:15], |v32|, 1.0
	v_mul_f32_e32 v41, v41, v42
	;;#ASMSTART
	v_pk_mul_f32 v[38:39], v[40:41], v[38:39]
	;;#ASMEND
                                        ; implicit-def: $vgpr40
	s_and_saveexec_b64 s[40:41], s[14:15]
	s_xor_b64 s[14:15], exec, s[40:41]
	s_cbranch_execz .LBB362_43
; %bb.42:                               ;   in Loop: Header=BB362_9 Depth=1
	v_fma_f32 v40, |v32|, s28, v67
	v_fma_f32 v40, |v32|, v40, s29
	;; [unrolled: 1-line block ×6, first 2 shown]
	v_fma_f32 v40, |v32|, v40, |v32|
	v_mul_f32_e32 v41, 0xbfb8aa3b, v40
	v_fma_f32 v42, v40, s35, -v41
	v_rndne_f32_e32 v43, v41
	v_fmac_f32_e32 v42, 0xb2a5705f, v40
	v_sub_f32_e32 v41, v41, v43
	v_add_f32_e32 v41, v41, v42
	v_cvt_i32_f32_e32 v42, v43
	v_exp_f32_e32 v41, v41
	v_cmp_nlt_f32_e32 vcc, s36, v40
	v_ldexp_f32 v41, v41, v42
	s_nop 0
	v_cndmask_b32_e32 v41, 0, v41, vcc
	v_cmp_ngt_f32_e32 vcc, s37, v40
	s_nop 1
	v_cndmask_b32_e32 v40, v68, v41, vcc
	v_sub_f32_e32 v40, 1.0, v40
.LBB362_43:                             ;   in Loop: Header=BB362_9 Depth=1
	s_andn2_saveexec_b64 s[14:15], s[14:15]
; %bb.44:                               ;   in Loop: Header=BB362_9 Depth=1
	v_mul_f32_e32 v40, v32, v32
	v_fmamk_f32 v41, v40, 0xba1345e1, v66
	v_fmaak_f32 v41, v40, v41, 0xbcdac9b8
	v_fmaak_f32 v41, v40, v41, 0x3de703be
	;; [unrolled: 1-line block ×4, first 2 shown]
	v_fma_f32 v40, |v32|, v40, |v32|
; %bb.45:                               ;   in Loop: Header=BB362_9 Depth=1
	s_or_b64 exec, exec, s[14:15]
	v_add_f32_e32 v29, v29, v33
	v_mul_f32_e32 v33, 0x3f3504f3, v29
	v_cmp_nlt_f32_e64 s[14:15], |v33|, 1.0
                                        ; implicit-def: $vgpr41
	s_and_saveexec_b64 s[40:41], s[14:15]
	s_xor_b64 s[14:15], exec, s[40:41]
	s_cbranch_execz .LBB362_47
; %bb.46:                               ;   in Loop: Header=BB362_9 Depth=1
	v_fma_f32 v41, |v33|, s28, v67
	v_fma_f32 v41, |v33|, v41, s29
	v_fma_f32 v41, |v33|, v41, s30
	v_fma_f32 v41, |v33|, v41, s31
	v_fma_f32 v41, |v33|, v41, s33
	v_fma_f32 v41, |v33|, v41, s34
	v_fma_f32 v41, |v33|, v41, |v33|
	v_mul_f32_e32 v42, 0xbfb8aa3b, v41
	v_fma_f32 v43, v41, s35, -v42
	v_rndne_f32_e32 v44, v42
	v_fmac_f32_e32 v43, 0xb2a5705f, v41
	v_sub_f32_e32 v42, v42, v44
	v_add_f32_e32 v42, v42, v43
	v_cvt_i32_f32_e32 v43, v44
	v_exp_f32_e32 v42, v42
	v_cmp_nlt_f32_e32 vcc, s36, v41
	v_ldexp_f32 v42, v42, v43
	s_nop 0
	v_cndmask_b32_e32 v42, 0, v42, vcc
	v_cmp_ngt_f32_e32 vcc, s37, v41
	s_nop 1
	v_cndmask_b32_e32 v41, v68, v42, vcc
	v_sub_f32_e32 v41, 1.0, v41
.LBB362_47:                             ;   in Loop: Header=BB362_9 Depth=1
	s_andn2_saveexec_b64 s[14:15], s[14:15]
; %bb.48:                               ;   in Loop: Header=BB362_9 Depth=1
	v_mul_f32_e32 v41, v33, v33
	v_fmamk_f32 v42, v41, 0xba1345e1, v66
	v_fmaak_f32 v42, v41, v42, 0xbcdac9b8
	v_fmaak_f32 v42, v41, v42, 0x3de703be
	;; [unrolled: 1-line block ×4, first 2 shown]
	v_fma_f32 v41, |v33|, v41, |v33|
; %bb.49:                               ;   in Loop: Header=BB362_9 Depth=1
	s_or_b64 exec, exec, s[14:15]
	s_waitcnt vmcnt(1)
	v_add_f32_e32 v21, v21, v25
	v_bfi_b32 v25, s38, v41, v33
	v_add_f32_e32 v20, v20, v24
	v_mul_f32_e32 v24, 0.5, v29
	v_add_f32_e32 v25, 1.0, v25
	v_bfi_b32 v32, s38, v40, v32
	v_mul_f32_e32 v29, v24, v25
	v_add_f32_e32 v24, v30, v34
	v_mul_f32_e32 v28, 0.5, v28
	v_add_f32_e32 v32, 1.0, v32
	v_mul_f32_e32 v25, 0x3f3504f3, v24
	v_mul_f32_e32 v28, v28, v32
	v_cmp_nlt_f32_e64 s[14:15], |v25|, 1.0
	;;#ASMSTART
	v_pk_mul_f32 v[20:21], v[28:29], v[20:21]
	;;#ASMEND
                                        ; implicit-def: $vgpr28
	s_and_saveexec_b64 s[40:41], s[14:15]
	s_xor_b64 s[14:15], exec, s[40:41]
	s_cbranch_execz .LBB362_51
; %bb.50:                               ;   in Loop: Header=BB362_9 Depth=1
	v_fma_f32 v28, |v25|, s28, v67
	v_fma_f32 v28, |v25|, v28, s29
	v_fma_f32 v28, |v25|, v28, s30
	v_fma_f32 v28, |v25|, v28, s31
	v_fma_f32 v28, |v25|, v28, s33
	v_fma_f32 v28, |v25|, v28, s34
	v_fma_f32 v28, |v25|, v28, |v25|
	v_mul_f32_e32 v29, 0xbfb8aa3b, v28
	v_fma_f32 v30, v28, s35, -v29
	v_rndne_f32_e32 v32, v29
	v_fmac_f32_e32 v30, 0xb2a5705f, v28
	v_sub_f32_e32 v29, v29, v32
	v_add_f32_e32 v29, v29, v30
	v_cvt_i32_f32_e32 v30, v32
	v_exp_f32_e32 v29, v29
	v_cmp_nlt_f32_e32 vcc, s36, v28
	v_ldexp_f32 v29, v29, v30
	s_nop 0
	v_cndmask_b32_e32 v29, 0, v29, vcc
	v_cmp_ngt_f32_e32 vcc, s37, v28
	s_nop 1
	v_cndmask_b32_e32 v28, v68, v29, vcc
	v_sub_f32_e32 v28, 1.0, v28
.LBB362_51:                             ;   in Loop: Header=BB362_9 Depth=1
	s_andn2_saveexec_b64 s[14:15], s[14:15]
; %bb.52:                               ;   in Loop: Header=BB362_9 Depth=1
	v_mul_f32_e32 v28, v25, v25
	v_fmamk_f32 v29, v28, 0xba1345e1, v66
	v_fmaak_f32 v29, v28, v29, 0xbcdac9b8
	v_fmaak_f32 v29, v28, v29, 0x3de703be
	;; [unrolled: 1-line block ×4, first 2 shown]
	v_fma_f32 v28, |v25|, v28, |v25|
; %bb.53:                               ;   in Loop: Header=BB362_9 Depth=1
	s_or_b64 exec, exec, s[14:15]
	v_add_f32_e32 v29, v31, v35
	v_mul_f32_e32 v30, 0x3f3504f3, v29
	v_cmp_nlt_f32_e64 s[14:15], |v30|, 1.0
                                        ; implicit-def: $vgpr31
	s_and_saveexec_b64 s[40:41], s[14:15]
	s_xor_b64 s[14:15], exec, s[40:41]
	s_cbranch_execz .LBB362_55
; %bb.54:                               ;   in Loop: Header=BB362_9 Depth=1
	v_fma_f32 v31, |v30|, s28, v67
	v_fma_f32 v31, |v30|, v31, s29
	;; [unrolled: 1-line block ×6, first 2 shown]
	v_fma_f32 v31, |v30|, v31, |v30|
	v_mul_f32_e32 v32, 0xbfb8aa3b, v31
	v_fma_f32 v33, v31, s35, -v32
	v_rndne_f32_e32 v34, v32
	v_fmac_f32_e32 v33, 0xb2a5705f, v31
	v_sub_f32_e32 v32, v32, v34
	v_add_f32_e32 v32, v32, v33
	v_cvt_i32_f32_e32 v33, v34
	v_exp_f32_e32 v32, v32
	v_cmp_nlt_f32_e32 vcc, s36, v31
	v_ldexp_f32 v32, v32, v33
	s_nop 0
	v_cndmask_b32_e32 v32, 0, v32, vcc
	v_cmp_ngt_f32_e32 vcc, s37, v31
	s_nop 1
	v_cndmask_b32_e32 v31, v68, v32, vcc
	v_sub_f32_e32 v31, 1.0, v31
.LBB362_55:                             ;   in Loop: Header=BB362_9 Depth=1
	s_andn2_saveexec_b64 s[14:15], s[14:15]
; %bb.56:                               ;   in Loop: Header=BB362_9 Depth=1
	v_mul_f32_e32 v31, v30, v30
	v_fmamk_f32 v32, v31, 0xba1345e1, v66
	v_fmaak_f32 v32, v31, v32, 0xbcdac9b8
	v_fmaak_f32 v32, v31, v32, 0x3de703be
	;; [unrolled: 1-line block ×4, first 2 shown]
	v_fma_f32 v31, |v30|, v31, |v30|
; %bb.57:                               ;   in Loop: Header=BB362_9 Depth=1
	s_or_b64 exec, exec, s[14:15]
	v_bfi_b32 v25, s38, v28, v25
	v_add_f32_e32 v8, v8, v12
	v_mul_f32_e32 v24, 0.5, v24
	v_add_f32_e32 v25, 1.0, v25
	v_add_f32_e32 v22, v22, v26
	v_bfi_b32 v26, s38, v31, v30
	v_mul_f32_e32 v12, 0x3f3504f3, v8
	v_mul_f32_e32 v24, v24, v25
	v_add_f32_e32 v23, v23, v27
	v_mul_f32_e32 v25, 0.5, v29
	v_add_f32_e32 v26, 1.0, v26
	v_cmp_nlt_f32_e64 s[14:15], |v12|, 1.0
	v_mul_f32_e32 v25, v25, v26
	;;#ASMSTART
	v_pk_mul_f32 v[22:23], v[24:25], v[22:23]
	;;#ASMEND
                                        ; implicit-def: $vgpr24
	s_and_saveexec_b64 s[40:41], s[14:15]
	s_xor_b64 s[14:15], exec, s[40:41]
	s_cbranch_execz .LBB362_59
; %bb.58:                               ;   in Loop: Header=BB362_9 Depth=1
	v_fma_f32 v24, |v12|, s28, v67
	v_fma_f32 v24, |v12|, v24, s29
	;; [unrolled: 1-line block ×6, first 2 shown]
	v_fma_f32 v24, |v12|, v24, |v12|
	v_mul_f32_e32 v25, 0xbfb8aa3b, v24
	v_fma_f32 v26, v24, s35, -v25
	v_rndne_f32_e32 v27, v25
	v_fmac_f32_e32 v26, 0xb2a5705f, v24
	v_sub_f32_e32 v25, v25, v27
	v_add_f32_e32 v25, v25, v26
	v_cvt_i32_f32_e32 v26, v27
	v_exp_f32_e32 v25, v25
	v_cmp_nlt_f32_e32 vcc, s36, v24
	v_ldexp_f32 v25, v25, v26
	s_nop 0
	v_cndmask_b32_e32 v25, 0, v25, vcc
	v_cmp_ngt_f32_e32 vcc, s37, v24
	s_nop 1
	v_cndmask_b32_e32 v24, v68, v25, vcc
	v_sub_f32_e32 v24, 1.0, v24
.LBB362_59:                             ;   in Loop: Header=BB362_9 Depth=1
	s_andn2_saveexec_b64 s[14:15], s[14:15]
; %bb.60:                               ;   in Loop: Header=BB362_9 Depth=1
	v_mul_f32_e32 v24, v12, v12
	v_fmamk_f32 v25, v24, 0xba1345e1, v66
	v_fmaak_f32 v25, v24, v25, 0xbcdac9b8
	v_fmaak_f32 v25, v24, v25, 0x3de703be
	;; [unrolled: 1-line block ×4, first 2 shown]
	v_fma_f32 v24, |v12|, v24, |v12|
; %bb.61:                               ;   in Loop: Header=BB362_9 Depth=1
	s_or_b64 exec, exec, s[14:15]
	v_add_f32_e32 v9, v9, v13
	v_mul_f32_e32 v13, 0x3f3504f3, v9
	v_cmp_nlt_f32_e64 s[14:15], |v13|, 1.0
                                        ; implicit-def: $vgpr25
	s_and_saveexec_b64 s[40:41], s[14:15]
	s_xor_b64 s[14:15], exec, s[40:41]
	s_cbranch_execz .LBB362_63
; %bb.62:                               ;   in Loop: Header=BB362_9 Depth=1
	v_fma_f32 v25, |v13|, s28, v67
	v_fma_f32 v25, |v13|, v25, s29
	;; [unrolled: 1-line block ×6, first 2 shown]
	v_fma_f32 v25, |v13|, v25, |v13|
	v_mul_f32_e32 v26, 0xbfb8aa3b, v25
	v_fma_f32 v27, v25, s35, -v26
	v_rndne_f32_e32 v28, v26
	v_fmac_f32_e32 v27, 0xb2a5705f, v25
	v_sub_f32_e32 v26, v26, v28
	v_add_f32_e32 v26, v26, v27
	v_cvt_i32_f32_e32 v27, v28
	v_exp_f32_e32 v26, v26
	v_cmp_nlt_f32_e32 vcc, s36, v25
	v_ldexp_f32 v26, v26, v27
	s_nop 0
	v_cndmask_b32_e32 v26, 0, v26, vcc
	v_cmp_ngt_f32_e32 vcc, s37, v25
	s_nop 1
	v_cndmask_b32_e32 v25, v68, v26, vcc
	v_sub_f32_e32 v25, 1.0, v25
.LBB362_63:                             ;   in Loop: Header=BB362_9 Depth=1
	s_andn2_saveexec_b64 s[14:15], s[14:15]
; %bb.64:                               ;   in Loop: Header=BB362_9 Depth=1
	v_mul_f32_e32 v25, v13, v13
	v_fmamk_f32 v26, v25, 0xba1345e1, v66
	v_fmaak_f32 v26, v25, v26, 0xbcdac9b8
	v_fmaak_f32 v26, v25, v26, 0x3de703be
	;; [unrolled: 1-line block ×4, first 2 shown]
	v_fma_f32 v25, |v13|, v25, |v13|
; %bb.65:                               ;   in Loop: Header=BB362_9 Depth=1
	s_or_b64 exec, exec, s[14:15]
	s_waitcnt vmcnt(0)
	v_add_f32_e32 v1, v1, v5
	v_bfi_b32 v5, s38, v25, v13
	v_add_f32_e32 v0, v0, v4
	v_mul_f32_e32 v4, 0.5, v9
	v_add_f32_e32 v5, 1.0, v5
	v_bfi_b32 v12, s38, v24, v12
	v_mul_f32_e32 v9, v4, v5
	v_add_f32_e32 v4, v10, v14
	v_mul_f32_e32 v8, 0.5, v8
	v_add_f32_e32 v12, 1.0, v12
	v_mul_f32_e32 v5, 0x3f3504f3, v4
	v_mul_f32_e32 v8, v8, v12
	v_cmp_nlt_f32_e64 s[14:15], |v5|, 1.0
	;;#ASMSTART
	v_pk_mul_f32 v[0:1], v[8:9], v[0:1]
	;;#ASMEND
                                        ; implicit-def: $vgpr8
	s_and_saveexec_b64 s[40:41], s[14:15]
	s_xor_b64 s[14:15], exec, s[40:41]
	s_cbranch_execz .LBB362_67
; %bb.66:                               ;   in Loop: Header=BB362_9 Depth=1
	v_fma_f32 v8, |v5|, s28, v67
	v_fma_f32 v8, |v5|, v8, s29
	;; [unrolled: 1-line block ×6, first 2 shown]
	v_fma_f32 v8, |v5|, v8, |v5|
	v_mul_f32_e32 v9, 0xbfb8aa3b, v8
	v_fma_f32 v10, v8, s35, -v9
	v_rndne_f32_e32 v12, v9
	v_fmac_f32_e32 v10, 0xb2a5705f, v8
	v_sub_f32_e32 v9, v9, v12
	v_add_f32_e32 v9, v9, v10
	v_cvt_i32_f32_e32 v10, v12
	v_exp_f32_e32 v9, v9
	v_cmp_nlt_f32_e32 vcc, s36, v8
	v_ldexp_f32 v9, v9, v10
	s_nop 0
	v_cndmask_b32_e32 v9, 0, v9, vcc
	v_cmp_ngt_f32_e32 vcc, s37, v8
	s_nop 1
	v_cndmask_b32_e32 v8, v68, v9, vcc
	v_sub_f32_e32 v8, 1.0, v8
.LBB362_67:                             ;   in Loop: Header=BB362_9 Depth=1
	s_andn2_saveexec_b64 s[14:15], s[14:15]
; %bb.68:                               ;   in Loop: Header=BB362_9 Depth=1
	v_mul_f32_e32 v8, v5, v5
	v_fmamk_f32 v9, v8, 0xba1345e1, v66
	v_fmaak_f32 v9, v8, v9, 0xbcdac9b8
	v_fmaak_f32 v9, v8, v9, 0x3de703be
	;; [unrolled: 1-line block ×4, first 2 shown]
	v_fma_f32 v8, |v5|, v8, |v5|
; %bb.69:                               ;   in Loop: Header=BB362_9 Depth=1
	s_or_b64 exec, exec, s[14:15]
	v_add_f32_e32 v9, v11, v15
	v_mul_f32_e32 v10, 0x3f3504f3, v9
	v_cmp_nlt_f32_e64 s[14:15], |v10|, 1.0
                                        ; implicit-def: $vgpr11
	s_and_saveexec_b64 s[40:41], s[14:15]
	s_xor_b64 s[14:15], exec, s[40:41]
	s_cbranch_execz .LBB362_71
; %bb.70:                               ;   in Loop: Header=BB362_9 Depth=1
	v_fma_f32 v11, |v10|, s28, v67
	v_fma_f32 v11, |v10|, v11, s29
	;; [unrolled: 1-line block ×6, first 2 shown]
	v_fma_f32 v11, |v10|, v11, |v10|
	v_mul_f32_e32 v12, 0xbfb8aa3b, v11
	v_fma_f32 v13, v11, s35, -v12
	v_rndne_f32_e32 v14, v12
	v_fmac_f32_e32 v13, 0xb2a5705f, v11
	v_sub_f32_e32 v12, v12, v14
	v_add_f32_e32 v12, v12, v13
	v_cvt_i32_f32_e32 v13, v14
	v_exp_f32_e32 v12, v12
	v_cmp_nlt_f32_e32 vcc, s36, v11
	v_ldexp_f32 v12, v12, v13
	s_nop 0
	v_cndmask_b32_e32 v12, 0, v12, vcc
	v_cmp_ngt_f32_e32 vcc, s37, v11
	s_nop 1
	v_cndmask_b32_e32 v11, v68, v12, vcc
	v_sub_f32_e32 v11, 1.0, v11
.LBB362_71:                             ;   in Loop: Header=BB362_9 Depth=1
	s_andn2_saveexec_b64 s[14:15], s[14:15]
	s_cbranch_execz .LBB362_8
; %bb.72:                               ;   in Loop: Header=BB362_9 Depth=1
	v_mul_f32_e32 v11, v10, v10
	v_fmamk_f32 v12, v11, 0xba1345e1, v66
	v_fmaak_f32 v12, v11, v12, 0xbcdac9b8
	v_fmaak_f32 v12, v11, v12, 0x3de703be
	;; [unrolled: 1-line block ×4, first 2 shown]
	v_fma_f32 v11, |v10|, v11, |v10|
	s_branch .LBB362_8
.LBB362_73:
	s_endpgm
	.section	.rodata,"a",@progbits
	.p2align	6, 0x0
	.amdhsa_kernel _ZN5aiter23act_and_mul_bias_kernelIffhfTnPFfRKT2_EXadL_ZNS_11gelu_kernelIfEEfRKT_EELi16EEEvPT0_PS8_PKT1_PS2_il
		.amdhsa_group_segment_fixed_size 0
		.amdhsa_private_segment_fixed_size 0
		.amdhsa_kernarg_size 304
		.amdhsa_user_sgpr_count 2
		.amdhsa_user_sgpr_dispatch_ptr 0
		.amdhsa_user_sgpr_queue_ptr 0
		.amdhsa_user_sgpr_kernarg_segment_ptr 1
		.amdhsa_user_sgpr_dispatch_id 0
		.amdhsa_user_sgpr_kernarg_preload_length 0
		.amdhsa_user_sgpr_kernarg_preload_offset 0
		.amdhsa_user_sgpr_private_segment_size 0
		.amdhsa_uses_dynamic_stack 0
		.amdhsa_enable_private_segment 0
		.amdhsa_system_sgpr_workgroup_id_x 1
		.amdhsa_system_sgpr_workgroup_id_y 0
		.amdhsa_system_sgpr_workgroup_id_z 0
		.amdhsa_system_sgpr_workgroup_info 0
		.amdhsa_system_vgpr_workitem_id 0
		.amdhsa_next_free_vgpr 75
		.amdhsa_next_free_sgpr 42
		.amdhsa_accum_offset 76
		.amdhsa_reserve_vcc 1
		.amdhsa_float_round_mode_32 0
		.amdhsa_float_round_mode_16_64 0
		.amdhsa_float_denorm_mode_32 3
		.amdhsa_float_denorm_mode_16_64 3
		.amdhsa_dx10_clamp 1
		.amdhsa_ieee_mode 1
		.amdhsa_fp16_overflow 0
		.amdhsa_tg_split 0
		.amdhsa_exception_fp_ieee_invalid_op 0
		.amdhsa_exception_fp_denorm_src 0
		.amdhsa_exception_fp_ieee_div_zero 0
		.amdhsa_exception_fp_ieee_overflow 0
		.amdhsa_exception_fp_ieee_underflow 0
		.amdhsa_exception_fp_ieee_inexact 0
		.amdhsa_exception_int_div_zero 0
	.end_amdhsa_kernel
	.section	.text._ZN5aiter23act_and_mul_bias_kernelIffhfTnPFfRKT2_EXadL_ZNS_11gelu_kernelIfEEfRKT_EELi16EEEvPT0_PS8_PKT1_PS2_il,"axG",@progbits,_ZN5aiter23act_and_mul_bias_kernelIffhfTnPFfRKT2_EXadL_ZNS_11gelu_kernelIfEEfRKT_EELi16EEEvPT0_PS8_PKT1_PS2_il,comdat
.Lfunc_end362:
	.size	_ZN5aiter23act_and_mul_bias_kernelIffhfTnPFfRKT2_EXadL_ZNS_11gelu_kernelIfEEfRKT_EELi16EEEvPT0_PS8_PKT1_PS2_il, .Lfunc_end362-_ZN5aiter23act_and_mul_bias_kernelIffhfTnPFfRKT2_EXadL_ZNS_11gelu_kernelIfEEfRKT_EELi16EEEvPT0_PS8_PKT1_PS2_il
                                        ; -- End function
	.section	.AMDGPU.csdata,"",@progbits
; Kernel info:
; codeLenInByte = 4940
; NumSgprs: 48
; NumVgprs: 75
; NumAgprs: 0
; TotalNumVgprs: 75
; ScratchSize: 0
; MemoryBound: 0
; FloatMode: 240
; IeeeMode: 1
; LDSByteSize: 0 bytes/workgroup (compile time only)
; SGPRBlocks: 5
; VGPRBlocks: 9
; NumSGPRsForWavesPerEU: 48
; NumVGPRsForWavesPerEU: 75
; AccumOffset: 76
; Occupancy: 6
; WaveLimiterHint : 0
; COMPUTE_PGM_RSRC2:SCRATCH_EN: 0
; COMPUTE_PGM_RSRC2:USER_SGPR: 2
; COMPUTE_PGM_RSRC2:TRAP_HANDLER: 0
; COMPUTE_PGM_RSRC2:TGID_X_EN: 1
; COMPUTE_PGM_RSRC2:TGID_Y_EN: 0
; COMPUTE_PGM_RSRC2:TGID_Z_EN: 0
; COMPUTE_PGM_RSRC2:TIDIG_COMP_CNT: 0
; COMPUTE_PGM_RSRC3_GFX90A:ACCUM_OFFSET: 18
; COMPUTE_PGM_RSRC3_GFX90A:TG_SPLIT: 0
	.section	.text._ZN5aiter23act_and_mul_bias_kernelIffhfTnPFfRKT2_EXadL_ZNS_11gelu_kernelIfEEfRKT_EELi8EEEvPT0_PS8_PKT1_PS2_il,"axG",@progbits,_ZN5aiter23act_and_mul_bias_kernelIffhfTnPFfRKT2_EXadL_ZNS_11gelu_kernelIfEEfRKT_EELi8EEEvPT0_PS8_PKT1_PS2_il,comdat
	.protected	_ZN5aiter23act_and_mul_bias_kernelIffhfTnPFfRKT2_EXadL_ZNS_11gelu_kernelIfEEfRKT_EELi8EEEvPT0_PS8_PKT1_PS2_il ; -- Begin function _ZN5aiter23act_and_mul_bias_kernelIffhfTnPFfRKT2_EXadL_ZNS_11gelu_kernelIfEEfRKT_EELi8EEEvPT0_PS8_PKT1_PS2_il
	.globl	_ZN5aiter23act_and_mul_bias_kernelIffhfTnPFfRKT2_EXadL_ZNS_11gelu_kernelIfEEfRKT_EELi8EEEvPT0_PS8_PKT1_PS2_il
	.p2align	8
	.type	_ZN5aiter23act_and_mul_bias_kernelIffhfTnPFfRKT2_EXadL_ZNS_11gelu_kernelIfEEfRKT_EELi8EEEvPT0_PS8_PKT1_PS2_il,@function
_ZN5aiter23act_and_mul_bias_kernelIffhfTnPFfRKT2_EXadL_ZNS_11gelu_kernelIfEEfRKT_EELi8EEEvPT0_PS8_PKT1_PS2_il: ; @_ZN5aiter23act_and_mul_bias_kernelIffhfTnPFfRKT2_EXadL_ZNS_11gelu_kernelIfEEfRKT_EELi8EEEvPT0_PS8_PKT1_PS2_il
; %bb.0:
	s_load_dwordx2 s[4:5], s[0:1], 0x10
	s_load_dword s24, s[0:1], 0x20
	s_load_dwordx2 s[12:13], s[0:1], 0x28
	v_mov_b32_e32 v1, s2
	s_mov_b32 s9, 0
	s_waitcnt lgkmcnt(0)
	global_load_ubyte v1, v1, s[4:5]
	s_load_dwordx2 s[4:5], s[0:1], 0x0
	s_ashr_i32 s25, s24, 31
	s_mul_hi_u32 s3, s24, s2
	s_mul_i32 s7, s25, s2
	s_mul_i32 s14, s24, s2
	s_add_i32 s15, s3, s7
	s_lshl_b32 s6, s24, 2
	v_mov_b64_e32 v[2:3], s[12:13]
	s_lshl_b64 s[12:13], s[14:15], 2
	s_mov_b64 s[10:11], -1
	v_lshlrev_b32_e32 v32, 3, v0
	s_waitcnt vmcnt(0)
	v_readfirstlane_b32 s3, v1
	s_and_b32 s8, s3, 0xffff
	s_waitcnt lgkmcnt(0)
	s_add_u32 s4, s4, s12
	v_cmp_lt_i64_e32 vcc, s[8:9], v[2:3]
	s_addc_u32 s3, s5, s13
	s_and_b32 s5, s3, 0xffff
	s_cbranch_vccnz .LBB363_5
; %bb.1:
	v_cmp_gt_i32_e32 vcc, s24, v32
	s_and_saveexec_b64 s[10:11], vcc
	s_cbranch_execz .LBB363_4
; %bb.2:
	s_load_dword s3, s[0:1], 0x3c
	s_mov_b32 s13, 0
	s_mov_b32 s16, s13
	;; [unrolled: 1-line block ×3, first 2 shown]
	v_mov_b32_e32 v33, 0
	v_lshlrev_b32_e32 v6, 5, v0
	s_waitcnt lgkmcnt(0)
	s_and_b32 s3, s3, 0xffff
	s_mov_b32 s18, s13
	s_mov_b32 s19, s13
	v_mov_b64_e32 v[0:1], s[16:17]
	s_lshl_b32 s12, s3, 3
	s_lshl_b32 s3, s3, 5
	s_mov_b64 s[14:15], 0
	s_mov_b32 s7, 0x20000
	v_mov_b64_e32 v[2:3], s[18:19]
	v_mov_b64_e32 v[4:5], v[32:33]
.LBB363_3:                              ; =>This Inner Loop Header: Depth=1
	v_lshl_add_u64 v[4:5], s[12:13], 0, v[4:5]
	v_cmp_le_i64_e32 vcc, s[24:25], v[4:5]
	buffer_store_dwordx4 v[0:3], v6, s[4:7], 0 offen
	buffer_store_dwordx4 v[0:3], v6, s[4:7], 16 offen
	s_or_b64 s[14:15], vcc, s[14:15]
	v_add_u32_e32 v6, s3, v6
	s_andn2_b64 exec, exec, s[14:15]
	s_cbranch_execnz .LBB363_3
.LBB363_4:
	s_or_b64 exec, exec, s[10:11]
	s_mov_b64 s[10:11], 0
.LBB363_5:
	s_andn2_b64 vcc, exec, s[10:11]
	s_cbranch_vccnz .LBB363_41
; %bb.6:
	v_cmp_gt_i32_e32 vcc, s24, v32
	s_and_saveexec_b64 s[10:11], vcc
	s_cbranch_execz .LBB363_41
; %bb.7:
	s_load_dwordx2 s[10:11], s[0:1], 0x18
	s_load_dwordx2 s[14:15], s[0:1], 0x8
	s_mul_hi_i32 s9, s24, s8
	s_mul_i32 s8, s24, s8
	s_lshl_b64 s[8:9], s[8:9], 3
	s_waitcnt lgkmcnt(0)
	s_add_u32 s8, s10, s8
	s_addc_u32 s3, s11, s9
	s_lshl_b64 s[18:19], s[24:25], 2
	s_add_u32 s12, s8, s18
	s_addc_u32 s13, s3, s19
	s_and_b32 s9, s3, 0xffff
	s_mul_i32 s3, s2, s25
	s_mul_hi_u32 s16, s2, s24
	s_add_i32 s3, s16, s3
	s_mul_i32 s2, s2, s24
	s_and_b32 s13, s13, 0xffff
	s_lshl_b64 s[2:3], s[2:3], 3
	s_add_u32 s16, s14, s2
	s_addc_u32 s2, s15, s3
	s_add_u32 s20, s16, s18
	s_addc_u32 s3, s2, s19
	s_and_b32 s17, s2, 0xffff
	s_and_b32 s21, s3, 0xffff
	s_mov_b32 s7, 0x20000
	s_add_u32 s0, s0, 48
	s_mov_b64 s[10:11], s[6:7]
	v_mov_b32_e32 v33, 0
	s_addc_u32 s1, s1, 0
	s_mov_b64 s[2:3], 0
	s_mov_b32 s18, s6
	s_mov_b32 s19, s7
	;; [unrolled: 1-line block ×12, first 2 shown]
	v_mov_b32_e32 v34, 0x3ba10414
	s_brev_b32 s38, -2
	s_mov_b32 s22, s6
	s_mov_b32 s23, s7
	v_mov_b32_e32 v35, 0xb9c68948
	v_mov_b32_e32 v36, 0x7f800000
                                        ; implicit-def: $vgpr0
                                        ; implicit-def: $vgpr0
	;; [unrolled: 1-line block ×4, first 2 shown]
	s_branch .LBB363_9
.LBB363_8:                              ;   in Loop: Header=BB363_9 Depth=1
	s_or_b64 exec, exec, s[14:15]
	v_bfi_b32 v5, s38, v8, v5
	v_mul_f32_e32 v4, 0.5, v4
	v_add_f32_e32 v5, 1.0, v5
	v_add_f32_e32 v2, v2, v6
	v_bfi_b32 v6, s38, v11, v10
	v_mul_f32_e32 v4, v4, v5
	v_add_f32_e32 v3, v3, v7
	v_mul_f32_e32 v5, 0.5, v9
	v_add_f32_e32 v6, 1.0, v6
	v_mul_f32_e32 v5, v5, v6
	;;#ASMSTART
	v_pk_mul_f32 v[2:3], v[4:5], v[2:3]
	;;#ASMEND
	s_load_dword s14, s[0:1], 0xc
	buffer_store_dwordx4 v[16:19], v37, s[4:7], 0 offen
	buffer_store_dwordx4 v[0:3], v37, s[4:7], 16 offen
	s_waitcnt lgkmcnt(0)
	s_and_b32 s14, s14, 0xffff
	s_lshl_b32 s26, s14, 3
	v_lshl_add_u64 v[32:33], s[26:27], 0, v[32:33]
	v_cmp_le_i64_e32 vcc, s[24:25], v[32:33]
	s_or_b64 s[2:3], vcc, s[2:3]
	s_andn2_b64 exec, exec, s[2:3]
	s_cbranch_execz .LBB363_41
.LBB363_9:                              ; =>This Inner Loop Header: Depth=1
	v_lshlrev_b32_e32 v37, 2, v32
	buffer_load_dwordx4 v[24:27], v37, s[16:19], 0 offen
	buffer_load_dwordx4 v[8:11], v37, s[16:19], 16 offen
	;; [unrolled: 1-line block ×6, first 2 shown]
	s_mov_b32 s14, s10
	s_mov_b32 s15, s11
	buffer_load_dwordx4 v[20:23], v37, s[12:15], 0 offen
	buffer_load_dwordx4 v[4:7], v37, s[12:15], 16 offen
                                        ; implicit-def: $vgpr38
	s_waitcnt vmcnt(3)
	v_add_f32_e32 v24, v24, v28
	v_mul_f32_e32 v28, 0x3f3504f3, v24
	v_cmp_nlt_f32_e64 s[14:15], |v28|, 1.0
	s_and_saveexec_b64 s[40:41], s[14:15]
	s_xor_b64 s[14:15], exec, s[40:41]
	s_cbranch_execz .LBB363_11
; %bb.10:                               ;   in Loop: Header=BB363_9 Depth=1
	v_fma_f32 v38, |v28|, s28, v35
	v_fma_f32 v38, |v28|, v38, s29
	;; [unrolled: 1-line block ×6, first 2 shown]
	v_fma_f32 v38, |v28|, v38, |v28|
	v_mul_f32_e32 v39, 0xbfb8aa3b, v38
	v_fma_f32 v40, v38, s35, -v39
	v_rndne_f32_e32 v41, v39
	v_fmac_f32_e32 v40, 0xb2a5705f, v38
	v_sub_f32_e32 v39, v39, v41
	v_add_f32_e32 v39, v39, v40
	v_cvt_i32_f32_e32 v40, v41
	v_exp_f32_e32 v39, v39
	v_cmp_nlt_f32_e32 vcc, s36, v38
	v_ldexp_f32 v39, v39, v40
	s_nop 0
	v_cndmask_b32_e32 v39, 0, v39, vcc
	v_cmp_ngt_f32_e32 vcc, s37, v38
	s_nop 1
	v_cndmask_b32_e32 v38, v36, v39, vcc
	v_sub_f32_e32 v38, 1.0, v38
.LBB363_11:                             ;   in Loop: Header=BB363_9 Depth=1
	s_andn2_saveexec_b64 s[14:15], s[14:15]
; %bb.12:                               ;   in Loop: Header=BB363_9 Depth=1
	v_mul_f32_e32 v38, v28, v28
	v_fmamk_f32 v39, v38, 0xba1345e1, v34
	v_fmaak_f32 v39, v38, v39, 0xbcdac9b8
	v_fmaak_f32 v39, v38, v39, 0x3de703be
	;; [unrolled: 1-line block ×4, first 2 shown]
	v_fma_f32 v38, |v28|, v38, |v28|
; %bb.13:                               ;   in Loop: Header=BB363_9 Depth=1
	s_or_b64 exec, exec, s[14:15]
	v_add_f32_e32 v25, v25, v29
	v_mul_f32_e32 v29, 0x3f3504f3, v25
	v_cmp_nlt_f32_e64 s[14:15], |v29|, 1.0
                                        ; implicit-def: $vgpr39
	s_and_saveexec_b64 s[40:41], s[14:15]
	s_xor_b64 s[14:15], exec, s[40:41]
	s_cbranch_execz .LBB363_15
; %bb.14:                               ;   in Loop: Header=BB363_9 Depth=1
	v_fma_f32 v39, |v29|, s28, v35
	v_fma_f32 v39, |v29|, v39, s29
	;; [unrolled: 1-line block ×6, first 2 shown]
	v_fma_f32 v39, |v29|, v39, |v29|
	v_mul_f32_e32 v40, 0xbfb8aa3b, v39
	v_fma_f32 v41, v39, s35, -v40
	v_rndne_f32_e32 v42, v40
	v_fmac_f32_e32 v41, 0xb2a5705f, v39
	v_sub_f32_e32 v40, v40, v42
	v_add_f32_e32 v40, v40, v41
	v_cvt_i32_f32_e32 v41, v42
	v_exp_f32_e32 v40, v40
	v_cmp_nlt_f32_e32 vcc, s36, v39
	v_ldexp_f32 v40, v40, v41
	s_nop 0
	v_cndmask_b32_e32 v40, 0, v40, vcc
	v_cmp_ngt_f32_e32 vcc, s37, v39
	s_nop 1
	v_cndmask_b32_e32 v39, v36, v40, vcc
	v_sub_f32_e32 v39, 1.0, v39
.LBB363_15:                             ;   in Loop: Header=BB363_9 Depth=1
	s_andn2_saveexec_b64 s[14:15], s[14:15]
; %bb.16:                               ;   in Loop: Header=BB363_9 Depth=1
	v_mul_f32_e32 v39, v29, v29
	v_fmamk_f32 v40, v39, 0xba1345e1, v34
	v_fmaak_f32 v40, v39, v40, 0xbcdac9b8
	v_fmaak_f32 v40, v39, v40, 0x3de703be
	;; [unrolled: 1-line block ×4, first 2 shown]
	v_fma_f32 v39, |v29|, v39, |v29|
; %bb.17:                               ;   in Loop: Header=BB363_9 Depth=1
	s_or_b64 exec, exec, s[14:15]
	s_waitcnt vmcnt(1)
	v_add_f32_e32 v17, v17, v21
	v_bfi_b32 v21, s38, v39, v29
	v_add_f32_e32 v16, v16, v20
	v_mul_f32_e32 v20, 0.5, v25
	v_add_f32_e32 v21, 1.0, v21
	v_bfi_b32 v28, s38, v38, v28
	v_mul_f32_e32 v25, v20, v21
	v_add_f32_e32 v20, v26, v30
	v_mul_f32_e32 v24, 0.5, v24
	v_add_f32_e32 v28, 1.0, v28
	v_mul_f32_e32 v21, 0x3f3504f3, v20
	v_mul_f32_e32 v24, v24, v28
	v_cmp_nlt_f32_e64 s[14:15], |v21|, 1.0
	;;#ASMSTART
	v_pk_mul_f32 v[16:17], v[24:25], v[16:17]
	;;#ASMEND
                                        ; implicit-def: $vgpr24
	s_and_saveexec_b64 s[40:41], s[14:15]
	s_xor_b64 s[14:15], exec, s[40:41]
	s_cbranch_execz .LBB363_19
; %bb.18:                               ;   in Loop: Header=BB363_9 Depth=1
	v_fma_f32 v24, |v21|, s28, v35
	v_fma_f32 v24, |v21|, v24, s29
	;; [unrolled: 1-line block ×6, first 2 shown]
	v_fma_f32 v24, |v21|, v24, |v21|
	v_mul_f32_e32 v25, 0xbfb8aa3b, v24
	v_fma_f32 v26, v24, s35, -v25
	v_rndne_f32_e32 v28, v25
	v_fmac_f32_e32 v26, 0xb2a5705f, v24
	v_sub_f32_e32 v25, v25, v28
	v_add_f32_e32 v25, v25, v26
	v_cvt_i32_f32_e32 v26, v28
	v_exp_f32_e32 v25, v25
	v_cmp_nlt_f32_e32 vcc, s36, v24
	v_ldexp_f32 v25, v25, v26
	s_nop 0
	v_cndmask_b32_e32 v25, 0, v25, vcc
	v_cmp_ngt_f32_e32 vcc, s37, v24
	s_nop 1
	v_cndmask_b32_e32 v24, v36, v25, vcc
	v_sub_f32_e32 v24, 1.0, v24
.LBB363_19:                             ;   in Loop: Header=BB363_9 Depth=1
	s_andn2_saveexec_b64 s[14:15], s[14:15]
; %bb.20:                               ;   in Loop: Header=BB363_9 Depth=1
	v_mul_f32_e32 v24, v21, v21
	v_fmamk_f32 v25, v24, 0xba1345e1, v34
	v_fmaak_f32 v25, v24, v25, 0xbcdac9b8
	v_fmaak_f32 v25, v24, v25, 0x3de703be
	;; [unrolled: 1-line block ×4, first 2 shown]
	v_fma_f32 v24, |v21|, v24, |v21|
; %bb.21:                               ;   in Loop: Header=BB363_9 Depth=1
	s_or_b64 exec, exec, s[14:15]
	v_add_f32_e32 v25, v27, v31
	v_mul_f32_e32 v26, 0x3f3504f3, v25
	v_cmp_nlt_f32_e64 s[14:15], |v26|, 1.0
                                        ; implicit-def: $vgpr27
	s_and_saveexec_b64 s[40:41], s[14:15]
	s_xor_b64 s[14:15], exec, s[40:41]
	s_cbranch_execz .LBB363_23
; %bb.22:                               ;   in Loop: Header=BB363_9 Depth=1
	v_fma_f32 v27, |v26|, s28, v35
	v_fma_f32 v27, |v26|, v27, s29
	;; [unrolled: 1-line block ×6, first 2 shown]
	v_fma_f32 v27, |v26|, v27, |v26|
	v_mul_f32_e32 v28, 0xbfb8aa3b, v27
	v_fma_f32 v29, v27, s35, -v28
	v_rndne_f32_e32 v30, v28
	v_fmac_f32_e32 v29, 0xb2a5705f, v27
	v_sub_f32_e32 v28, v28, v30
	v_add_f32_e32 v28, v28, v29
	v_cvt_i32_f32_e32 v29, v30
	v_exp_f32_e32 v28, v28
	v_cmp_nlt_f32_e32 vcc, s36, v27
	v_ldexp_f32 v28, v28, v29
	s_nop 0
	v_cndmask_b32_e32 v28, 0, v28, vcc
	v_cmp_ngt_f32_e32 vcc, s37, v27
	s_nop 1
	v_cndmask_b32_e32 v27, v36, v28, vcc
	v_sub_f32_e32 v27, 1.0, v27
.LBB363_23:                             ;   in Loop: Header=BB363_9 Depth=1
	s_andn2_saveexec_b64 s[14:15], s[14:15]
; %bb.24:                               ;   in Loop: Header=BB363_9 Depth=1
	v_mul_f32_e32 v27, v26, v26
	v_fmamk_f32 v28, v27, 0xba1345e1, v34
	v_fmaak_f32 v28, v27, v28, 0xbcdac9b8
	v_fmaak_f32 v28, v27, v28, 0x3de703be
	v_fmaak_f32 v28, v27, v28, 0xbec09330
	v_fmaak_f32 v27, v27, v28, 0x3e0375d0
	v_fma_f32 v27, |v26|, v27, |v26|
; %bb.25:                               ;   in Loop: Header=BB363_9 Depth=1
	s_or_b64 exec, exec, s[14:15]
	v_bfi_b32 v21, s38, v24, v21
	v_add_f32_e32 v8, v8, v12
	v_mul_f32_e32 v20, 0.5, v20
	v_add_f32_e32 v21, 1.0, v21
	v_add_f32_e32 v18, v18, v22
	v_bfi_b32 v22, s38, v27, v26
	v_mul_f32_e32 v12, 0x3f3504f3, v8
	v_mul_f32_e32 v20, v20, v21
	v_add_f32_e32 v19, v19, v23
	v_mul_f32_e32 v21, 0.5, v25
	v_add_f32_e32 v22, 1.0, v22
	v_cmp_nlt_f32_e64 s[14:15], |v12|, 1.0
	v_mul_f32_e32 v21, v21, v22
	;;#ASMSTART
	v_pk_mul_f32 v[18:19], v[20:21], v[18:19]
	;;#ASMEND
                                        ; implicit-def: $vgpr20
	s_and_saveexec_b64 s[40:41], s[14:15]
	s_xor_b64 s[14:15], exec, s[40:41]
	s_cbranch_execz .LBB363_27
; %bb.26:                               ;   in Loop: Header=BB363_9 Depth=1
	v_fma_f32 v20, |v12|, s28, v35
	v_fma_f32 v20, |v12|, v20, s29
	;; [unrolled: 1-line block ×6, first 2 shown]
	v_fma_f32 v20, |v12|, v20, |v12|
	v_mul_f32_e32 v21, 0xbfb8aa3b, v20
	v_fma_f32 v22, v20, s35, -v21
	v_rndne_f32_e32 v23, v21
	v_fmac_f32_e32 v22, 0xb2a5705f, v20
	v_sub_f32_e32 v21, v21, v23
	v_add_f32_e32 v21, v21, v22
	v_cvt_i32_f32_e32 v22, v23
	v_exp_f32_e32 v21, v21
	v_cmp_nlt_f32_e32 vcc, s36, v20
	v_ldexp_f32 v21, v21, v22
	s_nop 0
	v_cndmask_b32_e32 v21, 0, v21, vcc
	v_cmp_ngt_f32_e32 vcc, s37, v20
	s_nop 1
	v_cndmask_b32_e32 v20, v36, v21, vcc
	v_sub_f32_e32 v20, 1.0, v20
.LBB363_27:                             ;   in Loop: Header=BB363_9 Depth=1
	s_andn2_saveexec_b64 s[14:15], s[14:15]
; %bb.28:                               ;   in Loop: Header=BB363_9 Depth=1
	v_mul_f32_e32 v20, v12, v12
	v_fmamk_f32 v21, v20, 0xba1345e1, v34
	v_fmaak_f32 v21, v20, v21, 0xbcdac9b8
	v_fmaak_f32 v21, v20, v21, 0x3de703be
	;; [unrolled: 1-line block ×4, first 2 shown]
	v_fma_f32 v20, |v12|, v20, |v12|
; %bb.29:                               ;   in Loop: Header=BB363_9 Depth=1
	s_or_b64 exec, exec, s[14:15]
	v_add_f32_e32 v9, v9, v13
	v_mul_f32_e32 v13, 0x3f3504f3, v9
	v_cmp_nlt_f32_e64 s[14:15], |v13|, 1.0
                                        ; implicit-def: $vgpr21
	s_and_saveexec_b64 s[40:41], s[14:15]
	s_xor_b64 s[14:15], exec, s[40:41]
	s_cbranch_execz .LBB363_31
; %bb.30:                               ;   in Loop: Header=BB363_9 Depth=1
	v_fma_f32 v21, |v13|, s28, v35
	v_fma_f32 v21, |v13|, v21, s29
	;; [unrolled: 1-line block ×6, first 2 shown]
	v_fma_f32 v21, |v13|, v21, |v13|
	v_mul_f32_e32 v22, 0xbfb8aa3b, v21
	v_fma_f32 v23, v21, s35, -v22
	v_rndne_f32_e32 v24, v22
	v_fmac_f32_e32 v23, 0xb2a5705f, v21
	v_sub_f32_e32 v22, v22, v24
	v_add_f32_e32 v22, v22, v23
	v_cvt_i32_f32_e32 v23, v24
	v_exp_f32_e32 v22, v22
	v_cmp_nlt_f32_e32 vcc, s36, v21
	v_ldexp_f32 v22, v22, v23
	s_nop 0
	v_cndmask_b32_e32 v22, 0, v22, vcc
	v_cmp_ngt_f32_e32 vcc, s37, v21
	s_nop 1
	v_cndmask_b32_e32 v21, v36, v22, vcc
	v_sub_f32_e32 v21, 1.0, v21
.LBB363_31:                             ;   in Loop: Header=BB363_9 Depth=1
	s_andn2_saveexec_b64 s[14:15], s[14:15]
; %bb.32:                               ;   in Loop: Header=BB363_9 Depth=1
	v_mul_f32_e32 v21, v13, v13
	v_fmamk_f32 v22, v21, 0xba1345e1, v34
	v_fmaak_f32 v22, v21, v22, 0xbcdac9b8
	v_fmaak_f32 v22, v21, v22, 0x3de703be
	;; [unrolled: 1-line block ×4, first 2 shown]
	v_fma_f32 v21, |v13|, v21, |v13|
; %bb.33:                               ;   in Loop: Header=BB363_9 Depth=1
	s_or_b64 exec, exec, s[14:15]
	s_waitcnt vmcnt(0)
	v_add_f32_e32 v1, v1, v5
	v_bfi_b32 v5, s38, v21, v13
	v_add_f32_e32 v0, v0, v4
	v_mul_f32_e32 v4, 0.5, v9
	v_add_f32_e32 v5, 1.0, v5
	v_bfi_b32 v12, s38, v20, v12
	v_mul_f32_e32 v9, v4, v5
	v_add_f32_e32 v4, v10, v14
	v_mul_f32_e32 v8, 0.5, v8
	v_add_f32_e32 v12, 1.0, v12
	v_mul_f32_e32 v5, 0x3f3504f3, v4
	v_mul_f32_e32 v8, v8, v12
	v_cmp_nlt_f32_e64 s[14:15], |v5|, 1.0
	;;#ASMSTART
	v_pk_mul_f32 v[0:1], v[8:9], v[0:1]
	;;#ASMEND
                                        ; implicit-def: $vgpr8
	s_and_saveexec_b64 s[40:41], s[14:15]
	s_xor_b64 s[14:15], exec, s[40:41]
	s_cbranch_execz .LBB363_35
; %bb.34:                               ;   in Loop: Header=BB363_9 Depth=1
	v_fma_f32 v8, |v5|, s28, v35
	v_fma_f32 v8, |v5|, v8, s29
	v_fma_f32 v8, |v5|, v8, s30
	v_fma_f32 v8, |v5|, v8, s31
	v_fma_f32 v8, |v5|, v8, s33
	v_fma_f32 v8, |v5|, v8, s34
	v_fma_f32 v8, |v5|, v8, |v5|
	v_mul_f32_e32 v9, 0xbfb8aa3b, v8
	v_fma_f32 v10, v8, s35, -v9
	v_rndne_f32_e32 v12, v9
	v_fmac_f32_e32 v10, 0xb2a5705f, v8
	v_sub_f32_e32 v9, v9, v12
	v_add_f32_e32 v9, v9, v10
	v_cvt_i32_f32_e32 v10, v12
	v_exp_f32_e32 v9, v9
	v_cmp_nlt_f32_e32 vcc, s36, v8
	v_ldexp_f32 v9, v9, v10
	s_nop 0
	v_cndmask_b32_e32 v9, 0, v9, vcc
	v_cmp_ngt_f32_e32 vcc, s37, v8
	s_nop 1
	v_cndmask_b32_e32 v8, v36, v9, vcc
	v_sub_f32_e32 v8, 1.0, v8
.LBB363_35:                             ;   in Loop: Header=BB363_9 Depth=1
	s_andn2_saveexec_b64 s[14:15], s[14:15]
; %bb.36:                               ;   in Loop: Header=BB363_9 Depth=1
	v_mul_f32_e32 v8, v5, v5
	v_fmamk_f32 v9, v8, 0xba1345e1, v34
	v_fmaak_f32 v9, v8, v9, 0xbcdac9b8
	v_fmaak_f32 v9, v8, v9, 0x3de703be
	;; [unrolled: 1-line block ×4, first 2 shown]
	v_fma_f32 v8, |v5|, v8, |v5|
; %bb.37:                               ;   in Loop: Header=BB363_9 Depth=1
	s_or_b64 exec, exec, s[14:15]
	v_add_f32_e32 v9, v11, v15
	v_mul_f32_e32 v10, 0x3f3504f3, v9
	v_cmp_nlt_f32_e64 s[14:15], |v10|, 1.0
                                        ; implicit-def: $vgpr11
	s_and_saveexec_b64 s[40:41], s[14:15]
	s_xor_b64 s[14:15], exec, s[40:41]
	s_cbranch_execz .LBB363_39
; %bb.38:                               ;   in Loop: Header=BB363_9 Depth=1
	v_fma_f32 v11, |v10|, s28, v35
	v_fma_f32 v11, |v10|, v11, s29
	;; [unrolled: 1-line block ×6, first 2 shown]
	v_fma_f32 v11, |v10|, v11, |v10|
	v_mul_f32_e32 v12, 0xbfb8aa3b, v11
	v_fma_f32 v13, v11, s35, -v12
	v_rndne_f32_e32 v14, v12
	v_fmac_f32_e32 v13, 0xb2a5705f, v11
	v_sub_f32_e32 v12, v12, v14
	v_add_f32_e32 v12, v12, v13
	v_cvt_i32_f32_e32 v13, v14
	v_exp_f32_e32 v12, v12
	v_cmp_nlt_f32_e32 vcc, s36, v11
	v_ldexp_f32 v12, v12, v13
	s_nop 0
	v_cndmask_b32_e32 v12, 0, v12, vcc
	v_cmp_ngt_f32_e32 vcc, s37, v11
	s_nop 1
	v_cndmask_b32_e32 v11, v36, v12, vcc
	v_sub_f32_e32 v11, 1.0, v11
.LBB363_39:                             ;   in Loop: Header=BB363_9 Depth=1
	s_andn2_saveexec_b64 s[14:15], s[14:15]
	s_cbranch_execz .LBB363_8
; %bb.40:                               ;   in Loop: Header=BB363_9 Depth=1
	v_mul_f32_e32 v11, v10, v10
	v_fmamk_f32 v12, v11, 0xba1345e1, v34
	v_fmaak_f32 v12, v11, v12, 0xbcdac9b8
	v_fmaak_f32 v12, v11, v12, 0x3de703be
	;; [unrolled: 1-line block ×4, first 2 shown]
	v_fma_f32 v11, |v10|, v11, |v10|
	s_branch .LBB363_8
.LBB363_41:
	s_endpgm
	.section	.rodata,"a",@progbits
	.p2align	6, 0x0
	.amdhsa_kernel _ZN5aiter23act_and_mul_bias_kernelIffhfTnPFfRKT2_EXadL_ZNS_11gelu_kernelIfEEfRKT_EELi8EEEvPT0_PS8_PKT1_PS2_il
		.amdhsa_group_segment_fixed_size 0
		.amdhsa_private_segment_fixed_size 0
		.amdhsa_kernarg_size 304
		.amdhsa_user_sgpr_count 2
		.amdhsa_user_sgpr_dispatch_ptr 0
		.amdhsa_user_sgpr_queue_ptr 0
		.amdhsa_user_sgpr_kernarg_segment_ptr 1
		.amdhsa_user_sgpr_dispatch_id 0
		.amdhsa_user_sgpr_kernarg_preload_length 0
		.amdhsa_user_sgpr_kernarg_preload_offset 0
		.amdhsa_user_sgpr_private_segment_size 0
		.amdhsa_uses_dynamic_stack 0
		.amdhsa_enable_private_segment 0
		.amdhsa_system_sgpr_workgroup_id_x 1
		.amdhsa_system_sgpr_workgroup_id_y 0
		.amdhsa_system_sgpr_workgroup_id_z 0
		.amdhsa_system_sgpr_workgroup_info 0
		.amdhsa_system_vgpr_workitem_id 0
		.amdhsa_next_free_vgpr 43
		.amdhsa_next_free_sgpr 42
		.amdhsa_accum_offset 44
		.amdhsa_reserve_vcc 1
		.amdhsa_float_round_mode_32 0
		.amdhsa_float_round_mode_16_64 0
		.amdhsa_float_denorm_mode_32 3
		.amdhsa_float_denorm_mode_16_64 3
		.amdhsa_dx10_clamp 1
		.amdhsa_ieee_mode 1
		.amdhsa_fp16_overflow 0
		.amdhsa_tg_split 0
		.amdhsa_exception_fp_ieee_invalid_op 0
		.amdhsa_exception_fp_denorm_src 0
		.amdhsa_exception_fp_ieee_div_zero 0
		.amdhsa_exception_fp_ieee_overflow 0
		.amdhsa_exception_fp_ieee_underflow 0
		.amdhsa_exception_fp_ieee_inexact 0
		.amdhsa_exception_int_div_zero 0
	.end_amdhsa_kernel
	.section	.text._ZN5aiter23act_and_mul_bias_kernelIffhfTnPFfRKT2_EXadL_ZNS_11gelu_kernelIfEEfRKT_EELi8EEEvPT0_PS8_PKT1_PS2_il,"axG",@progbits,_ZN5aiter23act_and_mul_bias_kernelIffhfTnPFfRKT2_EXadL_ZNS_11gelu_kernelIfEEfRKT_EELi8EEEvPT0_PS8_PKT1_PS2_il,comdat
.Lfunc_end363:
	.size	_ZN5aiter23act_and_mul_bias_kernelIffhfTnPFfRKT2_EXadL_ZNS_11gelu_kernelIfEEfRKT_EELi8EEEvPT0_PS8_PKT1_PS2_il, .Lfunc_end363-_ZN5aiter23act_and_mul_bias_kernelIffhfTnPFfRKT2_EXadL_ZNS_11gelu_kernelIfEEfRKT_EELi8EEEvPT0_PS8_PKT1_PS2_il
                                        ; -- End function
	.section	.AMDGPU.csdata,"",@progbits
; Kernel info:
; codeLenInByte = 2784
; NumSgprs: 48
; NumVgprs: 43
; NumAgprs: 0
; TotalNumVgprs: 43
; ScratchSize: 0
; MemoryBound: 0
; FloatMode: 240
; IeeeMode: 1
; LDSByteSize: 0 bytes/workgroup (compile time only)
; SGPRBlocks: 5
; VGPRBlocks: 5
; NumSGPRsForWavesPerEU: 48
; NumVGPRsForWavesPerEU: 43
; AccumOffset: 44
; Occupancy: 8
; WaveLimiterHint : 0
; COMPUTE_PGM_RSRC2:SCRATCH_EN: 0
; COMPUTE_PGM_RSRC2:USER_SGPR: 2
; COMPUTE_PGM_RSRC2:TRAP_HANDLER: 0
; COMPUTE_PGM_RSRC2:TGID_X_EN: 1
; COMPUTE_PGM_RSRC2:TGID_Y_EN: 0
; COMPUTE_PGM_RSRC2:TGID_Z_EN: 0
; COMPUTE_PGM_RSRC2:TIDIG_COMP_CNT: 0
; COMPUTE_PGM_RSRC3_GFX90A:ACCUM_OFFSET: 10
; COMPUTE_PGM_RSRC3_GFX90A:TG_SPLIT: 0
	.section	.text._ZN5aiter23act_and_mul_bias_kernelIffhfTnPFfRKT2_EXadL_ZNS_11gelu_kernelIfEEfRKT_EELi4EEEvPT0_PS8_PKT1_PS2_il,"axG",@progbits,_ZN5aiter23act_and_mul_bias_kernelIffhfTnPFfRKT2_EXadL_ZNS_11gelu_kernelIfEEfRKT_EELi4EEEvPT0_PS8_PKT1_PS2_il,comdat
	.protected	_ZN5aiter23act_and_mul_bias_kernelIffhfTnPFfRKT2_EXadL_ZNS_11gelu_kernelIfEEfRKT_EELi4EEEvPT0_PS8_PKT1_PS2_il ; -- Begin function _ZN5aiter23act_and_mul_bias_kernelIffhfTnPFfRKT2_EXadL_ZNS_11gelu_kernelIfEEfRKT_EELi4EEEvPT0_PS8_PKT1_PS2_il
	.globl	_ZN5aiter23act_and_mul_bias_kernelIffhfTnPFfRKT2_EXadL_ZNS_11gelu_kernelIfEEfRKT_EELi4EEEvPT0_PS8_PKT1_PS2_il
	.p2align	8
	.type	_ZN5aiter23act_and_mul_bias_kernelIffhfTnPFfRKT2_EXadL_ZNS_11gelu_kernelIfEEfRKT_EELi4EEEvPT0_PS8_PKT1_PS2_il,@function
_ZN5aiter23act_and_mul_bias_kernelIffhfTnPFfRKT2_EXadL_ZNS_11gelu_kernelIfEEfRKT_EELi4EEEvPT0_PS8_PKT1_PS2_il: ; @_ZN5aiter23act_and_mul_bias_kernelIffhfTnPFfRKT2_EXadL_ZNS_11gelu_kernelIfEEfRKT_EELi4EEEvPT0_PS8_PKT1_PS2_il
; %bb.0:
	s_load_dwordx2 s[4:5], s[0:1], 0x10
	s_load_dword s24, s[0:1], 0x20
	s_load_dwordx2 s[12:13], s[0:1], 0x28
	v_mov_b32_e32 v1, s2
	s_mov_b32 s9, 0
	s_waitcnt lgkmcnt(0)
	global_load_ubyte v1, v1, s[4:5]
	s_load_dwordx2 s[4:5], s[0:1], 0x0
	s_ashr_i32 s25, s24, 31
	s_mul_hi_u32 s3, s24, s2
	s_mul_i32 s7, s25, s2
	s_mul_i32 s14, s24, s2
	s_add_i32 s15, s3, s7
	s_lshl_b32 s6, s24, 2
	v_mov_b64_e32 v[2:3], s[12:13]
	s_lshl_b64 s[12:13], s[14:15], 2
	s_mov_b64 s[10:11], -1
	v_lshlrev_b32_e32 v16, 2, v0
	s_waitcnt vmcnt(0)
	v_readfirstlane_b32 s3, v1
	s_and_b32 s8, s3, 0xffff
	s_waitcnt lgkmcnt(0)
	s_add_u32 s4, s4, s12
	v_cmp_lt_i64_e32 vcc, s[8:9], v[2:3]
	s_addc_u32 s3, s5, s13
	s_and_b32 s5, s3, 0xffff
	s_cbranch_vccnz .LBB364_5
; %bb.1:
	v_cmp_gt_i32_e32 vcc, s24, v16
	s_and_saveexec_b64 s[10:11], vcc
	s_cbranch_execz .LBB364_4
; %bb.2:
	s_load_dword s3, s[0:1], 0x3c
	v_mov_b32_e32 v17, 0
	s_mov_b32 s13, 0
	v_lshlrev_b32_e32 v6, 4, v0
	s_mov_b64 s[14:15], 0
	s_waitcnt lgkmcnt(0)
	s_and_b32 s3, s3, 0xffff
	s_lshl_b32 s12, s3, 2
	s_lshl_b32 s3, s3, 4
	s_mov_b32 s7, 0x20000
	v_mov_b32_e32 v0, v17
	v_mov_b32_e32 v1, v17
	;; [unrolled: 1-line block ×4, first 2 shown]
	v_mov_b64_e32 v[4:5], v[16:17]
.LBB364_3:                              ; =>This Inner Loop Header: Depth=1
	v_lshl_add_u64 v[4:5], s[12:13], 0, v[4:5]
	v_cmp_le_i64_e32 vcc, s[24:25], v[4:5]
	buffer_store_dwordx4 v[0:3], v6, s[4:7], 0 offen
	s_or_b64 s[14:15], vcc, s[14:15]
	v_add_u32_e32 v6, s3, v6
	s_andn2_b64 exec, exec, s[14:15]
	s_cbranch_execnz .LBB364_3
.LBB364_4:
	s_or_b64 exec, exec, s[10:11]
	s_mov_b64 s[10:11], 0
.LBB364_5:
	s_andn2_b64 vcc, exec, s[10:11]
	s_cbranch_vccnz .LBB364_25
; %bb.6:
	v_cmp_gt_i32_e32 vcc, s24, v16
	s_and_saveexec_b64 s[10:11], vcc
	s_cbranch_execz .LBB364_25
; %bb.7:
	s_load_dwordx2 s[10:11], s[0:1], 0x18
	s_load_dwordx2 s[14:15], s[0:1], 0x8
	s_mul_hi_i32 s9, s24, s8
	s_mul_i32 s8, s24, s8
	s_lshl_b64 s[8:9], s[8:9], 3
	s_waitcnt lgkmcnt(0)
	s_add_u32 s8, s10, s8
	s_addc_u32 s3, s11, s9
	s_lshl_b64 s[18:19], s[24:25], 2
	s_add_u32 s12, s8, s18
	s_addc_u32 s13, s3, s19
	s_and_b32 s9, s3, 0xffff
	s_mul_i32 s3, s2, s25
	s_mul_hi_u32 s16, s2, s24
	s_add_i32 s3, s16, s3
	s_mul_i32 s2, s2, s24
	s_and_b32 s13, s13, 0xffff
	s_lshl_b64 s[2:3], s[2:3], 3
	s_add_u32 s16, s14, s2
	s_addc_u32 s2, s15, s3
	s_add_u32 s20, s16, s18
	s_addc_u32 s3, s2, s19
	s_and_b32 s17, s2, 0xffff
	s_and_b32 s21, s3, 0xffff
	s_mov_b32 s7, 0x20000
	s_add_u32 s0, s0, 48
	s_mov_b64 s[10:11], s[6:7]
	v_mov_b32_e32 v17, 0
	s_addc_u32 s1, s1, 0
	s_mov_b64 s[2:3], 0
	s_mov_b32 s18, s6
	s_mov_b32 s19, s7
	;; [unrolled: 1-line block ×12, first 2 shown]
	v_mov_b32_e32 v18, 0x3ba10414
	s_brev_b32 s38, -2
	s_mov_b32 s22, s6
	s_mov_b32 s23, s7
	v_mov_b32_e32 v19, 0xb9c68948
	v_mov_b32_e32 v20, 0x7f800000
                                        ; implicit-def: $vgpr0
                                        ; implicit-def: $vgpr0
	;; [unrolled: 1-line block ×4, first 2 shown]
	s_branch .LBB364_9
.LBB364_8:                              ;   in Loop: Header=BB364_9 Depth=1
	s_or_b64 exec, exec, s[14:15]
	v_bfi_b32 v5, s38, v8, v5
	v_mul_f32_e32 v4, 0.5, v4
	v_add_f32_e32 v5, 1.0, v5
	v_add_f32_e32 v2, v2, v6
	v_bfi_b32 v6, s38, v11, v10
	v_mul_f32_e32 v4, v4, v5
	v_add_f32_e32 v3, v3, v7
	v_mul_f32_e32 v5, 0.5, v9
	v_add_f32_e32 v6, 1.0, v6
	v_mul_f32_e32 v5, v5, v6
	;;#ASMSTART
	v_pk_mul_f32 v[2:3], v[4:5], v[2:3]
	;;#ASMEND
	s_load_dword s14, s[0:1], 0xc
	buffer_store_dwordx4 v[0:3], v21, s[4:7], 0 offen
	s_waitcnt lgkmcnt(0)
	s_and_b32 s14, s14, 0xffff
	s_lshl_b32 s26, s14, 2
	v_lshl_add_u64 v[16:17], s[26:27], 0, v[16:17]
	v_cmp_le_i64_e32 vcc, s[24:25], v[16:17]
	s_or_b64 s[2:3], vcc, s[2:3]
	s_andn2_b64 exec, exec, s[2:3]
	s_cbranch_execz .LBB364_25
.LBB364_9:                              ; =>This Inner Loop Header: Depth=1
	v_lshlrev_b32_e32 v21, 2, v16
	buffer_load_dwordx4 v[8:11], v21, s[16:19], 0 offen
	buffer_load_dwordx4 v[0:3], v21, s[20:23], 0 offen
	;; [unrolled: 1-line block ×3, first 2 shown]
	s_mov_b32 s14, s10
	s_mov_b32 s15, s11
	buffer_load_dwordx4 v[4:7], v21, s[12:15], 0 offen
                                        ; implicit-def: $vgpr22
	s_waitcnt vmcnt(1)
	v_add_f32_e32 v8, v8, v12
	v_mul_f32_e32 v12, 0x3f3504f3, v8
	v_cmp_nlt_f32_e64 s[14:15], |v12|, 1.0
	s_and_saveexec_b64 s[40:41], s[14:15]
	s_xor_b64 s[14:15], exec, s[40:41]
	s_cbranch_execz .LBB364_11
; %bb.10:                               ;   in Loop: Header=BB364_9 Depth=1
	v_fma_f32 v22, |v12|, s28, v19
	v_fma_f32 v22, |v12|, v22, s29
	;; [unrolled: 1-line block ×6, first 2 shown]
	v_fma_f32 v22, |v12|, v22, |v12|
	v_mul_f32_e32 v23, 0xbfb8aa3b, v22
	v_fma_f32 v24, v22, s35, -v23
	v_rndne_f32_e32 v25, v23
	v_fmac_f32_e32 v24, 0xb2a5705f, v22
	v_sub_f32_e32 v23, v23, v25
	v_add_f32_e32 v23, v23, v24
	v_cvt_i32_f32_e32 v24, v25
	v_exp_f32_e32 v23, v23
	v_cmp_nlt_f32_e32 vcc, s36, v22
	v_ldexp_f32 v23, v23, v24
	s_nop 0
	v_cndmask_b32_e32 v23, 0, v23, vcc
	v_cmp_ngt_f32_e32 vcc, s37, v22
	s_nop 1
	v_cndmask_b32_e32 v22, v20, v23, vcc
	v_sub_f32_e32 v22, 1.0, v22
.LBB364_11:                             ;   in Loop: Header=BB364_9 Depth=1
	s_andn2_saveexec_b64 s[14:15], s[14:15]
; %bb.12:                               ;   in Loop: Header=BB364_9 Depth=1
	v_mul_f32_e32 v22, v12, v12
	v_fmamk_f32 v23, v22, 0xba1345e1, v18
	v_fmaak_f32 v23, v22, v23, 0xbcdac9b8
	v_fmaak_f32 v23, v22, v23, 0x3de703be
	v_fmaak_f32 v23, v22, v23, 0xbec09330
	v_fmaak_f32 v22, v22, v23, 0x3e0375d0
	v_fma_f32 v22, |v12|, v22, |v12|
; %bb.13:                               ;   in Loop: Header=BB364_9 Depth=1
	s_or_b64 exec, exec, s[14:15]
	v_add_f32_e32 v9, v9, v13
	v_mul_f32_e32 v13, 0x3f3504f3, v9
	v_cmp_nlt_f32_e64 s[14:15], |v13|, 1.0
                                        ; implicit-def: $vgpr23
	s_and_saveexec_b64 s[40:41], s[14:15]
	s_xor_b64 s[14:15], exec, s[40:41]
	s_cbranch_execz .LBB364_15
; %bb.14:                               ;   in Loop: Header=BB364_9 Depth=1
	v_fma_f32 v23, |v13|, s28, v19
	v_fma_f32 v23, |v13|, v23, s29
	;; [unrolled: 1-line block ×6, first 2 shown]
	v_fma_f32 v23, |v13|, v23, |v13|
	v_mul_f32_e32 v24, 0xbfb8aa3b, v23
	v_fma_f32 v25, v23, s35, -v24
	v_rndne_f32_e32 v26, v24
	v_fmac_f32_e32 v25, 0xb2a5705f, v23
	v_sub_f32_e32 v24, v24, v26
	v_add_f32_e32 v24, v24, v25
	v_cvt_i32_f32_e32 v25, v26
	v_exp_f32_e32 v24, v24
	v_cmp_nlt_f32_e32 vcc, s36, v23
	v_ldexp_f32 v24, v24, v25
	s_nop 0
	v_cndmask_b32_e32 v24, 0, v24, vcc
	v_cmp_ngt_f32_e32 vcc, s37, v23
	s_nop 1
	v_cndmask_b32_e32 v23, v20, v24, vcc
	v_sub_f32_e32 v23, 1.0, v23
.LBB364_15:                             ;   in Loop: Header=BB364_9 Depth=1
	s_andn2_saveexec_b64 s[14:15], s[14:15]
; %bb.16:                               ;   in Loop: Header=BB364_9 Depth=1
	v_mul_f32_e32 v23, v13, v13
	v_fmamk_f32 v24, v23, 0xba1345e1, v18
	v_fmaak_f32 v24, v23, v24, 0xbcdac9b8
	v_fmaak_f32 v24, v23, v24, 0x3de703be
	;; [unrolled: 1-line block ×4, first 2 shown]
	v_fma_f32 v23, |v13|, v23, |v13|
; %bb.17:                               ;   in Loop: Header=BB364_9 Depth=1
	s_or_b64 exec, exec, s[14:15]
	s_waitcnt vmcnt(0)
	v_add_f32_e32 v1, v1, v5
	v_bfi_b32 v5, s38, v23, v13
	v_add_f32_e32 v0, v0, v4
	v_mul_f32_e32 v4, 0.5, v9
	v_add_f32_e32 v5, 1.0, v5
	v_bfi_b32 v12, s38, v22, v12
	v_mul_f32_e32 v9, v4, v5
	v_add_f32_e32 v4, v10, v14
	v_mul_f32_e32 v8, 0.5, v8
	v_add_f32_e32 v12, 1.0, v12
	v_mul_f32_e32 v5, 0x3f3504f3, v4
	v_mul_f32_e32 v8, v8, v12
	v_cmp_nlt_f32_e64 s[14:15], |v5|, 1.0
	;;#ASMSTART
	v_pk_mul_f32 v[0:1], v[8:9], v[0:1]
	;;#ASMEND
                                        ; implicit-def: $vgpr8
	s_and_saveexec_b64 s[40:41], s[14:15]
	s_xor_b64 s[14:15], exec, s[40:41]
	s_cbranch_execz .LBB364_19
; %bb.18:                               ;   in Loop: Header=BB364_9 Depth=1
	v_fma_f32 v8, |v5|, s28, v19
	v_fma_f32 v8, |v5|, v8, s29
	;; [unrolled: 1-line block ×6, first 2 shown]
	v_fma_f32 v8, |v5|, v8, |v5|
	v_mul_f32_e32 v9, 0xbfb8aa3b, v8
	v_fma_f32 v10, v8, s35, -v9
	v_rndne_f32_e32 v12, v9
	v_fmac_f32_e32 v10, 0xb2a5705f, v8
	v_sub_f32_e32 v9, v9, v12
	v_add_f32_e32 v9, v9, v10
	v_cvt_i32_f32_e32 v10, v12
	v_exp_f32_e32 v9, v9
	v_cmp_nlt_f32_e32 vcc, s36, v8
	v_ldexp_f32 v9, v9, v10
	s_nop 0
	v_cndmask_b32_e32 v9, 0, v9, vcc
	v_cmp_ngt_f32_e32 vcc, s37, v8
	s_nop 1
	v_cndmask_b32_e32 v8, v20, v9, vcc
	v_sub_f32_e32 v8, 1.0, v8
.LBB364_19:                             ;   in Loop: Header=BB364_9 Depth=1
	s_andn2_saveexec_b64 s[14:15], s[14:15]
; %bb.20:                               ;   in Loop: Header=BB364_9 Depth=1
	v_mul_f32_e32 v8, v5, v5
	v_fmamk_f32 v9, v8, 0xba1345e1, v18
	v_fmaak_f32 v9, v8, v9, 0xbcdac9b8
	v_fmaak_f32 v9, v8, v9, 0x3de703be
	;; [unrolled: 1-line block ×4, first 2 shown]
	v_fma_f32 v8, |v5|, v8, |v5|
; %bb.21:                               ;   in Loop: Header=BB364_9 Depth=1
	s_or_b64 exec, exec, s[14:15]
	v_add_f32_e32 v9, v11, v15
	v_mul_f32_e32 v10, 0x3f3504f3, v9
	v_cmp_nlt_f32_e64 s[14:15], |v10|, 1.0
                                        ; implicit-def: $vgpr11
	s_and_saveexec_b64 s[40:41], s[14:15]
	s_xor_b64 s[14:15], exec, s[40:41]
	s_cbranch_execz .LBB364_23
; %bb.22:                               ;   in Loop: Header=BB364_9 Depth=1
	v_fma_f32 v11, |v10|, s28, v19
	v_fma_f32 v11, |v10|, v11, s29
	v_fma_f32 v11, |v10|, v11, s30
	v_fma_f32 v11, |v10|, v11, s31
	v_fma_f32 v11, |v10|, v11, s33
	v_fma_f32 v11, |v10|, v11, s34
	v_fma_f32 v11, |v10|, v11, |v10|
	v_mul_f32_e32 v12, 0xbfb8aa3b, v11
	v_fma_f32 v13, v11, s35, -v12
	v_rndne_f32_e32 v14, v12
	v_fmac_f32_e32 v13, 0xb2a5705f, v11
	v_sub_f32_e32 v12, v12, v14
	v_add_f32_e32 v12, v12, v13
	v_cvt_i32_f32_e32 v13, v14
	v_exp_f32_e32 v12, v12
	v_cmp_nlt_f32_e32 vcc, s36, v11
	v_ldexp_f32 v12, v12, v13
	s_nop 0
	v_cndmask_b32_e32 v12, 0, v12, vcc
	v_cmp_ngt_f32_e32 vcc, s37, v11
	s_nop 1
	v_cndmask_b32_e32 v11, v20, v12, vcc
	v_sub_f32_e32 v11, 1.0, v11
.LBB364_23:                             ;   in Loop: Header=BB364_9 Depth=1
	s_andn2_saveexec_b64 s[14:15], s[14:15]
	s_cbranch_execz .LBB364_8
; %bb.24:                               ;   in Loop: Header=BB364_9 Depth=1
	v_mul_f32_e32 v11, v10, v10
	v_fmamk_f32 v12, v11, 0xba1345e1, v18
	v_fmaak_f32 v12, v11, v12, 0xbcdac9b8
	v_fmaak_f32 v12, v11, v12, 0x3de703be
	;; [unrolled: 1-line block ×4, first 2 shown]
	v_fma_f32 v11, |v10|, v11, |v10|
	s_branch .LBB364_8
.LBB364_25:
	s_endpgm
	.section	.rodata,"a",@progbits
	.p2align	6, 0x0
	.amdhsa_kernel _ZN5aiter23act_and_mul_bias_kernelIffhfTnPFfRKT2_EXadL_ZNS_11gelu_kernelIfEEfRKT_EELi4EEEvPT0_PS8_PKT1_PS2_il
		.amdhsa_group_segment_fixed_size 0
		.amdhsa_private_segment_fixed_size 0
		.amdhsa_kernarg_size 304
		.amdhsa_user_sgpr_count 2
		.amdhsa_user_sgpr_dispatch_ptr 0
		.amdhsa_user_sgpr_queue_ptr 0
		.amdhsa_user_sgpr_kernarg_segment_ptr 1
		.amdhsa_user_sgpr_dispatch_id 0
		.amdhsa_user_sgpr_kernarg_preload_length 0
		.amdhsa_user_sgpr_kernarg_preload_offset 0
		.amdhsa_user_sgpr_private_segment_size 0
		.amdhsa_uses_dynamic_stack 0
		.amdhsa_enable_private_segment 0
		.amdhsa_system_sgpr_workgroup_id_x 1
		.amdhsa_system_sgpr_workgroup_id_y 0
		.amdhsa_system_sgpr_workgroup_id_z 0
		.amdhsa_system_sgpr_workgroup_info 0
		.amdhsa_system_vgpr_workitem_id 0
		.amdhsa_next_free_vgpr 27
		.amdhsa_next_free_sgpr 42
		.amdhsa_accum_offset 28
		.amdhsa_reserve_vcc 1
		.amdhsa_float_round_mode_32 0
		.amdhsa_float_round_mode_16_64 0
		.amdhsa_float_denorm_mode_32 3
		.amdhsa_float_denorm_mode_16_64 3
		.amdhsa_dx10_clamp 1
		.amdhsa_ieee_mode 1
		.amdhsa_fp16_overflow 0
		.amdhsa_tg_split 0
		.amdhsa_exception_fp_ieee_invalid_op 0
		.amdhsa_exception_fp_denorm_src 0
		.amdhsa_exception_fp_ieee_div_zero 0
		.amdhsa_exception_fp_ieee_overflow 0
		.amdhsa_exception_fp_ieee_underflow 0
		.amdhsa_exception_fp_ieee_inexact 0
		.amdhsa_exception_int_div_zero 0
	.end_amdhsa_kernel
	.section	.text._ZN5aiter23act_and_mul_bias_kernelIffhfTnPFfRKT2_EXadL_ZNS_11gelu_kernelIfEEfRKT_EELi4EEEvPT0_PS8_PKT1_PS2_il,"axG",@progbits,_ZN5aiter23act_and_mul_bias_kernelIffhfTnPFfRKT2_EXadL_ZNS_11gelu_kernelIfEEfRKT_EELi4EEEvPT0_PS8_PKT1_PS2_il,comdat
.Lfunc_end364:
	.size	_ZN5aiter23act_and_mul_bias_kernelIffhfTnPFfRKT2_EXadL_ZNS_11gelu_kernelIfEEfRKT_EELi4EEEvPT0_PS8_PKT1_PS2_il, .Lfunc_end364-_ZN5aiter23act_and_mul_bias_kernelIffhfTnPFfRKT2_EXadL_ZNS_11gelu_kernelIfEEfRKT_EELi4EEEvPT0_PS8_PKT1_PS2_il
                                        ; -- End function
	.section	.AMDGPU.csdata,"",@progbits
; Kernel info:
; codeLenInByte = 1700
; NumSgprs: 48
; NumVgprs: 27
; NumAgprs: 0
; TotalNumVgprs: 27
; ScratchSize: 0
; MemoryBound: 0
; FloatMode: 240
; IeeeMode: 1
; LDSByteSize: 0 bytes/workgroup (compile time only)
; SGPRBlocks: 5
; VGPRBlocks: 3
; NumSGPRsForWavesPerEU: 48
; NumVGPRsForWavesPerEU: 27
; AccumOffset: 28
; Occupancy: 8
; WaveLimiterHint : 0
; COMPUTE_PGM_RSRC2:SCRATCH_EN: 0
; COMPUTE_PGM_RSRC2:USER_SGPR: 2
; COMPUTE_PGM_RSRC2:TRAP_HANDLER: 0
; COMPUTE_PGM_RSRC2:TGID_X_EN: 1
; COMPUTE_PGM_RSRC2:TGID_Y_EN: 0
; COMPUTE_PGM_RSRC2:TGID_Z_EN: 0
; COMPUTE_PGM_RSRC2:TIDIG_COMP_CNT: 0
; COMPUTE_PGM_RSRC3_GFX90A:ACCUM_OFFSET: 6
; COMPUTE_PGM_RSRC3_GFX90A:TG_SPLIT: 0
	.section	.text._ZN5aiter23act_and_mul_bias_kernelIffhfTnPFfRKT2_EXadL_ZNS_11gelu_kernelIfEEfRKT_EELi2EEEvPT0_PS8_PKT1_PS2_il,"axG",@progbits,_ZN5aiter23act_and_mul_bias_kernelIffhfTnPFfRKT2_EXadL_ZNS_11gelu_kernelIfEEfRKT_EELi2EEEvPT0_PS8_PKT1_PS2_il,comdat
	.protected	_ZN5aiter23act_and_mul_bias_kernelIffhfTnPFfRKT2_EXadL_ZNS_11gelu_kernelIfEEfRKT_EELi2EEEvPT0_PS8_PKT1_PS2_il ; -- Begin function _ZN5aiter23act_and_mul_bias_kernelIffhfTnPFfRKT2_EXadL_ZNS_11gelu_kernelIfEEfRKT_EELi2EEEvPT0_PS8_PKT1_PS2_il
	.globl	_ZN5aiter23act_and_mul_bias_kernelIffhfTnPFfRKT2_EXadL_ZNS_11gelu_kernelIfEEfRKT_EELi2EEEvPT0_PS8_PKT1_PS2_il
	.p2align	8
	.type	_ZN5aiter23act_and_mul_bias_kernelIffhfTnPFfRKT2_EXadL_ZNS_11gelu_kernelIfEEfRKT_EELi2EEEvPT0_PS8_PKT1_PS2_il,@function
_ZN5aiter23act_and_mul_bias_kernelIffhfTnPFfRKT2_EXadL_ZNS_11gelu_kernelIfEEfRKT_EELi2EEEvPT0_PS8_PKT1_PS2_il: ; @_ZN5aiter23act_and_mul_bias_kernelIffhfTnPFfRKT2_EXadL_ZNS_11gelu_kernelIfEEfRKT_EELi2EEEvPT0_PS8_PKT1_PS2_il
; %bb.0:
	s_load_dwordx2 s[4:5], s[0:1], 0x10
	s_load_dword s24, s[0:1], 0x20
	s_load_dwordx2 s[12:13], s[0:1], 0x28
	v_mov_b32_e32 v1, s2
	s_mov_b32 s9, 0
	s_waitcnt lgkmcnt(0)
	global_load_ubyte v1, v1, s[4:5]
	s_load_dwordx2 s[4:5], s[0:1], 0x0
	s_ashr_i32 s25, s24, 31
	s_mul_hi_u32 s3, s24, s2
	s_mul_i32 s7, s25, s2
	s_mul_i32 s14, s24, s2
	s_add_i32 s15, s3, s7
	s_lshl_b32 s6, s24, 2
	v_mov_b64_e32 v[4:5], s[12:13]
	s_lshl_b64 s[12:13], s[14:15], 2
	s_mov_b64 s[10:11], -1
	v_lshlrev_b32_e32 v2, 1, v0
	s_waitcnt vmcnt(0)
	v_readfirstlane_b32 s3, v1
	s_and_b32 s8, s3, 0xffff
	s_waitcnt lgkmcnt(0)
	s_add_u32 s4, s4, s12
	v_cmp_lt_i64_e32 vcc, s[8:9], v[4:5]
	s_addc_u32 s3, s5, s13
	s_and_b32 s5, s3, 0xffff
	s_cbranch_vccnz .LBB365_5
; %bb.1:
	v_cmp_gt_i32_e32 vcc, s24, v2
	s_and_saveexec_b64 s[10:11], vcc
	s_cbranch_execz .LBB365_4
; %bb.2:
	s_load_dword s3, s[0:1], 0x3c
	v_mov_b32_e32 v3, 0
	s_mov_b32 s13, 0
	v_lshlrev_b32_e32 v6, 3, v0
	s_mov_b64 s[14:15], 0
	s_waitcnt lgkmcnt(0)
	s_and_b32 s3, s3, 0xffff
	s_lshl_b32 s12, s3, 1
	s_lshl_b32 s3, s3, 3
	s_mov_b32 s7, 0x20000
	v_mov_b32_e32 v0, v3
	v_mov_b32_e32 v1, v3
	v_mov_b64_e32 v[4:5], v[2:3]
.LBB365_3:                              ; =>This Inner Loop Header: Depth=1
	v_lshl_add_u64 v[4:5], s[12:13], 0, v[4:5]
	v_cmp_le_i64_e32 vcc, s[24:25], v[4:5]
	buffer_store_dwordx2 v[0:1], v6, s[4:7], 0 offen
	s_or_b64 s[14:15], vcc, s[14:15]
	v_add_u32_e32 v6, s3, v6
	s_andn2_b64 exec, exec, s[14:15]
	s_cbranch_execnz .LBB365_3
.LBB365_4:
	s_or_b64 exec, exec, s[10:11]
	s_mov_b64 s[10:11], 0
.LBB365_5:
	s_andn2_b64 vcc, exec, s[10:11]
	s_cbranch_vccnz .LBB365_13
; %bb.6:
	v_cmp_gt_i32_e32 vcc, s24, v2
	s_and_saveexec_b64 s[10:11], vcc
	s_cbranch_execz .LBB365_13
; %bb.7:
	s_load_dwordx2 s[10:11], s[0:1], 0x18
	s_load_dwordx2 s[14:15], s[0:1], 0x8
	s_mul_hi_i32 s9, s24, s8
	s_mul_i32 s8, s24, s8
	s_lshl_b64 s[8:9], s[8:9], 3
	s_waitcnt lgkmcnt(0)
	s_add_u32 s8, s10, s8
	s_addc_u32 s3, s11, s9
	s_lshl_b64 s[18:19], s[24:25], 2
	s_add_u32 s12, s8, s18
	s_addc_u32 s13, s3, s19
	s_and_b32 s9, s3, 0xffff
	s_mul_i32 s3, s2, s25
	s_mul_hi_u32 s16, s2, s24
	s_add_i32 s3, s16, s3
	s_mul_i32 s2, s2, s24
	s_and_b32 s13, s13, 0xffff
	s_lshl_b64 s[2:3], s[2:3], 3
	s_add_u32 s16, s14, s2
	s_addc_u32 s2, s15, s3
	s_add_u32 s20, s16, s18
	s_addc_u32 s3, s2, s19
	s_and_b32 s17, s2, 0xffff
	s_and_b32 s21, s3, 0xffff
	s_mov_b32 s7, 0x20000
	s_add_u32 s0, s0, 48
	s_mov_b64 s[10:11], s[6:7]
	v_mov_b32_e32 v3, 0
	s_addc_u32 s1, s1, 0
	s_mov_b64 s[2:3], 0
	s_mov_b32 s18, s6
	s_mov_b32 s19, s7
	;; [unrolled: 1-line block ×13, first 2 shown]
	v_mov_b32_e32 v12, 0x3ba10414
	v_mov_b32_e32 v13, 0xb9c68948
	;; [unrolled: 1-line block ×3, first 2 shown]
	s_brev_b32 s39, -2
	s_mov_b32 s22, s6
	s_mov_b32 s23, s7
                                        ; implicit-def: $vgpr0
                                        ; implicit-def: $vgpr0
	;; [unrolled: 1-line block ×4, first 2 shown]
	s_branch .LBB365_9
.LBB365_8:                              ;   in Loop: Header=BB365_9 Depth=1
	s_or_b64 exec, exec, s[14:15]
	v_fma_f32 v10, |v5|, s29, v13
	v_fma_f32 v10, |v5|, v10, s30
	;; [unrolled: 1-line block ×6, first 2 shown]
	v_fma_f32 v10, |v5|, v10, |v5|
	v_mul_f32_e32 v17, 0xbfb8aa3b, v10
	v_fma_f32 v18, v10, s36, -v17
	v_rndne_f32_e32 v19, v17
	v_fmac_f32_e32 v18, 0xb2a5705f, v10
	v_sub_f32_e32 v17, v17, v19
	v_add_f32_e32 v17, v17, v18
	v_exp_f32_e32 v17, v17
	v_cvt_i32_f32_e32 v18, v19
	s_waitcnt vmcnt(0)
	v_pk_add_f32 v[0:1], v[0:1], v[8:9]
	v_fmamk_f32 v9, v11, 0xba1345e1, v12
	v_fmaak_f32 v9, v11, v9, 0xbcdac9b8
	v_ldexp_f32 v8, v17, v18
	v_cmp_nlt_f32_e32 vcc, s37, v10
	v_fmaak_f32 v9, v11, v9, 0x3de703be
	v_fmaak_f32 v9, v11, v9, 0xbec09330
	v_cndmask_b32_e32 v8, 0, v8, vcc
	v_cmp_ngt_f32_e32 vcc, s38, v10
	v_fmaak_f32 v9, v11, v9, 0x3e0375d0
	v_fma_f32 v9, |v5|, v9, |v5|
	v_cndmask_b32_e32 v8, v14, v8, vcc
	v_sub_f32_e32 v8, 1.0, v8
	v_cmp_lt_f32_e64 vcc, |v5|, 1.0
	v_bfi_b32 v4, s39, v16, v4
	v_mul_f32_e32 v7, 0.5, v7
	v_cndmask_b32_e32 v8, v8, v9, vcc
	v_bfi_b32 v5, s39, v8, v5
	v_mul_f32_e32 v6, 0.5, v6
	v_pk_add_f32 v[4:5], v[4:5], 1.0 op_sel_hi:[1,0]
	s_nop 0
	v_pk_mul_f32 v[4:5], v[6:7], v[4:5]
	s_nop 0
	;;#ASMSTART
	v_pk_mul_f32 v[0:1], v[4:5], v[0:1]
	;;#ASMEND
	s_load_dword s14, s[0:1], 0xc
	buffer_store_dwordx2 v[0:1], v15, s[4:7], 0 offen
	s_waitcnt lgkmcnt(0)
	s_and_b32 s14, s14, 0xffff
	s_lshl_b32 s26, s14, 1
	v_lshl_add_u64 v[2:3], s[26:27], 0, v[2:3]
	v_cmp_le_i64_e32 vcc, s[24:25], v[2:3]
	s_or_b64 s[2:3], vcc, s[2:3]
	s_andn2_b64 exec, exec, s[2:3]
	s_cbranch_execz .LBB365_13
.LBB365_9:                              ; =>This Inner Loop Header: Depth=1
	v_lshlrev_b32_e32 v15, 2, v2
	buffer_load_dwordx2 v[4:5], v15, s[16:19], 0 offen
	buffer_load_dwordx2 v[0:1], v15, s[20:23], 0 offen
	buffer_load_dwordx2 v[6:7], v15, s[8:11], 0 offen
	s_mov_b32 s14, s10
	s_mov_b32 s15, s11
	buffer_load_dwordx2 v[8:9], v15, s[12:15], 0 offen
                                        ; implicit-def: $vgpr16
	s_waitcnt vmcnt(1)
	v_pk_add_f32 v[6:7], v[4:5], v[6:7]
	s_nop 0
	v_pk_mul_f32 v[4:5], v[6:7], s[28:29] op_sel_hi:[1,0]
	s_nop 0
	v_cmp_nlt_f32_e64 s[14:15], |v4|, 1.0
	s_and_saveexec_b64 s[40:41], s[14:15]
	s_xor_b64 s[14:15], exec, s[40:41]
	s_cbranch_execz .LBB365_11
; %bb.10:                               ;   in Loop: Header=BB365_9 Depth=1
	v_fma_f32 v10, |v4|, s29, v13
	v_fma_f32 v10, |v4|, v10, s30
	;; [unrolled: 1-line block ×6, first 2 shown]
	v_fma_f32 v10, |v4|, v10, |v4|
	v_mul_f32_e32 v11, 0xbfb8aa3b, v10
	v_fma_f32 v16, v10, s36, -v11
	v_rndne_f32_e32 v17, v11
	v_fmac_f32_e32 v16, 0xb2a5705f, v10
	v_sub_f32_e32 v11, v11, v17
	v_add_f32_e32 v11, v11, v16
	v_cvt_i32_f32_e32 v16, v17
	v_exp_f32_e32 v11, v11
	v_cmp_nlt_f32_e32 vcc, s37, v10
	v_ldexp_f32 v11, v11, v16
	s_nop 0
	v_cndmask_b32_e32 v11, 0, v11, vcc
	v_cmp_ngt_f32_e32 vcc, s38, v10
	s_nop 1
	v_cndmask_b32_e32 v10, v14, v11, vcc
	v_sub_f32_e32 v16, 1.0, v10
.LBB365_11:                             ;   in Loop: Header=BB365_9 Depth=1
	s_or_saveexec_b64 s[14:15], s[14:15]
	v_pk_mul_f32 v[10:11], v[4:5], v[4:5]
	s_xor_b64 exec, exec, s[14:15]
	s_cbranch_execz .LBB365_8
; %bb.12:                               ;   in Loop: Header=BB365_9 Depth=1
	v_fmamk_f32 v16, v10, 0xba1345e1, v12
	v_fmaak_f32 v16, v10, v16, 0xbcdac9b8
	v_fmaak_f32 v16, v10, v16, 0x3de703be
	;; [unrolled: 1-line block ×4, first 2 shown]
	v_fma_f32 v16, |v4|, v10, |v4|
	s_branch .LBB365_8
.LBB365_13:
	s_endpgm
	.section	.rodata,"a",@progbits
	.p2align	6, 0x0
	.amdhsa_kernel _ZN5aiter23act_and_mul_bias_kernelIffhfTnPFfRKT2_EXadL_ZNS_11gelu_kernelIfEEfRKT_EELi2EEEvPT0_PS8_PKT1_PS2_il
		.amdhsa_group_segment_fixed_size 0
		.amdhsa_private_segment_fixed_size 0
		.amdhsa_kernarg_size 304
		.amdhsa_user_sgpr_count 2
		.amdhsa_user_sgpr_dispatch_ptr 0
		.amdhsa_user_sgpr_queue_ptr 0
		.amdhsa_user_sgpr_kernarg_segment_ptr 1
		.amdhsa_user_sgpr_dispatch_id 0
		.amdhsa_user_sgpr_kernarg_preload_length 0
		.amdhsa_user_sgpr_kernarg_preload_offset 0
		.amdhsa_user_sgpr_private_segment_size 0
		.amdhsa_uses_dynamic_stack 0
		.amdhsa_enable_private_segment 0
		.amdhsa_system_sgpr_workgroup_id_x 1
		.amdhsa_system_sgpr_workgroup_id_y 0
		.amdhsa_system_sgpr_workgroup_id_z 0
		.amdhsa_system_sgpr_workgroup_info 0
		.amdhsa_system_vgpr_workitem_id 0
		.amdhsa_next_free_vgpr 20
		.amdhsa_next_free_sgpr 42
		.amdhsa_accum_offset 20
		.amdhsa_reserve_vcc 1
		.amdhsa_float_round_mode_32 0
		.amdhsa_float_round_mode_16_64 0
		.amdhsa_float_denorm_mode_32 3
		.amdhsa_float_denorm_mode_16_64 3
		.amdhsa_dx10_clamp 1
		.amdhsa_ieee_mode 1
		.amdhsa_fp16_overflow 0
		.amdhsa_tg_split 0
		.amdhsa_exception_fp_ieee_invalid_op 0
		.amdhsa_exception_fp_denorm_src 0
		.amdhsa_exception_fp_ieee_div_zero 0
		.amdhsa_exception_fp_ieee_overflow 0
		.amdhsa_exception_fp_ieee_underflow 0
		.amdhsa_exception_fp_ieee_inexact 0
		.amdhsa_exception_int_div_zero 0
	.end_amdhsa_kernel
	.section	.text._ZN5aiter23act_and_mul_bias_kernelIffhfTnPFfRKT2_EXadL_ZNS_11gelu_kernelIfEEfRKT_EELi2EEEvPT0_PS8_PKT1_PS2_il,"axG",@progbits,_ZN5aiter23act_and_mul_bias_kernelIffhfTnPFfRKT2_EXadL_ZNS_11gelu_kernelIfEEfRKT_EELi2EEEvPT0_PS8_PKT1_PS2_il,comdat
.Lfunc_end365:
	.size	_ZN5aiter23act_and_mul_bias_kernelIffhfTnPFfRKT2_EXadL_ZNS_11gelu_kernelIfEEfRKT_EELi2EEEvPT0_PS8_PKT1_PS2_il, .Lfunc_end365-_ZN5aiter23act_and_mul_bias_kernelIffhfTnPFfRKT2_EXadL_ZNS_11gelu_kernelIfEEfRKT_EELi2EEEvPT0_PS8_PKT1_PS2_il
                                        ; -- End function
	.section	.AMDGPU.csdata,"",@progbits
; Kernel info:
; codeLenInByte = 1176
; NumSgprs: 48
; NumVgprs: 20
; NumAgprs: 0
; TotalNumVgprs: 20
; ScratchSize: 0
; MemoryBound: 0
; FloatMode: 240
; IeeeMode: 1
; LDSByteSize: 0 bytes/workgroup (compile time only)
; SGPRBlocks: 5
; VGPRBlocks: 2
; NumSGPRsForWavesPerEU: 48
; NumVGPRsForWavesPerEU: 20
; AccumOffset: 20
; Occupancy: 8
; WaveLimiterHint : 0
; COMPUTE_PGM_RSRC2:SCRATCH_EN: 0
; COMPUTE_PGM_RSRC2:USER_SGPR: 2
; COMPUTE_PGM_RSRC2:TRAP_HANDLER: 0
; COMPUTE_PGM_RSRC2:TGID_X_EN: 1
; COMPUTE_PGM_RSRC2:TGID_Y_EN: 0
; COMPUTE_PGM_RSRC2:TGID_Z_EN: 0
; COMPUTE_PGM_RSRC2:TIDIG_COMP_CNT: 0
; COMPUTE_PGM_RSRC3_GFX90A:ACCUM_OFFSET: 4
; COMPUTE_PGM_RSRC3_GFX90A:TG_SPLIT: 0
	.section	.text._ZN5aiter23act_and_mul_bias_kernelIffhfTnPFfRKT2_EXadL_ZNS_11gelu_kernelIfEEfRKT_EELi1EEEvPT0_PS8_PKT1_PS2_il,"axG",@progbits,_ZN5aiter23act_and_mul_bias_kernelIffhfTnPFfRKT2_EXadL_ZNS_11gelu_kernelIfEEfRKT_EELi1EEEvPT0_PS8_PKT1_PS2_il,comdat
	.protected	_ZN5aiter23act_and_mul_bias_kernelIffhfTnPFfRKT2_EXadL_ZNS_11gelu_kernelIfEEfRKT_EELi1EEEvPT0_PS8_PKT1_PS2_il ; -- Begin function _ZN5aiter23act_and_mul_bias_kernelIffhfTnPFfRKT2_EXadL_ZNS_11gelu_kernelIfEEfRKT_EELi1EEEvPT0_PS8_PKT1_PS2_il
	.globl	_ZN5aiter23act_and_mul_bias_kernelIffhfTnPFfRKT2_EXadL_ZNS_11gelu_kernelIfEEfRKT_EELi1EEEvPT0_PS8_PKT1_PS2_il
	.p2align	8
	.type	_ZN5aiter23act_and_mul_bias_kernelIffhfTnPFfRKT2_EXadL_ZNS_11gelu_kernelIfEEfRKT_EELi1EEEvPT0_PS8_PKT1_PS2_il,@function
_ZN5aiter23act_and_mul_bias_kernelIffhfTnPFfRKT2_EXadL_ZNS_11gelu_kernelIfEEfRKT_EELi1EEEvPT0_PS8_PKT1_PS2_il: ; @_ZN5aiter23act_and_mul_bias_kernelIffhfTnPFfRKT2_EXadL_ZNS_11gelu_kernelIfEEfRKT_EELi1EEEvPT0_PS8_PKT1_PS2_il
; %bb.0:
	s_load_dwordx2 s[4:5], s[0:1], 0x10
	s_load_dword s20, s[0:1], 0x20
	s_load_dwordx2 s[8:9], s[0:1], 0x28
	v_mov_b32_e32 v1, s2
	s_load_dwordx2 s[14:15], s[0:1], 0x0
	s_waitcnt lgkmcnt(0)
	global_load_ubyte v1, v1, s[4:5]
	s_ashr_i32 s21, s20, 31
	s_mul_hi_u32 s3, s20, s2
	s_mul_i32 s6, s21, s2
	s_mul_i32 s16, s20, s2
	s_add_i32 s17, s3, s6
	s_lshl_b32 s10, s20, 2
	v_mov_b64_e32 v[2:3], s[8:9]
	s_lshl_b64 s[8:9], s[16:17], 2
	s_mov_b32 s7, 0
	s_mov_b64 s[12:13], -1
	v_cmp_gt_i32_e64 s[4:5], s20, v0
	s_waitcnt vmcnt(0)
	v_readfirstlane_b32 s3, v1
	s_and_b32 s6, s3, 0xffff
	s_add_u32 s8, s14, s8
	v_cmp_lt_i64_e32 vcc, s[6:7], v[2:3]
	s_addc_u32 s3, s15, s9
	s_and_b32 s9, s3, 0xffff
	s_cbranch_vccnz .LBB366_5
; %bb.1:
	s_and_saveexec_b64 s[12:13], s[4:5]
	s_cbranch_execz .LBB366_4
; %bb.2:
	s_load_dword s3, s[0:1], 0x3c
	v_mov_b32_e32 v1, 0
	s_mov_b32 s5, 0
	v_lshlrev_b32_e32 v4, 2, v0
	s_mov_b64 s[14:15], 0
	s_waitcnt lgkmcnt(0)
	s_and_b32 s4, s3, 0xffff
	s_lshl_b32 s3, s4, 2
	s_mov_b32 s11, 0x20000
	v_mov_b64_e32 v[2:3], v[0:1]
.LBB366_3:                              ; =>This Inner Loop Header: Depth=1
	v_lshl_add_u64 v[2:3], v[2:3], 0, s[4:5]
	v_cmp_le_i64_e32 vcc, s[20:21], v[2:3]
	buffer_store_dword v1, v4, s[8:11], 0 offen
	s_or_b64 s[14:15], vcc, s[14:15]
	v_add_u32_e32 v4, s3, v4
	s_andn2_b64 exec, exec, s[14:15]
	s_cbranch_execnz .LBB366_3
.LBB366_4:
	s_or_b64 exec, exec, s[12:13]
	s_mov_b64 s[12:13], 0
.LBB366_5:
	s_andn2_b64 vcc, exec, s[12:13]
	s_cbranch_vccnz .LBB366_13
; %bb.6:
	v_cmp_gt_i32_e32 vcc, s20, v0
	s_and_saveexec_b64 s[4:5], vcc
	s_cbranch_execz .LBB366_13
; %bb.7:
	s_load_dwordx2 s[12:13], s[0:1], 0x8
	s_load_dwordx2 s[4:5], s[0:1], 0x18
	s_mul_hi_i32 s7, s20, s6
	s_mul_i32 s6, s20, s6
	s_lshl_b64 s[6:7], s[6:7], 3
	s_load_dword s14, s[0:1], 0x3c
	s_waitcnt lgkmcnt(0)
	s_add_u32 s0, s4, s6
	s_addc_u32 s1, s5, s7
	s_lshl_b64 s[6:7], s[20:21], 2
	s_add_u32 s4, s0, s6
	s_addc_u32 s3, s1, s7
	s_and_b32 s5, s3, 0xffff
	s_mul_i32 s3, s2, s21
	s_mul_hi_u32 s15, s2, s20
	s_add_i32 s3, s15, s3
	s_mul_i32 s2, s2, s20
	s_and_b32 s1, s1, 0xffff
	s_lshl_b64 s[2:3], s[2:3], 3
	s_add_u32 s12, s12, s2
	s_addc_u32 s2, s13, s3
	s_add_u32 s16, s12, s6
	s_mov_b32 s11, 0x20000
	s_addc_u32 s3, s2, s7
	s_and_b32 s22, s14, 0xffff
                                        ; implicit-def: $vgpr4
                                        ; implicit-def: $vgpr4
	;; [unrolled: 1-line block ×4, first 2 shown]
	s_and_b32 s13, s2, 0xffff
	s_and_b32 s17, s3, 0xffff
	s_mov_b32 s23, 0
	v_mov_b32_e32 v1, 0
	v_lshlrev_b32_e32 v2, 2, v0
	s_lshl_b32 s26, s22, 2
	s_mov_b64 s[24:25], 0
	s_mov_b32 s19, s11
	s_mov_b32 s18, s10
	;; [unrolled: 1-line block ×13, first 2 shown]
	v_mov_b32_e32 v3, 0x3ba10414
	s_brev_b32 s37, -2
	v_mov_b32_e32 v4, 0xb9c68948
	v_mov_b32_e32 v5, 0x7f800000
	s_branch .LBB366_9
.LBB366_8:                              ;   in Loop: Header=BB366_9 Depth=1
	s_or_b64 exec, exec, s[2:3]
	s_waitcnt vmcnt(0)
	v_add_f32_e32 v6, v6, v7
	v_mul_f32_e32 v7, 0.5, v8
	v_bfi_b32 v8, s37, v10, v9
	v_add_f32_e32 v8, 1.0, v8
	v_mul_f32_e32 v7, v7, v8
	v_lshl_add_u64 v[0:1], v[0:1], 0, s[22:23]
	v_mul_f32_e32 v6, v6, v7
	v_cmp_le_i64_e32 vcc, s[20:21], v[0:1]
	buffer_store_dword v6, v2, s[8:11], 0 offen
	s_or_b64 s[24:25], vcc, s[24:25]
	v_add_u32_e32 v2, s26, v2
	s_andn2_b64 exec, exec, s[24:25]
	s_cbranch_execz .LBB366_13
.LBB366_9:                              ; =>This Inner Loop Header: Depth=1
	s_mov_b32 s2, s18
	s_mov_b32 s3, s19
	buffer_load_dword v8, v2, s[12:15], 0 offen
	buffer_load_dword v6, v2, s[16:19], 0 offen
	;; [unrolled: 1-line block ×3, first 2 shown]
	s_mov_b32 s6, s18
	s_mov_b32 s7, s19
	buffer_load_dword v7, v2, s[4:7], 0 offen
                                        ; implicit-def: $vgpr10
	s_waitcnt vmcnt(1)
	v_add_f32_e32 v8, v8, v9
	v_mul_f32_e32 v9, 0x3f3504f3, v8
	v_cmp_nlt_f32_e64 s[2:3], |v9|, 1.0
	s_and_saveexec_b64 s[6:7], s[2:3]
	s_xor_b64 s[2:3], exec, s[6:7]
	s_cbranch_execz .LBB366_11
; %bb.10:                               ;   in Loop: Header=BB366_9 Depth=1
	v_fma_f32 v10, |v9|, s27, v4
	v_fma_f32 v10, |v9|, v10, s28
	;; [unrolled: 1-line block ×6, first 2 shown]
	v_fma_f32 v10, |v9|, v10, |v9|
	v_mul_f32_e32 v11, 0xbfb8aa3b, v10
	v_fma_f32 v12, v10, s34, -v11
	v_rndne_f32_e32 v13, v11
	v_fmac_f32_e32 v12, 0xb2a5705f, v10
	v_sub_f32_e32 v11, v11, v13
	v_add_f32_e32 v11, v11, v12
	v_cvt_i32_f32_e32 v12, v13
	v_exp_f32_e32 v11, v11
	v_cmp_nlt_f32_e32 vcc, s35, v10
	v_ldexp_f32 v11, v11, v12
	s_nop 0
	v_cndmask_b32_e32 v11, 0, v11, vcc
	v_cmp_ngt_f32_e32 vcc, s36, v10
	s_nop 1
	v_cndmask_b32_e32 v10, v5, v11, vcc
	v_sub_f32_e32 v10, 1.0, v10
.LBB366_11:                             ;   in Loop: Header=BB366_9 Depth=1
	s_andn2_saveexec_b64 s[2:3], s[2:3]
	s_cbranch_execz .LBB366_8
; %bb.12:                               ;   in Loop: Header=BB366_9 Depth=1
	v_mul_f32_e32 v10, v9, v9
	v_fmamk_f32 v11, v10, 0xba1345e1, v3
	v_fmaak_f32 v11, v10, v11, 0xbcdac9b8
	v_fmaak_f32 v11, v10, v11, 0x3de703be
	;; [unrolled: 1-line block ×4, first 2 shown]
	v_fma_f32 v10, |v9|, v10, |v9|
	s_branch .LBB366_8
.LBB366_13:
	s_endpgm
	.section	.rodata,"a",@progbits
	.p2align	6, 0x0
	.amdhsa_kernel _ZN5aiter23act_and_mul_bias_kernelIffhfTnPFfRKT2_EXadL_ZNS_11gelu_kernelIfEEfRKT_EELi1EEEvPT0_PS8_PKT1_PS2_il
		.amdhsa_group_segment_fixed_size 0
		.amdhsa_private_segment_fixed_size 0
		.amdhsa_kernarg_size 304
		.amdhsa_user_sgpr_count 2
		.amdhsa_user_sgpr_dispatch_ptr 0
		.amdhsa_user_sgpr_queue_ptr 0
		.amdhsa_user_sgpr_kernarg_segment_ptr 1
		.amdhsa_user_sgpr_dispatch_id 0
		.amdhsa_user_sgpr_kernarg_preload_length 0
		.amdhsa_user_sgpr_kernarg_preload_offset 0
		.amdhsa_user_sgpr_private_segment_size 0
		.amdhsa_uses_dynamic_stack 0
		.amdhsa_enable_private_segment 0
		.amdhsa_system_sgpr_workgroup_id_x 1
		.amdhsa_system_sgpr_workgroup_id_y 0
		.amdhsa_system_sgpr_workgroup_id_z 0
		.amdhsa_system_sgpr_workgroup_info 0
		.amdhsa_system_vgpr_workitem_id 0
		.amdhsa_next_free_vgpr 14
		.amdhsa_next_free_sgpr 38
		.amdhsa_accum_offset 16
		.amdhsa_reserve_vcc 1
		.amdhsa_float_round_mode_32 0
		.amdhsa_float_round_mode_16_64 0
		.amdhsa_float_denorm_mode_32 3
		.amdhsa_float_denorm_mode_16_64 3
		.amdhsa_dx10_clamp 1
		.amdhsa_ieee_mode 1
		.amdhsa_fp16_overflow 0
		.amdhsa_tg_split 0
		.amdhsa_exception_fp_ieee_invalid_op 0
		.amdhsa_exception_fp_denorm_src 0
		.amdhsa_exception_fp_ieee_div_zero 0
		.amdhsa_exception_fp_ieee_overflow 0
		.amdhsa_exception_fp_ieee_underflow 0
		.amdhsa_exception_fp_ieee_inexact 0
		.amdhsa_exception_int_div_zero 0
	.end_amdhsa_kernel
	.section	.text._ZN5aiter23act_and_mul_bias_kernelIffhfTnPFfRKT2_EXadL_ZNS_11gelu_kernelIfEEfRKT_EELi1EEEvPT0_PS8_PKT1_PS2_il,"axG",@progbits,_ZN5aiter23act_and_mul_bias_kernelIffhfTnPFfRKT2_EXadL_ZNS_11gelu_kernelIfEEfRKT_EELi1EEEvPT0_PS8_PKT1_PS2_il,comdat
.Lfunc_end366:
	.size	_ZN5aiter23act_and_mul_bias_kernelIffhfTnPFfRKT2_EXadL_ZNS_11gelu_kernelIfEEfRKT_EELi1EEEvPT0_PS8_PKT1_PS2_il, .Lfunc_end366-_ZN5aiter23act_and_mul_bias_kernelIffhfTnPFfRKT2_EXadL_ZNS_11gelu_kernelIfEEfRKT_EELi1EEEvPT0_PS8_PKT1_PS2_il
                                        ; -- End function
	.section	.AMDGPU.csdata,"",@progbits
; Kernel info:
; codeLenInByte = 904
; NumSgprs: 44
; NumVgprs: 14
; NumAgprs: 0
; TotalNumVgprs: 14
; ScratchSize: 0
; MemoryBound: 0
; FloatMode: 240
; IeeeMode: 1
; LDSByteSize: 0 bytes/workgroup (compile time only)
; SGPRBlocks: 5
; VGPRBlocks: 1
; NumSGPRsForWavesPerEU: 44
; NumVGPRsForWavesPerEU: 14
; AccumOffset: 16
; Occupancy: 8
; WaveLimiterHint : 0
; COMPUTE_PGM_RSRC2:SCRATCH_EN: 0
; COMPUTE_PGM_RSRC2:USER_SGPR: 2
; COMPUTE_PGM_RSRC2:TRAP_HANDLER: 0
; COMPUTE_PGM_RSRC2:TGID_X_EN: 1
; COMPUTE_PGM_RSRC2:TGID_Y_EN: 0
; COMPUTE_PGM_RSRC2:TGID_Z_EN: 0
; COMPUTE_PGM_RSRC2:TIDIG_COMP_CNT: 0
; COMPUTE_PGM_RSRC3_GFX90A:ACCUM_OFFSET: 3
; COMPUTE_PGM_RSRC3_GFX90A:TG_SPLIT: 0
	.section	.text._ZN5aiter23act_and_mul_bias_kernelIDF16_DF16_hfTnPFfRKT2_EXadL_ZNS_11gelu_kernelIfEEfRKT_EELi32EEEvPT0_PS8_PKT1_PS2_il,"axG",@progbits,_ZN5aiter23act_and_mul_bias_kernelIDF16_DF16_hfTnPFfRKT2_EXadL_ZNS_11gelu_kernelIfEEfRKT_EELi32EEEvPT0_PS8_PKT1_PS2_il,comdat
	.protected	_ZN5aiter23act_and_mul_bias_kernelIDF16_DF16_hfTnPFfRKT2_EXadL_ZNS_11gelu_kernelIfEEfRKT_EELi32EEEvPT0_PS8_PKT1_PS2_il ; -- Begin function _ZN5aiter23act_and_mul_bias_kernelIDF16_DF16_hfTnPFfRKT2_EXadL_ZNS_11gelu_kernelIfEEfRKT_EELi32EEEvPT0_PS8_PKT1_PS2_il
	.globl	_ZN5aiter23act_and_mul_bias_kernelIDF16_DF16_hfTnPFfRKT2_EXadL_ZNS_11gelu_kernelIfEEfRKT_EELi32EEEvPT0_PS8_PKT1_PS2_il
	.p2align	8
	.type	_ZN5aiter23act_and_mul_bias_kernelIDF16_DF16_hfTnPFfRKT2_EXadL_ZNS_11gelu_kernelIfEEfRKT_EELi32EEEvPT0_PS8_PKT1_PS2_il,@function
_ZN5aiter23act_and_mul_bias_kernelIDF16_DF16_hfTnPFfRKT2_EXadL_ZNS_11gelu_kernelIfEEfRKT_EELi32EEEvPT0_PS8_PKT1_PS2_il: ; @_ZN5aiter23act_and_mul_bias_kernelIDF16_DF16_hfTnPFfRKT2_EXadL_ZNS_11gelu_kernelIfEEfRKT_EELi32EEEvPT0_PS8_PKT1_PS2_il
; %bb.0:
	s_load_dwordx2 s[4:5], s[0:1], 0x10
	s_load_dword s24, s[0:1], 0x20
	s_load_dwordx2 s[6:7], s[0:1], 0x28
	v_mov_b32_e32 v1, s2
	s_mov_b32 s9, 0
	s_waitcnt lgkmcnt(0)
	global_load_ubyte v1, v1, s[4:5]
	s_add_i32 s3, s24, 1
	s_load_dwordx2 s[4:5], s[0:1], 0x0
	v_mov_b64_e32 v[2:3], s[6:7]
	s_lshr_b32 s6, s3, 31
	s_ashr_i32 s25, s24, 31
	s_add_i32 s3, s3, s6
	s_mul_hi_u32 s8, s24, s2
	s_mul_i32 s7, s25, s2
	s_lshl_b32 s3, s3, 1
	s_mul_i32 s12, s24, s2
	s_add_i32 s13, s8, s7
	s_and_b32 s6, s3, -4
	s_lshl_b64 s[12:13], s[12:13], 1
	s_mov_b64 s[10:11], -1
	v_lshlrev_b32_e32 v96, 5, v0
	s_waitcnt vmcnt(0)
	v_readfirstlane_b32 s3, v1
	s_and_b32 s8, s3, 0xffff
	s_waitcnt lgkmcnt(0)
	s_add_u32 s4, s4, s12
	v_cmp_lt_i64_e32 vcc, s[8:9], v[2:3]
	s_addc_u32 s3, s5, s13
	s_and_b32 s5, s3, 0xffff
	s_cbranch_vccnz .LBB367_5
; %bb.1:
	v_cmp_gt_i32_e32 vcc, s24, v96
	s_and_saveexec_b64 s[10:11], vcc
	s_cbranch_execz .LBB367_4
; %bb.2:
	s_load_dword s3, s[0:1], 0x3c
	s_mov_b32 s13, 0
	s_mov_b32 s16, s13
	;; [unrolled: 1-line block ×3, first 2 shown]
	v_mov_b32_e32 v97, 0
	v_lshlrev_b32_e32 v6, 6, v0
	s_waitcnt lgkmcnt(0)
	s_and_b32 s3, s3, 0xffff
	s_mov_b32 s18, s13
	s_mov_b32 s19, s13
	v_mov_b64_e32 v[0:1], s[16:17]
	s_lshl_b32 s12, s3, 5
	s_lshl_b32 s3, s3, 6
	s_mov_b64 s[14:15], 0
	s_mov_b32 s7, 0x20000
	v_mov_b64_e32 v[2:3], s[18:19]
	v_mov_b64_e32 v[4:5], v[96:97]
.LBB367_3:                              ; =>This Inner Loop Header: Depth=1
	v_lshl_add_u64 v[4:5], s[12:13], 0, v[4:5]
	v_cmp_le_i64_e32 vcc, s[24:25], v[4:5]
	buffer_store_dwordx4 v[0:3], v6, s[4:7], 0 offen
	buffer_store_dwordx4 v[0:3], v6, s[4:7], 16 offen
	;; [unrolled: 1-line block ×4, first 2 shown]
	s_or_b64 s[14:15], vcc, s[14:15]
	v_add_u32_e32 v6, s3, v6
	s_andn2_b64 exec, exec, s[14:15]
	s_cbranch_execnz .LBB367_3
.LBB367_4:
	s_or_b64 exec, exec, s[10:11]
	s_mov_b64 s[10:11], 0
.LBB367_5:
	s_andn2_b64 vcc, exec, s[10:11]
	s_cbranch_vccnz .LBB367_137
; %bb.6:
	v_cmp_gt_i32_e32 vcc, s24, v96
	s_and_saveexec_b64 s[10:11], vcc
	s_cbranch_execz .LBB367_137
; %bb.7:
	s_load_dwordx2 s[10:11], s[0:1], 0x18
	s_load_dwordx2 s[14:15], s[0:1], 0x8
	s_mul_hi_i32 s9, s24, s8
	s_mul_i32 s8, s24, s8
	s_lshl_b64 s[8:9], s[8:9], 3
	s_waitcnt lgkmcnt(0)
	s_add_u32 s8, s10, s8
	s_addc_u32 s3, s11, s9
	s_lshl_b64 s[10:11], s[24:25], 2
	s_add_u32 s12, s8, s10
	s_addc_u32 s13, s3, s11
	s_and_b32 s9, s3, 0xffff
	s_mul_i32 s3, s2, s25
	s_mul_hi_u32 s16, s2, s24
	s_add_i32 s3, s16, s3
	s_mul_i32 s2, s2, s24
	s_lshl_b32 s10, s24, 2
	s_and_b32 s13, s13, 0xffff
	s_lshl_b64 s[2:3], s[2:3], 2
	s_add_u32 s16, s14, s2
	s_addc_u32 s14, s15, s3
	s_lshl_b64 s[2:3], s[24:25], 1
	s_add_u32 s20, s16, s2
	s_addc_u32 s2, s14, s3
	s_and_b32 s17, s14, 0xffff
	s_and_b32 s21, s2, 0xffff
	s_mov_b32 s7, 0x20000
	s_add_u32 s0, s0, 48
	s_mov_b32 s11, s7
	s_mov_b64 s[22:23], s[6:7]
	v_mov_b32_e32 v97, 0
	s_addc_u32 s1, s1, 0
	s_mov_b64 s[2:3], 0
	s_mov_b32 s18, s6
	s_mov_b32 s19, s7
	;; [unrolled: 1-line block ×3, first 2 shown]
	s_movk_i32 s28, 0x50
	s_movk_i32 s29, 0x60
	;; [unrolled: 1-line block ×3, first 2 shown]
	s_mov_b32 s31, 0x378e98ab
	s_mov_b32 s33, 0x3b7cd369
	;; [unrolled: 1-line block ×9, first 2 shown]
	v_mov_b32_e32 v98, 0x3ba10414
	s_brev_b32 s41, -2
	v_mov_b32_e32 v99, 0xb9c68948
	v_mov_b32_e32 v100, 0x7f800000
                                        ; implicit-def: $vgpr0
                                        ; implicit-def: $vgpr0
	;; [unrolled: 1-line block ×4, first 2 shown]
	s_branch .LBB367_9
.LBB367_8:                              ;   in Loop: Header=BB367_9 Depth=1
	s_or_b64 exec, exec, s[14:15]
	v_cvt_f32_f16_sdwa v13, v3 dst_sel:DWORD dst_unused:UNUSED_PAD src0_sel:WORD_1
	v_bfi_b32 v2, s41, v12, v2
	v_cvt_f16_f32_e32 v14, v1
	v_bfi_b32 v1, s41, v11, v10
	v_add_f32_e32 v7, v7, v13
	v_cvt_f16_f32_e32 v13, v0
	v_cvt_f32_f16_e32 v0, v3
	v_mul_f32_e32 v8, 0.5, v8
	v_add_f32_e32 v2, 1.0, v2
	v_add_f32_e32 v1, 1.0, v1
	v_add_f32_e32 v6, v6, v0
	v_mul_f32_e32 v0, 0.5, v9
	v_mul_f32_e32 v2, v8, v2
	v_mul_f32_e32 v3, v0, v1
	;;#ASMSTART
	v_pk_mul_f32 v[0:1], v[2:3], v[6:7]
	;;#ASMEND
	s_load_dword s14, s[0:1], 0xc
	v_cvt_f16_f32_e32 v31, v88
	v_cvt_f16_f32_e32 v32, v89
	;; [unrolled: 1-line block ×30, first 2 shown]
	s_waitcnt lgkmcnt(0)
	s_and_b32 s14, s14, 0xffff
	v_pack_b32_f16 v3, v37, v38
	v_pack_b32_f16 v2, v35, v36
	;; [unrolled: 1-line block ×4, first 2 shown]
	s_lshl_b32 s26, s14, 5
	buffer_store_dwordx4 v[0:3], v101, s[4:7], 0 offen
	v_lshl_add_u64 v[96:97], s[26:27], 0, v[96:97]
	v_cmp_le_i64_e32 vcc, s[24:25], v[96:97]
	v_pack_b32_f16 v3, v29, v30
	v_pack_b32_f16 v2, v27, v28
	;; [unrolled: 1-line block ×4, first 2 shown]
	buffer_store_dwordx4 v[0:3], v101, s[4:7], 16 offen
	s_or_b64 s[2:3], vcc, s[2:3]
	s_nop 0
	v_pack_b32_f16 v3, v21, v22
	v_pack_b32_f16 v2, v19, v20
	v_pack_b32_f16 v1, v17, v18
	v_pack_b32_f16 v0, v15, v16
	buffer_store_dwordx4 v[0:3], v101, s[4:7], 32 offen
	s_nop 1
	v_pack_b32_f16 v3, v6, v7
	v_pack_b32_f16 v2, v4, v5
	;; [unrolled: 1-line block ×4, first 2 shown]
	buffer_store_dwordx4 v[0:3], v101, s[4:7], 48 offen
	s_andn2_b64 exec, exec, s[2:3]
	s_cbranch_execz .LBB367_137
.LBB367_9:                              ; =>This Inner Loop Header: Depth=1
	v_lshlrev_b32_e32 v101, 1, v96
	v_lshlrev_b32_e32 v4, 2, v96
	s_mov_b32 s14, s10
	s_mov_b32 s15, s11
	buffer_load_dwordx4 v[80:83], v101, s[16:19], 0 offen
	buffer_load_dwordx4 v[56:59], v101, s[16:19], 16 offen
	;; [unrolled: 1-line block ×23, first 2 shown]
	s_nop 0
	buffer_load_dwordx4 v[4:7], v4, s[12:15], s30 offen
                                        ; implicit-def: $vgpr103
	s_waitcnt vmcnt(23)
	v_cvt_f32_f16_e32 v102, v80
	s_waitcnt vmcnt(15)
	v_add_f32_e32 v92, v92, v102
	v_mul_f32_e32 v102, 0x3f3504f3, v92
	v_cmp_nlt_f32_e64 s[14:15], |v102|, 1.0
	s_and_saveexec_b64 s[42:43], s[14:15]
	s_xor_b64 s[14:15], exec, s[42:43]
	s_cbranch_execz .LBB367_11
; %bb.10:                               ;   in Loop: Header=BB367_9 Depth=1
	v_fma_f32 v103, |v102|, s31, v99
	v_fma_f32 v103, |v102|, v103, s33
	;; [unrolled: 1-line block ×6, first 2 shown]
	v_fma_f32 v103, |v102|, v103, |v102|
	v_mul_f32_e32 v104, 0xbfb8aa3b, v103
	v_fma_f32 v105, v103, s38, -v104
	v_rndne_f32_e32 v106, v104
	v_fmac_f32_e32 v105, 0xb2a5705f, v103
	v_sub_f32_e32 v104, v104, v106
	v_add_f32_e32 v104, v104, v105
	v_cvt_i32_f32_e32 v105, v106
	v_exp_f32_e32 v104, v104
	v_cmp_nlt_f32_e32 vcc, s39, v103
	v_ldexp_f32 v104, v104, v105
	s_nop 0
	v_cndmask_b32_e32 v104, 0, v104, vcc
	v_cmp_ngt_f32_e32 vcc, s40, v103
	s_nop 1
	v_cndmask_b32_e32 v103, v100, v104, vcc
	v_sub_f32_e32 v103, 1.0, v103
.LBB367_11:                             ;   in Loop: Header=BB367_9 Depth=1
	s_andn2_saveexec_b64 s[14:15], s[14:15]
; %bb.12:                               ;   in Loop: Header=BB367_9 Depth=1
	v_mul_f32_e32 v103, v102, v102
	v_fmamk_f32 v104, v103, 0xba1345e1, v98
	v_fmaak_f32 v104, v103, v104, 0xbcdac9b8
	v_fmaak_f32 v104, v103, v104, 0x3de703be
	;; [unrolled: 1-line block ×4, first 2 shown]
	v_fma_f32 v103, |v102|, v103, |v102|
; %bb.13:                               ;   in Loop: Header=BB367_9 Depth=1
	s_or_b64 exec, exec, s[14:15]
	v_cvt_f32_f16_sdwa v80, v80 dst_sel:DWORD dst_unused:UNUSED_PAD src0_sel:WORD_1
                                        ; implicit-def: $vgpr104
	v_add_f32_e32 v80, v93, v80
	v_mul_f32_e32 v93, 0x3f3504f3, v80
	v_cmp_nlt_f32_e64 s[14:15], |v93|, 1.0
	s_and_saveexec_b64 s[42:43], s[14:15]
	s_xor_b64 s[14:15], exec, s[42:43]
	s_cbranch_execz .LBB367_15
; %bb.14:                               ;   in Loop: Header=BB367_9 Depth=1
	v_fma_f32 v104, |v93|, s31, v99
	v_fma_f32 v104, |v93|, v104, s33
	;; [unrolled: 1-line block ×6, first 2 shown]
	v_fma_f32 v104, |v93|, v104, |v93|
	v_mul_f32_e32 v105, 0xbfb8aa3b, v104
	v_fma_f32 v106, v104, s38, -v105
	v_rndne_f32_e32 v107, v105
	v_fmac_f32_e32 v106, 0xb2a5705f, v104
	v_sub_f32_e32 v105, v105, v107
	v_add_f32_e32 v105, v105, v106
	v_cvt_i32_f32_e32 v106, v107
	v_exp_f32_e32 v105, v105
	v_cmp_nlt_f32_e32 vcc, s39, v104
	v_ldexp_f32 v105, v105, v106
	s_nop 0
	v_cndmask_b32_e32 v105, 0, v105, vcc
	v_cmp_ngt_f32_e32 vcc, s40, v104
	s_nop 1
	v_cndmask_b32_e32 v104, v100, v105, vcc
	v_sub_f32_e32 v104, 1.0, v104
.LBB367_15:                             ;   in Loop: Header=BB367_9 Depth=1
	s_andn2_saveexec_b64 s[14:15], s[14:15]
; %bb.16:                               ;   in Loop: Header=BB367_9 Depth=1
	v_mul_f32_e32 v104, v93, v93
	v_fmamk_f32 v105, v104, 0xba1345e1, v98
	v_fmaak_f32 v105, v104, v105, 0xbcdac9b8
	v_fmaak_f32 v105, v104, v105, 0x3de703be
	;; [unrolled: 1-line block ×4, first 2 shown]
	v_fma_f32 v104, |v93|, v104, |v93|
; %bb.17:                               ;   in Loop: Header=BB367_9 Depth=1
	s_or_b64 exec, exec, s[14:15]
	v_bfi_b32 v102, s41, v103, v102
	v_cvt_f32_f16_sdwa v103, v72 dst_sel:DWORD dst_unused:UNUSED_PAD src0_sel:WORD_1
	v_cvt_f32_f16_e32 v72, v72
	v_mul_f32_e32 v92, 0.5, v92
	v_add_f32_e32 v102, 1.0, v102
	v_mul_f32_e32 v92, v92, v102
	v_cvt_f32_f16_e32 v102, v81
	s_waitcnt vmcnt(7)
	v_add_f32_e32 v88, v88, v72
	v_mul_f32_e32 v72, 0.5, v80
	v_bfi_b32 v80, s41, v104, v93
	v_add_f32_e32 v80, 1.0, v80
	v_mul_f32_e32 v93, v72, v80
	v_add_f32_e32 v72, v94, v102
	v_mul_f32_e32 v80, 0x3f3504f3, v72
	v_add_f32_e32 v89, v89, v103
	v_cmp_nlt_f32_e64 s[14:15], |v80|, 1.0
	;;#ASMSTART
	v_pk_mul_f32 v[88:89], v[92:93], v[88:89]
	;;#ASMEND
                                        ; implicit-def: $vgpr92
	s_and_saveexec_b64 s[42:43], s[14:15]
	s_xor_b64 s[14:15], exec, s[42:43]
	s_cbranch_execz .LBB367_19
; %bb.18:                               ;   in Loop: Header=BB367_9 Depth=1
	v_fma_f32 v92, |v80|, s31, v99
	v_fma_f32 v92, |v80|, v92, s33
	;; [unrolled: 1-line block ×6, first 2 shown]
	v_fma_f32 v92, |v80|, v92, |v80|
	v_mul_f32_e32 v93, 0xbfb8aa3b, v92
	v_fma_f32 v94, v92, s38, -v93
	v_rndne_f32_e32 v102, v93
	v_fmac_f32_e32 v94, 0xb2a5705f, v92
	v_sub_f32_e32 v93, v93, v102
	v_add_f32_e32 v93, v93, v94
	v_cvt_i32_f32_e32 v94, v102
	v_exp_f32_e32 v93, v93
	v_cmp_nlt_f32_e32 vcc, s39, v92
	v_ldexp_f32 v93, v93, v94
	s_nop 0
	v_cndmask_b32_e32 v93, 0, v93, vcc
	v_cmp_ngt_f32_e32 vcc, s40, v92
	s_nop 1
	v_cndmask_b32_e32 v92, v100, v93, vcc
	v_sub_f32_e32 v92, 1.0, v92
.LBB367_19:                             ;   in Loop: Header=BB367_9 Depth=1
	s_andn2_saveexec_b64 s[14:15], s[14:15]
; %bb.20:                               ;   in Loop: Header=BB367_9 Depth=1
	v_mul_f32_e32 v92, v80, v80
	v_fmamk_f32 v93, v92, 0xba1345e1, v98
	v_fmaak_f32 v93, v92, v93, 0xbcdac9b8
	v_fmaak_f32 v93, v92, v93, 0x3de703be
	;; [unrolled: 1-line block ×4, first 2 shown]
	v_fma_f32 v92, |v80|, v92, |v80|
; %bb.21:                               ;   in Loop: Header=BB367_9 Depth=1
	s_or_b64 exec, exec, s[14:15]
	v_cvt_f32_f16_sdwa v81, v81 dst_sel:DWORD dst_unused:UNUSED_PAD src0_sel:WORD_1
                                        ; implicit-def: $vgpr94
	v_add_f32_e32 v81, v95, v81
	v_mul_f32_e32 v93, 0x3f3504f3, v81
	v_cmp_nlt_f32_e64 s[14:15], |v93|, 1.0
	s_and_saveexec_b64 s[42:43], s[14:15]
	s_xor_b64 s[14:15], exec, s[42:43]
	s_cbranch_execz .LBB367_23
; %bb.22:                               ;   in Loop: Header=BB367_9 Depth=1
	v_fma_f32 v94, |v93|, s31, v99
	v_fma_f32 v94, |v93|, v94, s33
	;; [unrolled: 1-line block ×6, first 2 shown]
	v_fma_f32 v94, |v93|, v94, |v93|
	v_mul_f32_e32 v95, 0xbfb8aa3b, v94
	v_fma_f32 v102, v94, s38, -v95
	v_rndne_f32_e32 v103, v95
	v_fmac_f32_e32 v102, 0xb2a5705f, v94
	v_sub_f32_e32 v95, v95, v103
	v_add_f32_e32 v95, v95, v102
	v_cvt_i32_f32_e32 v102, v103
	v_exp_f32_e32 v95, v95
	v_cmp_nlt_f32_e32 vcc, s39, v94
	v_ldexp_f32 v95, v95, v102
	s_nop 0
	v_cndmask_b32_e32 v95, 0, v95, vcc
	v_cmp_ngt_f32_e32 vcc, s40, v94
	s_nop 1
	v_cndmask_b32_e32 v94, v100, v95, vcc
	v_sub_f32_e32 v94, 1.0, v94
.LBB367_23:                             ;   in Loop: Header=BB367_9 Depth=1
	s_andn2_saveexec_b64 s[14:15], s[14:15]
; %bb.24:                               ;   in Loop: Header=BB367_9 Depth=1
	v_mul_f32_e32 v94, v93, v93
	v_fmamk_f32 v95, v94, 0xba1345e1, v98
	v_fmaak_f32 v95, v94, v95, 0xbcdac9b8
	v_fmaak_f32 v95, v94, v95, 0x3de703be
	;; [unrolled: 1-line block ×4, first 2 shown]
	v_fma_f32 v94, |v93|, v94, |v93|
; %bb.25:                               ;   in Loop: Header=BB367_9 Depth=1
	s_or_b64 exec, exec, s[14:15]
	v_bfi_b32 v80, s41, v92, v80
	v_cvt_f32_f16_sdwa v92, v73 dst_sel:DWORD dst_unused:UNUSED_PAD src0_sel:WORD_1
	v_cvt_f32_f16_e32 v73, v73
	v_mul_f32_e32 v72, 0.5, v72
	v_add_f32_e32 v80, 1.0, v80
	v_mul_f32_e32 v72, v72, v80
	v_add_f32_e32 v90, v90, v73
	v_mul_f32_e32 v73, 0.5, v81
	v_cvt_f32_f16_e32 v81, v82
	v_bfi_b32 v80, s41, v94, v93
	v_add_f32_e32 v80, 1.0, v80
	v_mul_f32_e32 v73, v73, v80
	v_add_f32_e32 v80, v84, v81
	v_mul_f32_e32 v81, 0x3f3504f3, v80
	v_cmp_nlt_f32_e64 s[14:15], |v81|, 1.0
	v_add_f32_e32 v91, v91, v92
	;;#ASMSTART
	v_pk_mul_f32 v[72:73], v[72:73], v[90:91]
	;;#ASMEND
                                        ; implicit-def: $vgpr84
	s_and_saveexec_b64 s[42:43], s[14:15]
	s_xor_b64 s[14:15], exec, s[42:43]
	s_cbranch_execz .LBB367_27
; %bb.26:                               ;   in Loop: Header=BB367_9 Depth=1
	v_fma_f32 v84, |v81|, s31, v99
	v_fma_f32 v84, |v81|, v84, s33
	;; [unrolled: 1-line block ×6, first 2 shown]
	v_fma_f32 v84, |v81|, v84, |v81|
	v_mul_f32_e32 v90, 0xbfb8aa3b, v84
	v_fma_f32 v91, v84, s38, -v90
	v_rndne_f32_e32 v92, v90
	v_fmac_f32_e32 v91, 0xb2a5705f, v84
	v_sub_f32_e32 v90, v90, v92
	v_add_f32_e32 v90, v90, v91
	v_cvt_i32_f32_e32 v91, v92
	v_exp_f32_e32 v90, v90
	v_cmp_nlt_f32_e32 vcc, s39, v84
	v_ldexp_f32 v90, v90, v91
	s_nop 0
	v_cndmask_b32_e32 v90, 0, v90, vcc
	v_cmp_ngt_f32_e32 vcc, s40, v84
	s_nop 1
	v_cndmask_b32_e32 v84, v100, v90, vcc
	v_sub_f32_e32 v84, 1.0, v84
.LBB367_27:                             ;   in Loop: Header=BB367_9 Depth=1
	s_andn2_saveexec_b64 s[14:15], s[14:15]
; %bb.28:                               ;   in Loop: Header=BB367_9 Depth=1
	v_mul_f32_e32 v84, v81, v81
	v_fmamk_f32 v90, v84, 0xba1345e1, v98
	v_fmaak_f32 v90, v84, v90, 0xbcdac9b8
	v_fmaak_f32 v90, v84, v90, 0x3de703be
	;; [unrolled: 1-line block ×4, first 2 shown]
	v_fma_f32 v84, |v81|, v84, |v81|
; %bb.29:                               ;   in Loop: Header=BB367_9 Depth=1
	s_or_b64 exec, exec, s[14:15]
	v_cvt_f32_f16_sdwa v82, v82 dst_sel:DWORD dst_unused:UNUSED_PAD src0_sel:WORD_1
                                        ; implicit-def: $vgpr90
	v_add_f32_e32 v82, v85, v82
	v_mul_f32_e32 v85, 0x3f3504f3, v82
	v_cmp_nlt_f32_e64 s[14:15], |v85|, 1.0
	s_and_saveexec_b64 s[42:43], s[14:15]
	s_xor_b64 s[14:15], exec, s[42:43]
	s_cbranch_execz .LBB367_31
; %bb.30:                               ;   in Loop: Header=BB367_9 Depth=1
	v_fma_f32 v90, |v85|, s31, v99
	v_fma_f32 v90, |v85|, v90, s33
	;; [unrolled: 1-line block ×6, first 2 shown]
	v_fma_f32 v90, |v85|, v90, |v85|
	v_mul_f32_e32 v91, 0xbfb8aa3b, v90
	v_fma_f32 v92, v90, s38, -v91
	v_rndne_f32_e32 v93, v91
	v_fmac_f32_e32 v92, 0xb2a5705f, v90
	v_sub_f32_e32 v91, v91, v93
	v_add_f32_e32 v91, v91, v92
	v_cvt_i32_f32_e32 v92, v93
	v_exp_f32_e32 v91, v91
	v_cmp_nlt_f32_e32 vcc, s39, v90
	v_ldexp_f32 v91, v91, v92
	s_nop 0
	v_cndmask_b32_e32 v91, 0, v91, vcc
	v_cmp_ngt_f32_e32 vcc, s40, v90
	s_nop 1
	v_cndmask_b32_e32 v90, v100, v91, vcc
	v_sub_f32_e32 v90, 1.0, v90
.LBB367_31:                             ;   in Loop: Header=BB367_9 Depth=1
	s_andn2_saveexec_b64 s[14:15], s[14:15]
; %bb.32:                               ;   in Loop: Header=BB367_9 Depth=1
	v_mul_f32_e32 v90, v85, v85
	v_fmamk_f32 v91, v90, 0xba1345e1, v98
	v_fmaak_f32 v91, v90, v91, 0xbcdac9b8
	v_fmaak_f32 v91, v90, v91, 0x3de703be
	;; [unrolled: 1-line block ×4, first 2 shown]
	v_fma_f32 v90, |v85|, v90, |v85|
; %bb.33:                               ;   in Loop: Header=BB367_9 Depth=1
	s_or_b64 exec, exec, s[14:15]
	v_bfi_b32 v81, s41, v84, v81
	v_cvt_f32_f16_sdwa v84, v74 dst_sel:DWORD dst_unused:UNUSED_PAD src0_sel:WORD_1
	v_cvt_f32_f16_e32 v74, v74
	v_mul_f32_e32 v80, 0.5, v80
	v_add_f32_e32 v81, 1.0, v81
	v_mul_f32_e32 v80, v80, v81
	s_waitcnt vmcnt(6)
	v_add_f32_e32 v76, v76, v74
	v_mul_f32_e32 v74, 0.5, v82
	v_cvt_f32_f16_e32 v82, v83
	v_bfi_b32 v81, s41, v90, v85
	v_add_f32_e32 v81, 1.0, v81
	v_add_f32_e32 v77, v77, v84
	v_mul_f32_e32 v81, v74, v81
	v_add_f32_e32 v74, v86, v82
	;;#ASMSTART
	v_pk_mul_f32 v[76:77], v[80:81], v[76:77]
	;;#ASMEND
	v_mul_f32_e32 v80, 0x3f3504f3, v74
	v_cmp_nlt_f32_e64 s[14:15], |v80|, 1.0
                                        ; implicit-def: $vgpr81
	s_and_saveexec_b64 s[42:43], s[14:15]
	s_xor_b64 s[14:15], exec, s[42:43]
	s_cbranch_execz .LBB367_35
; %bb.34:                               ;   in Loop: Header=BB367_9 Depth=1
	v_fma_f32 v81, |v80|, s31, v99
	v_fma_f32 v81, |v80|, v81, s33
	;; [unrolled: 1-line block ×6, first 2 shown]
	v_fma_f32 v81, |v80|, v81, |v80|
	v_mul_f32_e32 v82, 0xbfb8aa3b, v81
	v_fma_f32 v84, v81, s38, -v82
	v_rndne_f32_e32 v85, v82
	v_fmac_f32_e32 v84, 0xb2a5705f, v81
	v_sub_f32_e32 v82, v82, v85
	v_add_f32_e32 v82, v82, v84
	v_cvt_i32_f32_e32 v84, v85
	v_exp_f32_e32 v82, v82
	v_cmp_nlt_f32_e32 vcc, s39, v81
	v_ldexp_f32 v82, v82, v84
	s_nop 0
	v_cndmask_b32_e32 v82, 0, v82, vcc
	v_cmp_ngt_f32_e32 vcc, s40, v81
	s_nop 1
	v_cndmask_b32_e32 v81, v100, v82, vcc
	v_sub_f32_e32 v81, 1.0, v81
.LBB367_35:                             ;   in Loop: Header=BB367_9 Depth=1
	s_andn2_saveexec_b64 s[14:15], s[14:15]
; %bb.36:                               ;   in Loop: Header=BB367_9 Depth=1
	v_mul_f32_e32 v81, v80, v80
	v_fmamk_f32 v82, v81, 0xba1345e1, v98
	v_fmaak_f32 v82, v81, v82, 0xbcdac9b8
	v_fmaak_f32 v82, v81, v82, 0x3de703be
	;; [unrolled: 1-line block ×4, first 2 shown]
	v_fma_f32 v81, |v80|, v81, |v80|
; %bb.37:                               ;   in Loop: Header=BB367_9 Depth=1
	s_or_b64 exec, exec, s[14:15]
	v_cvt_f32_f16_sdwa v82, v83 dst_sel:DWORD dst_unused:UNUSED_PAD src0_sel:WORD_1
                                        ; implicit-def: $vgpr84
	v_add_f32_e32 v82, v87, v82
	v_mul_f32_e32 v83, 0x3f3504f3, v82
	v_cmp_nlt_f32_e64 s[14:15], |v83|, 1.0
	s_and_saveexec_b64 s[42:43], s[14:15]
	s_xor_b64 s[14:15], exec, s[42:43]
	s_cbranch_execz .LBB367_39
; %bb.38:                               ;   in Loop: Header=BB367_9 Depth=1
	v_fma_f32 v84, |v83|, s31, v99
	v_fma_f32 v84, |v83|, v84, s33
	;; [unrolled: 1-line block ×6, first 2 shown]
	v_fma_f32 v84, |v83|, v84, |v83|
	v_mul_f32_e32 v85, 0xbfb8aa3b, v84
	v_fma_f32 v86, v84, s38, -v85
	v_rndne_f32_e32 v87, v85
	v_fmac_f32_e32 v86, 0xb2a5705f, v84
	v_sub_f32_e32 v85, v85, v87
	v_add_f32_e32 v85, v85, v86
	v_cvt_i32_f32_e32 v86, v87
	v_exp_f32_e32 v85, v85
	v_cmp_nlt_f32_e32 vcc, s39, v84
	v_ldexp_f32 v85, v85, v86
	s_nop 0
	v_cndmask_b32_e32 v85, 0, v85, vcc
	v_cmp_ngt_f32_e32 vcc, s40, v84
	s_nop 1
	v_cndmask_b32_e32 v84, v100, v85, vcc
	v_sub_f32_e32 v84, 1.0, v84
.LBB367_39:                             ;   in Loop: Header=BB367_9 Depth=1
	s_andn2_saveexec_b64 s[14:15], s[14:15]
; %bb.40:                               ;   in Loop: Header=BB367_9 Depth=1
	v_mul_f32_e32 v84, v83, v83
	v_fmamk_f32 v85, v84, 0xba1345e1, v98
	v_fmaak_f32 v85, v84, v85, 0xbcdac9b8
	v_fmaak_f32 v85, v84, v85, 0x3de703be
	;; [unrolled: 1-line block ×4, first 2 shown]
	v_fma_f32 v84, |v83|, v84, |v83|
; %bb.41:                               ;   in Loop: Header=BB367_9 Depth=1
	s_or_b64 exec, exec, s[14:15]
	v_bfi_b32 v80, s41, v81, v80
	v_cvt_f32_f16_sdwa v81, v75 dst_sel:DWORD dst_unused:UNUSED_PAD src0_sel:WORD_1
	v_cvt_f32_f16_e32 v75, v75
	v_mul_f32_e32 v74, 0.5, v74
	v_add_f32_e32 v80, 1.0, v80
	v_add_f32_e32 v79, v79, v81
	v_cvt_f32_f16_e32 v81, v56
	v_mul_f32_e32 v74, v74, v80
	v_bfi_b32 v80, s41, v84, v83
	v_add_f32_e32 v78, v78, v75
	v_mul_f32_e32 v75, 0.5, v82
	v_add_f32_e32 v80, 1.0, v80
	v_mul_f32_e32 v75, v75, v80
	v_add_f32_e32 v68, v68, v81
	;;#ASMSTART
	v_pk_mul_f32 v[74:75], v[74:75], v[78:79]
	;;#ASMEND
	v_mul_f32_e32 v78, 0x3f3504f3, v68
	v_cmp_nlt_f32_e64 s[14:15], |v78|, 1.0
                                        ; implicit-def: $vgpr79
	s_and_saveexec_b64 s[42:43], s[14:15]
	s_xor_b64 s[14:15], exec, s[42:43]
	s_cbranch_execz .LBB367_43
; %bb.42:                               ;   in Loop: Header=BB367_9 Depth=1
	v_fma_f32 v79, |v78|, s31, v99
	v_fma_f32 v79, |v78|, v79, s33
	;; [unrolled: 1-line block ×6, first 2 shown]
	v_fma_f32 v79, |v78|, v79, |v78|
	v_mul_f32_e32 v80, 0xbfb8aa3b, v79
	v_fma_f32 v81, v79, s38, -v80
	v_rndne_f32_e32 v82, v80
	v_fmac_f32_e32 v81, 0xb2a5705f, v79
	v_sub_f32_e32 v80, v80, v82
	v_add_f32_e32 v80, v80, v81
	v_cvt_i32_f32_e32 v81, v82
	v_exp_f32_e32 v80, v80
	v_cmp_nlt_f32_e32 vcc, s39, v79
	v_ldexp_f32 v80, v80, v81
	s_nop 0
	v_cndmask_b32_e32 v80, 0, v80, vcc
	v_cmp_ngt_f32_e32 vcc, s40, v79
	s_nop 1
	v_cndmask_b32_e32 v79, v100, v80, vcc
	v_sub_f32_e32 v79, 1.0, v79
.LBB367_43:                             ;   in Loop: Header=BB367_9 Depth=1
	s_andn2_saveexec_b64 s[14:15], s[14:15]
; %bb.44:                               ;   in Loop: Header=BB367_9 Depth=1
	v_mul_f32_e32 v79, v78, v78
	v_fmamk_f32 v80, v79, 0xba1345e1, v98
	v_fmaak_f32 v80, v79, v80, 0xbcdac9b8
	v_fmaak_f32 v80, v79, v80, 0x3de703be
	;; [unrolled: 1-line block ×4, first 2 shown]
	v_fma_f32 v79, |v78|, v79, |v78|
; %bb.45:                               ;   in Loop: Header=BB367_9 Depth=1
	s_or_b64 exec, exec, s[14:15]
	v_cvt_f32_f16_sdwa v56, v56 dst_sel:DWORD dst_unused:UNUSED_PAD src0_sel:WORD_1
                                        ; implicit-def: $vgpr80
	v_add_f32_e32 v56, v69, v56
	v_mul_f32_e32 v69, 0x3f3504f3, v56
	v_cmp_nlt_f32_e64 s[14:15], |v69|, 1.0
	s_and_saveexec_b64 s[42:43], s[14:15]
	s_xor_b64 s[14:15], exec, s[42:43]
	s_cbranch_execz .LBB367_47
; %bb.46:                               ;   in Loop: Header=BB367_9 Depth=1
	v_fma_f32 v80, |v69|, s31, v99
	v_fma_f32 v80, |v69|, v80, s33
	;; [unrolled: 1-line block ×6, first 2 shown]
	v_fma_f32 v80, |v69|, v80, |v69|
	v_mul_f32_e32 v81, 0xbfb8aa3b, v80
	v_fma_f32 v82, v80, s38, -v81
	v_rndne_f32_e32 v83, v81
	v_fmac_f32_e32 v82, 0xb2a5705f, v80
	v_sub_f32_e32 v81, v81, v83
	v_add_f32_e32 v81, v81, v82
	v_cvt_i32_f32_e32 v82, v83
	v_exp_f32_e32 v81, v81
	v_cmp_nlt_f32_e32 vcc, s39, v80
	v_ldexp_f32 v81, v81, v82
	s_nop 0
	v_cndmask_b32_e32 v81, 0, v81, vcc
	v_cmp_ngt_f32_e32 vcc, s40, v80
	s_nop 1
	v_cndmask_b32_e32 v80, v100, v81, vcc
	v_sub_f32_e32 v80, 1.0, v80
.LBB367_47:                             ;   in Loop: Header=BB367_9 Depth=1
	s_andn2_saveexec_b64 s[14:15], s[14:15]
; %bb.48:                               ;   in Loop: Header=BB367_9 Depth=1
	v_mul_f32_e32 v80, v69, v69
	v_fmamk_f32 v81, v80, 0xba1345e1, v98
	v_fmaak_f32 v81, v80, v81, 0xbcdac9b8
	v_fmaak_f32 v81, v80, v81, 0x3de703be
	;; [unrolled: 1-line block ×4, first 2 shown]
	v_fma_f32 v80, |v69|, v80, |v69|
; %bb.49:                               ;   in Loop: Header=BB367_9 Depth=1
	s_or_b64 exec, exec, s[14:15]
	v_bfi_b32 v78, s41, v79, v78
	v_cvt_f32_f16_sdwa v79, v48 dst_sel:DWORD dst_unused:UNUSED_PAD src0_sel:WORD_1
	v_cvt_f32_f16_e32 v48, v48
	v_mul_f32_e32 v68, 0.5, v68
	v_add_f32_e32 v78, 1.0, v78
	v_mul_f32_e32 v68, v68, v78
	v_cvt_f32_f16_e32 v78, v57
	s_waitcnt vmcnt(5)
	v_add_f32_e32 v64, v64, v48
	v_mul_f32_e32 v48, 0.5, v56
	v_bfi_b32 v56, s41, v80, v69
	v_add_f32_e32 v56, 1.0, v56
	v_mul_f32_e32 v69, v48, v56
	v_add_f32_e32 v48, v70, v78
	v_mul_f32_e32 v56, 0x3f3504f3, v48
	v_add_f32_e32 v65, v65, v79
	v_cmp_nlt_f32_e64 s[14:15], |v56|, 1.0
	;;#ASMSTART
	v_pk_mul_f32 v[64:65], v[68:69], v[64:65]
	;;#ASMEND
                                        ; implicit-def: $vgpr68
	s_and_saveexec_b64 s[42:43], s[14:15]
	s_xor_b64 s[14:15], exec, s[42:43]
	s_cbranch_execz .LBB367_51
; %bb.50:                               ;   in Loop: Header=BB367_9 Depth=1
	v_fma_f32 v68, |v56|, s31, v99
	v_fma_f32 v68, |v56|, v68, s33
	v_fma_f32 v68, |v56|, v68, s34
	v_fma_f32 v68, |v56|, v68, s35
	v_fma_f32 v68, |v56|, v68, s36
	v_fma_f32 v68, |v56|, v68, s37
	v_fma_f32 v68, |v56|, v68, |v56|
	v_mul_f32_e32 v69, 0xbfb8aa3b, v68
	v_fma_f32 v70, v68, s38, -v69
	v_rndne_f32_e32 v78, v69
	v_fmac_f32_e32 v70, 0xb2a5705f, v68
	v_sub_f32_e32 v69, v69, v78
	v_add_f32_e32 v69, v69, v70
	v_cvt_i32_f32_e32 v70, v78
	v_exp_f32_e32 v69, v69
	v_cmp_nlt_f32_e32 vcc, s39, v68
	v_ldexp_f32 v69, v69, v70
	s_nop 0
	v_cndmask_b32_e32 v69, 0, v69, vcc
	v_cmp_ngt_f32_e32 vcc, s40, v68
	s_nop 1
	v_cndmask_b32_e32 v68, v100, v69, vcc
	v_sub_f32_e32 v68, 1.0, v68
.LBB367_51:                             ;   in Loop: Header=BB367_9 Depth=1
	s_andn2_saveexec_b64 s[14:15], s[14:15]
; %bb.52:                               ;   in Loop: Header=BB367_9 Depth=1
	v_mul_f32_e32 v68, v56, v56
	v_fmamk_f32 v69, v68, 0xba1345e1, v98
	v_fmaak_f32 v69, v68, v69, 0xbcdac9b8
	v_fmaak_f32 v69, v68, v69, 0x3de703be
	;; [unrolled: 1-line block ×4, first 2 shown]
	v_fma_f32 v68, |v56|, v68, |v56|
; %bb.53:                               ;   in Loop: Header=BB367_9 Depth=1
	s_or_b64 exec, exec, s[14:15]
	v_cvt_f32_f16_sdwa v57, v57 dst_sel:DWORD dst_unused:UNUSED_PAD src0_sel:WORD_1
                                        ; implicit-def: $vgpr70
	v_add_f32_e32 v57, v71, v57
	v_mul_f32_e32 v69, 0x3f3504f3, v57
	v_cmp_nlt_f32_e64 s[14:15], |v69|, 1.0
	s_and_saveexec_b64 s[42:43], s[14:15]
	s_xor_b64 s[14:15], exec, s[42:43]
	s_cbranch_execz .LBB367_55
; %bb.54:                               ;   in Loop: Header=BB367_9 Depth=1
	v_fma_f32 v70, |v69|, s31, v99
	v_fma_f32 v70, |v69|, v70, s33
	;; [unrolled: 1-line block ×6, first 2 shown]
	v_fma_f32 v70, |v69|, v70, |v69|
	v_mul_f32_e32 v71, 0xbfb8aa3b, v70
	v_fma_f32 v78, v70, s38, -v71
	v_rndne_f32_e32 v79, v71
	v_fmac_f32_e32 v78, 0xb2a5705f, v70
	v_sub_f32_e32 v71, v71, v79
	v_add_f32_e32 v71, v71, v78
	v_cvt_i32_f32_e32 v78, v79
	v_exp_f32_e32 v71, v71
	v_cmp_nlt_f32_e32 vcc, s39, v70
	v_ldexp_f32 v71, v71, v78
	s_nop 0
	v_cndmask_b32_e32 v71, 0, v71, vcc
	v_cmp_ngt_f32_e32 vcc, s40, v70
	s_nop 1
	v_cndmask_b32_e32 v70, v100, v71, vcc
	v_sub_f32_e32 v70, 1.0, v70
.LBB367_55:                             ;   in Loop: Header=BB367_9 Depth=1
	s_andn2_saveexec_b64 s[14:15], s[14:15]
; %bb.56:                               ;   in Loop: Header=BB367_9 Depth=1
	v_mul_f32_e32 v70, v69, v69
	v_fmamk_f32 v71, v70, 0xba1345e1, v98
	v_fmaak_f32 v71, v70, v71, 0xbcdac9b8
	v_fmaak_f32 v71, v70, v71, 0x3de703be
	;; [unrolled: 1-line block ×4, first 2 shown]
	v_fma_f32 v70, |v69|, v70, |v69|
; %bb.57:                               ;   in Loop: Header=BB367_9 Depth=1
	s_or_b64 exec, exec, s[14:15]
	v_bfi_b32 v56, s41, v68, v56
	v_cvt_f32_f16_sdwa v68, v49 dst_sel:DWORD dst_unused:UNUSED_PAD src0_sel:WORD_1
	v_cvt_f32_f16_e32 v49, v49
	v_mul_f32_e32 v48, 0.5, v48
	v_add_f32_e32 v56, 1.0, v56
	v_mul_f32_e32 v48, v48, v56
	v_add_f32_e32 v66, v66, v49
	v_mul_f32_e32 v49, 0.5, v57
	v_cvt_f32_f16_e32 v57, v58
	v_bfi_b32 v56, s41, v70, v69
	v_add_f32_e32 v56, 1.0, v56
	v_mul_f32_e32 v49, v49, v56
	v_add_f32_e32 v56, v60, v57
	v_mul_f32_e32 v57, 0x3f3504f3, v56
	v_cmp_nlt_f32_e64 s[14:15], |v57|, 1.0
	v_add_f32_e32 v67, v67, v68
	;;#ASMSTART
	v_pk_mul_f32 v[48:49], v[48:49], v[66:67]
	;;#ASMEND
                                        ; implicit-def: $vgpr60
	s_and_saveexec_b64 s[42:43], s[14:15]
	s_xor_b64 s[14:15], exec, s[42:43]
	s_cbranch_execz .LBB367_59
; %bb.58:                               ;   in Loop: Header=BB367_9 Depth=1
	v_fma_f32 v60, |v57|, s31, v99
	v_fma_f32 v60, |v57|, v60, s33
	;; [unrolled: 1-line block ×6, first 2 shown]
	v_fma_f32 v60, |v57|, v60, |v57|
	v_mul_f32_e32 v66, 0xbfb8aa3b, v60
	v_fma_f32 v67, v60, s38, -v66
	v_rndne_f32_e32 v68, v66
	v_fmac_f32_e32 v67, 0xb2a5705f, v60
	v_sub_f32_e32 v66, v66, v68
	v_add_f32_e32 v66, v66, v67
	v_cvt_i32_f32_e32 v67, v68
	v_exp_f32_e32 v66, v66
	v_cmp_nlt_f32_e32 vcc, s39, v60
	v_ldexp_f32 v66, v66, v67
	s_nop 0
	v_cndmask_b32_e32 v66, 0, v66, vcc
	v_cmp_ngt_f32_e32 vcc, s40, v60
	s_nop 1
	v_cndmask_b32_e32 v60, v100, v66, vcc
	v_sub_f32_e32 v60, 1.0, v60
.LBB367_59:                             ;   in Loop: Header=BB367_9 Depth=1
	s_andn2_saveexec_b64 s[14:15], s[14:15]
; %bb.60:                               ;   in Loop: Header=BB367_9 Depth=1
	v_mul_f32_e32 v60, v57, v57
	v_fmamk_f32 v66, v60, 0xba1345e1, v98
	v_fmaak_f32 v66, v60, v66, 0xbcdac9b8
	v_fmaak_f32 v66, v60, v66, 0x3de703be
	;; [unrolled: 1-line block ×4, first 2 shown]
	v_fma_f32 v60, |v57|, v60, |v57|
; %bb.61:                               ;   in Loop: Header=BB367_9 Depth=1
	s_or_b64 exec, exec, s[14:15]
	v_cvt_f32_f16_sdwa v58, v58 dst_sel:DWORD dst_unused:UNUSED_PAD src0_sel:WORD_1
                                        ; implicit-def: $vgpr66
	v_add_f32_e32 v58, v61, v58
	v_mul_f32_e32 v61, 0x3f3504f3, v58
	v_cmp_nlt_f32_e64 s[14:15], |v61|, 1.0
	s_and_saveexec_b64 s[42:43], s[14:15]
	s_xor_b64 s[14:15], exec, s[42:43]
	s_cbranch_execz .LBB367_63
; %bb.62:                               ;   in Loop: Header=BB367_9 Depth=1
	v_fma_f32 v66, |v61|, s31, v99
	v_fma_f32 v66, |v61|, v66, s33
	;; [unrolled: 1-line block ×6, first 2 shown]
	v_fma_f32 v66, |v61|, v66, |v61|
	v_mul_f32_e32 v67, 0xbfb8aa3b, v66
	v_fma_f32 v68, v66, s38, -v67
	v_rndne_f32_e32 v69, v67
	v_fmac_f32_e32 v68, 0xb2a5705f, v66
	v_sub_f32_e32 v67, v67, v69
	v_add_f32_e32 v67, v67, v68
	v_cvt_i32_f32_e32 v68, v69
	v_exp_f32_e32 v67, v67
	v_cmp_nlt_f32_e32 vcc, s39, v66
	v_ldexp_f32 v67, v67, v68
	s_nop 0
	v_cndmask_b32_e32 v67, 0, v67, vcc
	v_cmp_ngt_f32_e32 vcc, s40, v66
	s_nop 1
	v_cndmask_b32_e32 v66, v100, v67, vcc
	v_sub_f32_e32 v66, 1.0, v66
.LBB367_63:                             ;   in Loop: Header=BB367_9 Depth=1
	s_andn2_saveexec_b64 s[14:15], s[14:15]
; %bb.64:                               ;   in Loop: Header=BB367_9 Depth=1
	v_mul_f32_e32 v66, v61, v61
	v_fmamk_f32 v67, v66, 0xba1345e1, v98
	v_fmaak_f32 v67, v66, v67, 0xbcdac9b8
	v_fmaak_f32 v67, v66, v67, 0x3de703be
	;; [unrolled: 1-line block ×4, first 2 shown]
	v_fma_f32 v66, |v61|, v66, |v61|
; %bb.65:                               ;   in Loop: Header=BB367_9 Depth=1
	s_or_b64 exec, exec, s[14:15]
	v_bfi_b32 v57, s41, v60, v57
	v_cvt_f32_f16_sdwa v60, v50 dst_sel:DWORD dst_unused:UNUSED_PAD src0_sel:WORD_1
	v_cvt_f32_f16_e32 v50, v50
	v_mul_f32_e32 v56, 0.5, v56
	v_add_f32_e32 v57, 1.0, v57
	v_mul_f32_e32 v56, v56, v57
	s_waitcnt vmcnt(4)
	v_add_f32_e32 v52, v52, v50
	v_mul_f32_e32 v50, 0.5, v58
	v_cvt_f32_f16_e32 v58, v59
	v_bfi_b32 v57, s41, v66, v61
	v_add_f32_e32 v57, 1.0, v57
	v_add_f32_e32 v53, v53, v60
	v_mul_f32_e32 v57, v50, v57
	v_add_f32_e32 v50, v62, v58
	;;#ASMSTART
	v_pk_mul_f32 v[52:53], v[56:57], v[52:53]
	;;#ASMEND
	v_mul_f32_e32 v56, 0x3f3504f3, v50
	v_cmp_nlt_f32_e64 s[14:15], |v56|, 1.0
                                        ; implicit-def: $vgpr57
	s_and_saveexec_b64 s[42:43], s[14:15]
	s_xor_b64 s[14:15], exec, s[42:43]
	s_cbranch_execz .LBB367_67
; %bb.66:                               ;   in Loop: Header=BB367_9 Depth=1
	v_fma_f32 v57, |v56|, s31, v99
	v_fma_f32 v57, |v56|, v57, s33
	;; [unrolled: 1-line block ×6, first 2 shown]
	v_fma_f32 v57, |v56|, v57, |v56|
	v_mul_f32_e32 v58, 0xbfb8aa3b, v57
	v_fma_f32 v60, v57, s38, -v58
	v_rndne_f32_e32 v61, v58
	v_fmac_f32_e32 v60, 0xb2a5705f, v57
	v_sub_f32_e32 v58, v58, v61
	v_add_f32_e32 v58, v58, v60
	v_cvt_i32_f32_e32 v60, v61
	v_exp_f32_e32 v58, v58
	v_cmp_nlt_f32_e32 vcc, s39, v57
	v_ldexp_f32 v58, v58, v60
	s_nop 0
	v_cndmask_b32_e32 v58, 0, v58, vcc
	v_cmp_ngt_f32_e32 vcc, s40, v57
	s_nop 1
	v_cndmask_b32_e32 v57, v100, v58, vcc
	v_sub_f32_e32 v57, 1.0, v57
.LBB367_67:                             ;   in Loop: Header=BB367_9 Depth=1
	s_andn2_saveexec_b64 s[14:15], s[14:15]
; %bb.68:                               ;   in Loop: Header=BB367_9 Depth=1
	v_mul_f32_e32 v57, v56, v56
	v_fmamk_f32 v58, v57, 0xba1345e1, v98
	v_fmaak_f32 v58, v57, v58, 0xbcdac9b8
	v_fmaak_f32 v58, v57, v58, 0x3de703be
	;; [unrolled: 1-line block ×4, first 2 shown]
	v_fma_f32 v57, |v56|, v57, |v56|
; %bb.69:                               ;   in Loop: Header=BB367_9 Depth=1
	s_or_b64 exec, exec, s[14:15]
	v_cvt_f32_f16_sdwa v58, v59 dst_sel:DWORD dst_unused:UNUSED_PAD src0_sel:WORD_1
                                        ; implicit-def: $vgpr60
	v_add_f32_e32 v58, v63, v58
	v_mul_f32_e32 v59, 0x3f3504f3, v58
	v_cmp_nlt_f32_e64 s[14:15], |v59|, 1.0
	s_and_saveexec_b64 s[42:43], s[14:15]
	s_xor_b64 s[14:15], exec, s[42:43]
	s_cbranch_execz .LBB367_71
; %bb.70:                               ;   in Loop: Header=BB367_9 Depth=1
	v_fma_f32 v60, |v59|, s31, v99
	v_fma_f32 v60, |v59|, v60, s33
	;; [unrolled: 1-line block ×6, first 2 shown]
	v_fma_f32 v60, |v59|, v60, |v59|
	v_mul_f32_e32 v61, 0xbfb8aa3b, v60
	v_fma_f32 v62, v60, s38, -v61
	v_rndne_f32_e32 v63, v61
	v_fmac_f32_e32 v62, 0xb2a5705f, v60
	v_sub_f32_e32 v61, v61, v63
	v_add_f32_e32 v61, v61, v62
	v_cvt_i32_f32_e32 v62, v63
	v_exp_f32_e32 v61, v61
	v_cmp_nlt_f32_e32 vcc, s39, v60
	v_ldexp_f32 v61, v61, v62
	s_nop 0
	v_cndmask_b32_e32 v61, 0, v61, vcc
	v_cmp_ngt_f32_e32 vcc, s40, v60
	s_nop 1
	v_cndmask_b32_e32 v60, v100, v61, vcc
	v_sub_f32_e32 v60, 1.0, v60
.LBB367_71:                             ;   in Loop: Header=BB367_9 Depth=1
	s_andn2_saveexec_b64 s[14:15], s[14:15]
; %bb.72:                               ;   in Loop: Header=BB367_9 Depth=1
	v_mul_f32_e32 v60, v59, v59
	v_fmamk_f32 v61, v60, 0xba1345e1, v98
	v_fmaak_f32 v61, v60, v61, 0xbcdac9b8
	v_fmaak_f32 v61, v60, v61, 0x3de703be
	v_fmaak_f32 v61, v60, v61, 0xbec09330
	v_fmaak_f32 v60, v60, v61, 0x3e0375d0
	v_fma_f32 v60, |v59|, v60, |v59|
; %bb.73:                               ;   in Loop: Header=BB367_9 Depth=1
	s_or_b64 exec, exec, s[14:15]
	v_bfi_b32 v56, s41, v57, v56
	v_cvt_f32_f16_sdwa v57, v51 dst_sel:DWORD dst_unused:UNUSED_PAD src0_sel:WORD_1
	v_cvt_f32_f16_e32 v51, v51
	v_mul_f32_e32 v50, 0.5, v50
	v_add_f32_e32 v56, 1.0, v56
	v_add_f32_e32 v55, v55, v57
	v_cvt_f32_f16_e32 v57, v32
	v_mul_f32_e32 v50, v50, v56
	v_bfi_b32 v56, s41, v60, v59
	v_add_f32_e32 v54, v54, v51
	v_mul_f32_e32 v51, 0.5, v58
	v_add_f32_e32 v56, 1.0, v56
	v_mul_f32_e32 v51, v51, v56
	v_add_f32_e32 v44, v44, v57
	;;#ASMSTART
	v_pk_mul_f32 v[50:51], v[50:51], v[54:55]
	;;#ASMEND
	v_mul_f32_e32 v54, 0x3f3504f3, v44
	v_cmp_nlt_f32_e64 s[14:15], |v54|, 1.0
                                        ; implicit-def: $vgpr55
	s_and_saveexec_b64 s[42:43], s[14:15]
	s_xor_b64 s[14:15], exec, s[42:43]
	s_cbranch_execz .LBB367_75
; %bb.74:                               ;   in Loop: Header=BB367_9 Depth=1
	v_fma_f32 v55, |v54|, s31, v99
	v_fma_f32 v55, |v54|, v55, s33
	;; [unrolled: 1-line block ×6, first 2 shown]
	v_fma_f32 v55, |v54|, v55, |v54|
	v_mul_f32_e32 v56, 0xbfb8aa3b, v55
	v_fma_f32 v57, v55, s38, -v56
	v_rndne_f32_e32 v58, v56
	v_fmac_f32_e32 v57, 0xb2a5705f, v55
	v_sub_f32_e32 v56, v56, v58
	v_add_f32_e32 v56, v56, v57
	v_cvt_i32_f32_e32 v57, v58
	v_exp_f32_e32 v56, v56
	v_cmp_nlt_f32_e32 vcc, s39, v55
	v_ldexp_f32 v56, v56, v57
	s_nop 0
	v_cndmask_b32_e32 v56, 0, v56, vcc
	v_cmp_ngt_f32_e32 vcc, s40, v55
	s_nop 1
	v_cndmask_b32_e32 v55, v100, v56, vcc
	v_sub_f32_e32 v55, 1.0, v55
.LBB367_75:                             ;   in Loop: Header=BB367_9 Depth=1
	s_andn2_saveexec_b64 s[14:15], s[14:15]
; %bb.76:                               ;   in Loop: Header=BB367_9 Depth=1
	v_mul_f32_e32 v55, v54, v54
	v_fmamk_f32 v56, v55, 0xba1345e1, v98
	v_fmaak_f32 v56, v55, v56, 0xbcdac9b8
	v_fmaak_f32 v56, v55, v56, 0x3de703be
	;; [unrolled: 1-line block ×4, first 2 shown]
	v_fma_f32 v55, |v54|, v55, |v54|
; %bb.77:                               ;   in Loop: Header=BB367_9 Depth=1
	s_or_b64 exec, exec, s[14:15]
	v_cvt_f32_f16_sdwa v32, v32 dst_sel:DWORD dst_unused:UNUSED_PAD src0_sel:WORD_1
                                        ; implicit-def: $vgpr56
	v_add_f32_e32 v32, v45, v32
	v_mul_f32_e32 v45, 0x3f3504f3, v32
	v_cmp_nlt_f32_e64 s[14:15], |v45|, 1.0
	s_and_saveexec_b64 s[42:43], s[14:15]
	s_xor_b64 s[14:15], exec, s[42:43]
	s_cbranch_execz .LBB367_79
; %bb.78:                               ;   in Loop: Header=BB367_9 Depth=1
	v_fma_f32 v56, |v45|, s31, v99
	v_fma_f32 v56, |v45|, v56, s33
	;; [unrolled: 1-line block ×6, first 2 shown]
	v_fma_f32 v56, |v45|, v56, |v45|
	v_mul_f32_e32 v57, 0xbfb8aa3b, v56
	v_fma_f32 v58, v56, s38, -v57
	v_rndne_f32_e32 v59, v57
	v_fmac_f32_e32 v58, 0xb2a5705f, v56
	v_sub_f32_e32 v57, v57, v59
	v_add_f32_e32 v57, v57, v58
	v_cvt_i32_f32_e32 v58, v59
	v_exp_f32_e32 v57, v57
	v_cmp_nlt_f32_e32 vcc, s39, v56
	v_ldexp_f32 v57, v57, v58
	s_nop 0
	v_cndmask_b32_e32 v57, 0, v57, vcc
	v_cmp_ngt_f32_e32 vcc, s40, v56
	s_nop 1
	v_cndmask_b32_e32 v56, v100, v57, vcc
	v_sub_f32_e32 v56, 1.0, v56
.LBB367_79:                             ;   in Loop: Header=BB367_9 Depth=1
	s_andn2_saveexec_b64 s[14:15], s[14:15]
; %bb.80:                               ;   in Loop: Header=BB367_9 Depth=1
	v_mul_f32_e32 v56, v45, v45
	v_fmamk_f32 v57, v56, 0xba1345e1, v98
	v_fmaak_f32 v57, v56, v57, 0xbcdac9b8
	v_fmaak_f32 v57, v56, v57, 0x3de703be
	v_fmaak_f32 v57, v56, v57, 0xbec09330
	v_fmaak_f32 v56, v56, v57, 0x3e0375d0
	v_fma_f32 v56, |v45|, v56, |v45|
; %bb.81:                               ;   in Loop: Header=BB367_9 Depth=1
	s_or_b64 exec, exec, s[14:15]
	v_bfi_b32 v54, s41, v55, v54
	v_cvt_f32_f16_sdwa v55, v24 dst_sel:DWORD dst_unused:UNUSED_PAD src0_sel:WORD_1
	v_cvt_f32_f16_e32 v24, v24
	v_mul_f32_e32 v44, 0.5, v44
	v_add_f32_e32 v54, 1.0, v54
	v_mul_f32_e32 v44, v44, v54
	v_cvt_f32_f16_e32 v54, v33
	s_waitcnt vmcnt(3)
	v_add_f32_e32 v40, v40, v24
	v_mul_f32_e32 v24, 0.5, v32
	v_bfi_b32 v32, s41, v56, v45
	v_add_f32_e32 v32, 1.0, v32
	v_mul_f32_e32 v45, v24, v32
	v_add_f32_e32 v24, v46, v54
	v_mul_f32_e32 v32, 0x3f3504f3, v24
	v_add_f32_e32 v41, v41, v55
	v_cmp_nlt_f32_e64 s[14:15], |v32|, 1.0
	;;#ASMSTART
	v_pk_mul_f32 v[40:41], v[44:45], v[40:41]
	;;#ASMEND
                                        ; implicit-def: $vgpr44
	s_and_saveexec_b64 s[42:43], s[14:15]
	s_xor_b64 s[14:15], exec, s[42:43]
	s_cbranch_execz .LBB367_83
; %bb.82:                               ;   in Loop: Header=BB367_9 Depth=1
	v_fma_f32 v44, |v32|, s31, v99
	v_fma_f32 v44, |v32|, v44, s33
	;; [unrolled: 1-line block ×6, first 2 shown]
	v_fma_f32 v44, |v32|, v44, |v32|
	v_mul_f32_e32 v45, 0xbfb8aa3b, v44
	v_fma_f32 v46, v44, s38, -v45
	v_rndne_f32_e32 v54, v45
	v_fmac_f32_e32 v46, 0xb2a5705f, v44
	v_sub_f32_e32 v45, v45, v54
	v_add_f32_e32 v45, v45, v46
	v_cvt_i32_f32_e32 v46, v54
	v_exp_f32_e32 v45, v45
	v_cmp_nlt_f32_e32 vcc, s39, v44
	v_ldexp_f32 v45, v45, v46
	s_nop 0
	v_cndmask_b32_e32 v45, 0, v45, vcc
	v_cmp_ngt_f32_e32 vcc, s40, v44
	s_nop 1
	v_cndmask_b32_e32 v44, v100, v45, vcc
	v_sub_f32_e32 v44, 1.0, v44
.LBB367_83:                             ;   in Loop: Header=BB367_9 Depth=1
	s_andn2_saveexec_b64 s[14:15], s[14:15]
; %bb.84:                               ;   in Loop: Header=BB367_9 Depth=1
	v_mul_f32_e32 v44, v32, v32
	v_fmamk_f32 v45, v44, 0xba1345e1, v98
	v_fmaak_f32 v45, v44, v45, 0xbcdac9b8
	v_fmaak_f32 v45, v44, v45, 0x3de703be
	v_fmaak_f32 v45, v44, v45, 0xbec09330
	v_fmaak_f32 v44, v44, v45, 0x3e0375d0
	v_fma_f32 v44, |v32|, v44, |v32|
; %bb.85:                               ;   in Loop: Header=BB367_9 Depth=1
	s_or_b64 exec, exec, s[14:15]
	v_cvt_f32_f16_sdwa v33, v33 dst_sel:DWORD dst_unused:UNUSED_PAD src0_sel:WORD_1
                                        ; implicit-def: $vgpr46
	v_add_f32_e32 v33, v47, v33
	v_mul_f32_e32 v45, 0x3f3504f3, v33
	v_cmp_nlt_f32_e64 s[14:15], |v45|, 1.0
	s_and_saveexec_b64 s[42:43], s[14:15]
	s_xor_b64 s[14:15], exec, s[42:43]
	s_cbranch_execz .LBB367_87
; %bb.86:                               ;   in Loop: Header=BB367_9 Depth=1
	v_fma_f32 v46, |v45|, s31, v99
	v_fma_f32 v46, |v45|, v46, s33
	;; [unrolled: 1-line block ×6, first 2 shown]
	v_fma_f32 v46, |v45|, v46, |v45|
	v_mul_f32_e32 v47, 0xbfb8aa3b, v46
	v_fma_f32 v54, v46, s38, -v47
	v_rndne_f32_e32 v55, v47
	v_fmac_f32_e32 v54, 0xb2a5705f, v46
	v_sub_f32_e32 v47, v47, v55
	v_add_f32_e32 v47, v47, v54
	v_cvt_i32_f32_e32 v54, v55
	v_exp_f32_e32 v47, v47
	v_cmp_nlt_f32_e32 vcc, s39, v46
	v_ldexp_f32 v47, v47, v54
	s_nop 0
	v_cndmask_b32_e32 v47, 0, v47, vcc
	v_cmp_ngt_f32_e32 vcc, s40, v46
	s_nop 1
	v_cndmask_b32_e32 v46, v100, v47, vcc
	v_sub_f32_e32 v46, 1.0, v46
.LBB367_87:                             ;   in Loop: Header=BB367_9 Depth=1
	s_andn2_saveexec_b64 s[14:15], s[14:15]
; %bb.88:                               ;   in Loop: Header=BB367_9 Depth=1
	v_mul_f32_e32 v46, v45, v45
	v_fmamk_f32 v47, v46, 0xba1345e1, v98
	v_fmaak_f32 v47, v46, v47, 0xbcdac9b8
	v_fmaak_f32 v47, v46, v47, 0x3de703be
	;; [unrolled: 1-line block ×4, first 2 shown]
	v_fma_f32 v46, |v45|, v46, |v45|
; %bb.89:                               ;   in Loop: Header=BB367_9 Depth=1
	s_or_b64 exec, exec, s[14:15]
	v_bfi_b32 v32, s41, v44, v32
	v_cvt_f32_f16_sdwa v44, v25 dst_sel:DWORD dst_unused:UNUSED_PAD src0_sel:WORD_1
	v_cvt_f32_f16_e32 v25, v25
	v_mul_f32_e32 v24, 0.5, v24
	v_add_f32_e32 v32, 1.0, v32
	v_mul_f32_e32 v24, v24, v32
	v_add_f32_e32 v42, v42, v25
	v_mul_f32_e32 v25, 0.5, v33
	v_cvt_f32_f16_e32 v33, v34
	v_bfi_b32 v32, s41, v46, v45
	v_add_f32_e32 v32, 1.0, v32
	v_mul_f32_e32 v25, v25, v32
	v_add_f32_e32 v32, v36, v33
	v_mul_f32_e32 v33, 0x3f3504f3, v32
	v_cmp_nlt_f32_e64 s[14:15], |v33|, 1.0
	v_add_f32_e32 v43, v43, v44
	;;#ASMSTART
	v_pk_mul_f32 v[24:25], v[24:25], v[42:43]
	;;#ASMEND
                                        ; implicit-def: $vgpr36
	s_and_saveexec_b64 s[42:43], s[14:15]
	s_xor_b64 s[14:15], exec, s[42:43]
	s_cbranch_execz .LBB367_91
; %bb.90:                               ;   in Loop: Header=BB367_9 Depth=1
	v_fma_f32 v36, |v33|, s31, v99
	v_fma_f32 v36, |v33|, v36, s33
	;; [unrolled: 1-line block ×6, first 2 shown]
	v_fma_f32 v36, |v33|, v36, |v33|
	v_mul_f32_e32 v42, 0xbfb8aa3b, v36
	v_fma_f32 v43, v36, s38, -v42
	v_rndne_f32_e32 v44, v42
	v_fmac_f32_e32 v43, 0xb2a5705f, v36
	v_sub_f32_e32 v42, v42, v44
	v_add_f32_e32 v42, v42, v43
	v_cvt_i32_f32_e32 v43, v44
	v_exp_f32_e32 v42, v42
	v_cmp_nlt_f32_e32 vcc, s39, v36
	v_ldexp_f32 v42, v42, v43
	s_nop 0
	v_cndmask_b32_e32 v42, 0, v42, vcc
	v_cmp_ngt_f32_e32 vcc, s40, v36
	s_nop 1
	v_cndmask_b32_e32 v36, v100, v42, vcc
	v_sub_f32_e32 v36, 1.0, v36
.LBB367_91:                             ;   in Loop: Header=BB367_9 Depth=1
	s_andn2_saveexec_b64 s[14:15], s[14:15]
; %bb.92:                               ;   in Loop: Header=BB367_9 Depth=1
	v_mul_f32_e32 v36, v33, v33
	v_fmamk_f32 v42, v36, 0xba1345e1, v98
	v_fmaak_f32 v42, v36, v42, 0xbcdac9b8
	v_fmaak_f32 v42, v36, v42, 0x3de703be
	;; [unrolled: 1-line block ×4, first 2 shown]
	v_fma_f32 v36, |v33|, v36, |v33|
; %bb.93:                               ;   in Loop: Header=BB367_9 Depth=1
	s_or_b64 exec, exec, s[14:15]
	v_cvt_f32_f16_sdwa v34, v34 dst_sel:DWORD dst_unused:UNUSED_PAD src0_sel:WORD_1
                                        ; implicit-def: $vgpr42
	v_add_f32_e32 v34, v37, v34
	v_mul_f32_e32 v37, 0x3f3504f3, v34
	v_cmp_nlt_f32_e64 s[14:15], |v37|, 1.0
	s_and_saveexec_b64 s[42:43], s[14:15]
	s_xor_b64 s[14:15], exec, s[42:43]
	s_cbranch_execz .LBB367_95
; %bb.94:                               ;   in Loop: Header=BB367_9 Depth=1
	v_fma_f32 v42, |v37|, s31, v99
	v_fma_f32 v42, |v37|, v42, s33
	;; [unrolled: 1-line block ×6, first 2 shown]
	v_fma_f32 v42, |v37|, v42, |v37|
	v_mul_f32_e32 v43, 0xbfb8aa3b, v42
	v_fma_f32 v44, v42, s38, -v43
	v_rndne_f32_e32 v45, v43
	v_fmac_f32_e32 v44, 0xb2a5705f, v42
	v_sub_f32_e32 v43, v43, v45
	v_add_f32_e32 v43, v43, v44
	v_cvt_i32_f32_e32 v44, v45
	v_exp_f32_e32 v43, v43
	v_cmp_nlt_f32_e32 vcc, s39, v42
	v_ldexp_f32 v43, v43, v44
	s_nop 0
	v_cndmask_b32_e32 v43, 0, v43, vcc
	v_cmp_ngt_f32_e32 vcc, s40, v42
	s_nop 1
	v_cndmask_b32_e32 v42, v100, v43, vcc
	v_sub_f32_e32 v42, 1.0, v42
.LBB367_95:                             ;   in Loop: Header=BB367_9 Depth=1
	s_andn2_saveexec_b64 s[14:15], s[14:15]
; %bb.96:                               ;   in Loop: Header=BB367_9 Depth=1
	v_mul_f32_e32 v42, v37, v37
	v_fmamk_f32 v43, v42, 0xba1345e1, v98
	v_fmaak_f32 v43, v42, v43, 0xbcdac9b8
	v_fmaak_f32 v43, v42, v43, 0x3de703be
	;; [unrolled: 1-line block ×4, first 2 shown]
	v_fma_f32 v42, |v37|, v42, |v37|
; %bb.97:                               ;   in Loop: Header=BB367_9 Depth=1
	s_or_b64 exec, exec, s[14:15]
	v_bfi_b32 v33, s41, v36, v33
	v_cvt_f32_f16_sdwa v36, v26 dst_sel:DWORD dst_unused:UNUSED_PAD src0_sel:WORD_1
	v_cvt_f32_f16_e32 v26, v26
	v_mul_f32_e32 v32, 0.5, v32
	v_add_f32_e32 v33, 1.0, v33
	v_mul_f32_e32 v32, v32, v33
	s_waitcnt vmcnt(2)
	v_add_f32_e32 v28, v28, v26
	v_mul_f32_e32 v26, 0.5, v34
	v_cvt_f32_f16_e32 v34, v35
	v_bfi_b32 v33, s41, v42, v37
	v_add_f32_e32 v33, 1.0, v33
	v_add_f32_e32 v29, v29, v36
	v_mul_f32_e32 v33, v26, v33
	v_add_f32_e32 v26, v38, v34
	;;#ASMSTART
	v_pk_mul_f32 v[28:29], v[32:33], v[28:29]
	;;#ASMEND
	v_mul_f32_e32 v32, 0x3f3504f3, v26
	v_cmp_nlt_f32_e64 s[14:15], |v32|, 1.0
                                        ; implicit-def: $vgpr33
	s_and_saveexec_b64 s[42:43], s[14:15]
	s_xor_b64 s[14:15], exec, s[42:43]
	s_cbranch_execz .LBB367_99
; %bb.98:                               ;   in Loop: Header=BB367_9 Depth=1
	v_fma_f32 v33, |v32|, s31, v99
	v_fma_f32 v33, |v32|, v33, s33
	;; [unrolled: 1-line block ×6, first 2 shown]
	v_fma_f32 v33, |v32|, v33, |v32|
	v_mul_f32_e32 v34, 0xbfb8aa3b, v33
	v_fma_f32 v36, v33, s38, -v34
	v_rndne_f32_e32 v37, v34
	v_fmac_f32_e32 v36, 0xb2a5705f, v33
	v_sub_f32_e32 v34, v34, v37
	v_add_f32_e32 v34, v34, v36
	v_cvt_i32_f32_e32 v36, v37
	v_exp_f32_e32 v34, v34
	v_cmp_nlt_f32_e32 vcc, s39, v33
	v_ldexp_f32 v34, v34, v36
	s_nop 0
	v_cndmask_b32_e32 v34, 0, v34, vcc
	v_cmp_ngt_f32_e32 vcc, s40, v33
	s_nop 1
	v_cndmask_b32_e32 v33, v100, v34, vcc
	v_sub_f32_e32 v33, 1.0, v33
.LBB367_99:                             ;   in Loop: Header=BB367_9 Depth=1
	s_andn2_saveexec_b64 s[14:15], s[14:15]
; %bb.100:                              ;   in Loop: Header=BB367_9 Depth=1
	v_mul_f32_e32 v33, v32, v32
	v_fmamk_f32 v34, v33, 0xba1345e1, v98
	v_fmaak_f32 v34, v33, v34, 0xbcdac9b8
	v_fmaak_f32 v34, v33, v34, 0x3de703be
	v_fmaak_f32 v34, v33, v34, 0xbec09330
	v_fmaak_f32 v33, v33, v34, 0x3e0375d0
	v_fma_f32 v33, |v32|, v33, |v32|
; %bb.101:                              ;   in Loop: Header=BB367_9 Depth=1
	s_or_b64 exec, exec, s[14:15]
	v_cvt_f32_f16_sdwa v34, v35 dst_sel:DWORD dst_unused:UNUSED_PAD src0_sel:WORD_1
                                        ; implicit-def: $vgpr36
	v_add_f32_e32 v34, v39, v34
	v_mul_f32_e32 v35, 0x3f3504f3, v34
	v_cmp_nlt_f32_e64 s[14:15], |v35|, 1.0
	s_and_saveexec_b64 s[42:43], s[14:15]
	s_xor_b64 s[14:15], exec, s[42:43]
	s_cbranch_execz .LBB367_103
; %bb.102:                              ;   in Loop: Header=BB367_9 Depth=1
	v_fma_f32 v36, |v35|, s31, v99
	v_fma_f32 v36, |v35|, v36, s33
	;; [unrolled: 1-line block ×6, first 2 shown]
	v_fma_f32 v36, |v35|, v36, |v35|
	v_mul_f32_e32 v37, 0xbfb8aa3b, v36
	v_fma_f32 v38, v36, s38, -v37
	v_rndne_f32_e32 v39, v37
	v_fmac_f32_e32 v38, 0xb2a5705f, v36
	v_sub_f32_e32 v37, v37, v39
	v_add_f32_e32 v37, v37, v38
	v_cvt_i32_f32_e32 v38, v39
	v_exp_f32_e32 v37, v37
	v_cmp_nlt_f32_e32 vcc, s39, v36
	v_ldexp_f32 v37, v37, v38
	s_nop 0
	v_cndmask_b32_e32 v37, 0, v37, vcc
	v_cmp_ngt_f32_e32 vcc, s40, v36
	s_nop 1
	v_cndmask_b32_e32 v36, v100, v37, vcc
	v_sub_f32_e32 v36, 1.0, v36
.LBB367_103:                            ;   in Loop: Header=BB367_9 Depth=1
	s_andn2_saveexec_b64 s[14:15], s[14:15]
; %bb.104:                              ;   in Loop: Header=BB367_9 Depth=1
	v_mul_f32_e32 v36, v35, v35
	v_fmamk_f32 v37, v36, 0xba1345e1, v98
	v_fmaak_f32 v37, v36, v37, 0xbcdac9b8
	v_fmaak_f32 v37, v36, v37, 0x3de703be
	;; [unrolled: 1-line block ×4, first 2 shown]
	v_fma_f32 v36, |v35|, v36, |v35|
; %bb.105:                              ;   in Loop: Header=BB367_9 Depth=1
	s_or_b64 exec, exec, s[14:15]
	v_bfi_b32 v32, s41, v33, v32
	v_cvt_f32_f16_sdwa v33, v27 dst_sel:DWORD dst_unused:UNUSED_PAD src0_sel:WORD_1
	v_cvt_f32_f16_e32 v27, v27
	v_mul_f32_e32 v26, 0.5, v26
	v_add_f32_e32 v32, 1.0, v32
	v_add_f32_e32 v31, v31, v33
	v_cvt_f32_f16_e32 v33, v8
	v_mul_f32_e32 v26, v26, v32
	v_bfi_b32 v32, s41, v36, v35
	v_add_f32_e32 v30, v30, v27
	v_mul_f32_e32 v27, 0.5, v34
	v_add_f32_e32 v32, 1.0, v32
	v_mul_f32_e32 v27, v27, v32
	v_add_f32_e32 v20, v20, v33
	;;#ASMSTART
	v_pk_mul_f32 v[26:27], v[26:27], v[30:31]
	;;#ASMEND
	v_mul_f32_e32 v30, 0x3f3504f3, v20
	v_cmp_nlt_f32_e64 s[14:15], |v30|, 1.0
                                        ; implicit-def: $vgpr31
	s_and_saveexec_b64 s[42:43], s[14:15]
	s_xor_b64 s[14:15], exec, s[42:43]
	s_cbranch_execz .LBB367_107
; %bb.106:                              ;   in Loop: Header=BB367_9 Depth=1
	v_fma_f32 v31, |v30|, s31, v99
	v_fma_f32 v31, |v30|, v31, s33
	;; [unrolled: 1-line block ×6, first 2 shown]
	v_fma_f32 v31, |v30|, v31, |v30|
	v_mul_f32_e32 v32, 0xbfb8aa3b, v31
	v_fma_f32 v33, v31, s38, -v32
	v_rndne_f32_e32 v34, v32
	v_fmac_f32_e32 v33, 0xb2a5705f, v31
	v_sub_f32_e32 v32, v32, v34
	v_add_f32_e32 v32, v32, v33
	v_cvt_i32_f32_e32 v33, v34
	v_exp_f32_e32 v32, v32
	v_cmp_nlt_f32_e32 vcc, s39, v31
	v_ldexp_f32 v32, v32, v33
	s_nop 0
	v_cndmask_b32_e32 v32, 0, v32, vcc
	v_cmp_ngt_f32_e32 vcc, s40, v31
	s_nop 1
	v_cndmask_b32_e32 v31, v100, v32, vcc
	v_sub_f32_e32 v31, 1.0, v31
.LBB367_107:                            ;   in Loop: Header=BB367_9 Depth=1
	s_andn2_saveexec_b64 s[14:15], s[14:15]
; %bb.108:                              ;   in Loop: Header=BB367_9 Depth=1
	v_mul_f32_e32 v31, v30, v30
	v_fmamk_f32 v32, v31, 0xba1345e1, v98
	v_fmaak_f32 v32, v31, v32, 0xbcdac9b8
	v_fmaak_f32 v32, v31, v32, 0x3de703be
	;; [unrolled: 1-line block ×4, first 2 shown]
	v_fma_f32 v31, |v30|, v31, |v30|
; %bb.109:                              ;   in Loop: Header=BB367_9 Depth=1
	s_or_b64 exec, exec, s[14:15]
	v_cvt_f32_f16_sdwa v8, v8 dst_sel:DWORD dst_unused:UNUSED_PAD src0_sel:WORD_1
                                        ; implicit-def: $vgpr32
	v_add_f32_e32 v8, v21, v8
	v_mul_f32_e32 v21, 0x3f3504f3, v8
	v_cmp_nlt_f32_e64 s[14:15], |v21|, 1.0
	s_and_saveexec_b64 s[42:43], s[14:15]
	s_xor_b64 s[14:15], exec, s[42:43]
	s_cbranch_execz .LBB367_111
; %bb.110:                              ;   in Loop: Header=BB367_9 Depth=1
	v_fma_f32 v32, |v21|, s31, v99
	v_fma_f32 v32, |v21|, v32, s33
	v_fma_f32 v32, |v21|, v32, s34
	v_fma_f32 v32, |v21|, v32, s35
	v_fma_f32 v32, |v21|, v32, s36
	v_fma_f32 v32, |v21|, v32, s37
	v_fma_f32 v32, |v21|, v32, |v21|
	v_mul_f32_e32 v33, 0xbfb8aa3b, v32
	v_fma_f32 v34, v32, s38, -v33
	v_rndne_f32_e32 v35, v33
	v_fmac_f32_e32 v34, 0xb2a5705f, v32
	v_sub_f32_e32 v33, v33, v35
	v_add_f32_e32 v33, v33, v34
	v_cvt_i32_f32_e32 v34, v35
	v_exp_f32_e32 v33, v33
	v_cmp_nlt_f32_e32 vcc, s39, v32
	v_ldexp_f32 v33, v33, v34
	s_nop 0
	v_cndmask_b32_e32 v33, 0, v33, vcc
	v_cmp_ngt_f32_e32 vcc, s40, v32
	s_nop 1
	v_cndmask_b32_e32 v32, v100, v33, vcc
	v_sub_f32_e32 v32, 1.0, v32
.LBB367_111:                            ;   in Loop: Header=BB367_9 Depth=1
	s_andn2_saveexec_b64 s[14:15], s[14:15]
; %bb.112:                              ;   in Loop: Header=BB367_9 Depth=1
	v_mul_f32_e32 v32, v21, v21
	v_fmamk_f32 v33, v32, 0xba1345e1, v98
	v_fmaak_f32 v33, v32, v33, 0xbcdac9b8
	v_fmaak_f32 v33, v32, v33, 0x3de703be
	;; [unrolled: 1-line block ×4, first 2 shown]
	v_fma_f32 v32, |v21|, v32, |v21|
; %bb.113:                              ;   in Loop: Header=BB367_9 Depth=1
	s_or_b64 exec, exec, s[14:15]
	v_bfi_b32 v30, s41, v31, v30
	v_cvt_f32_f16_sdwa v31, v0 dst_sel:DWORD dst_unused:UNUSED_PAD src0_sel:WORD_1
	v_cvt_f32_f16_e32 v0, v0
	v_mul_f32_e32 v20, 0.5, v20
	v_add_f32_e32 v30, 1.0, v30
	v_mul_f32_e32 v20, v20, v30
	v_cvt_f32_f16_e32 v30, v9
	s_waitcnt vmcnt(1)
	v_add_f32_e32 v16, v16, v0
	v_mul_f32_e32 v0, 0.5, v8
	v_bfi_b32 v8, s41, v32, v21
	v_add_f32_e32 v8, 1.0, v8
	v_mul_f32_e32 v21, v0, v8
	v_add_f32_e32 v0, v22, v30
	v_mul_f32_e32 v8, 0x3f3504f3, v0
	v_add_f32_e32 v17, v17, v31
	v_cmp_nlt_f32_e64 s[14:15], |v8|, 1.0
	;;#ASMSTART
	v_pk_mul_f32 v[16:17], v[20:21], v[16:17]
	;;#ASMEND
                                        ; implicit-def: $vgpr20
	s_and_saveexec_b64 s[42:43], s[14:15]
	s_xor_b64 s[14:15], exec, s[42:43]
	s_cbranch_execz .LBB367_115
; %bb.114:                              ;   in Loop: Header=BB367_9 Depth=1
	v_fma_f32 v20, |v8|, s31, v99
	v_fma_f32 v20, |v8|, v20, s33
	;; [unrolled: 1-line block ×6, first 2 shown]
	v_fma_f32 v20, |v8|, v20, |v8|
	v_mul_f32_e32 v21, 0xbfb8aa3b, v20
	v_fma_f32 v22, v20, s38, -v21
	v_rndne_f32_e32 v30, v21
	v_fmac_f32_e32 v22, 0xb2a5705f, v20
	v_sub_f32_e32 v21, v21, v30
	v_add_f32_e32 v21, v21, v22
	v_cvt_i32_f32_e32 v22, v30
	v_exp_f32_e32 v21, v21
	v_cmp_nlt_f32_e32 vcc, s39, v20
	v_ldexp_f32 v21, v21, v22
	s_nop 0
	v_cndmask_b32_e32 v21, 0, v21, vcc
	v_cmp_ngt_f32_e32 vcc, s40, v20
	s_nop 1
	v_cndmask_b32_e32 v20, v100, v21, vcc
	v_sub_f32_e32 v20, 1.0, v20
.LBB367_115:                            ;   in Loop: Header=BB367_9 Depth=1
	s_andn2_saveexec_b64 s[14:15], s[14:15]
; %bb.116:                              ;   in Loop: Header=BB367_9 Depth=1
	v_mul_f32_e32 v20, v8, v8
	v_fmamk_f32 v21, v20, 0xba1345e1, v98
	v_fmaak_f32 v21, v20, v21, 0xbcdac9b8
	v_fmaak_f32 v21, v20, v21, 0x3de703be
	;; [unrolled: 1-line block ×4, first 2 shown]
	v_fma_f32 v20, |v8|, v20, |v8|
; %bb.117:                              ;   in Loop: Header=BB367_9 Depth=1
	s_or_b64 exec, exec, s[14:15]
	v_cvt_f32_f16_sdwa v9, v9 dst_sel:DWORD dst_unused:UNUSED_PAD src0_sel:WORD_1
                                        ; implicit-def: $vgpr22
	v_add_f32_e32 v9, v23, v9
	v_mul_f32_e32 v21, 0x3f3504f3, v9
	v_cmp_nlt_f32_e64 s[14:15], |v21|, 1.0
	s_and_saveexec_b64 s[42:43], s[14:15]
	s_xor_b64 s[14:15], exec, s[42:43]
	s_cbranch_execz .LBB367_119
; %bb.118:                              ;   in Loop: Header=BB367_9 Depth=1
	v_fma_f32 v22, |v21|, s31, v99
	v_fma_f32 v22, |v21|, v22, s33
	;; [unrolled: 1-line block ×6, first 2 shown]
	v_fma_f32 v22, |v21|, v22, |v21|
	v_mul_f32_e32 v23, 0xbfb8aa3b, v22
	v_fma_f32 v30, v22, s38, -v23
	v_rndne_f32_e32 v31, v23
	v_fmac_f32_e32 v30, 0xb2a5705f, v22
	v_sub_f32_e32 v23, v23, v31
	v_add_f32_e32 v23, v23, v30
	v_cvt_i32_f32_e32 v30, v31
	v_exp_f32_e32 v23, v23
	v_cmp_nlt_f32_e32 vcc, s39, v22
	v_ldexp_f32 v23, v23, v30
	s_nop 0
	v_cndmask_b32_e32 v23, 0, v23, vcc
	v_cmp_ngt_f32_e32 vcc, s40, v22
	s_nop 1
	v_cndmask_b32_e32 v22, v100, v23, vcc
	v_sub_f32_e32 v22, 1.0, v22
.LBB367_119:                            ;   in Loop: Header=BB367_9 Depth=1
	s_andn2_saveexec_b64 s[14:15], s[14:15]
; %bb.120:                              ;   in Loop: Header=BB367_9 Depth=1
	v_mul_f32_e32 v22, v21, v21
	v_fmamk_f32 v23, v22, 0xba1345e1, v98
	v_fmaak_f32 v23, v22, v23, 0xbcdac9b8
	v_fmaak_f32 v23, v22, v23, 0x3de703be
	;; [unrolled: 1-line block ×4, first 2 shown]
	v_fma_f32 v22, |v21|, v22, |v21|
; %bb.121:                              ;   in Loop: Header=BB367_9 Depth=1
	s_or_b64 exec, exec, s[14:15]
	v_bfi_b32 v8, s41, v20, v8
	v_cvt_f32_f16_sdwa v20, v1 dst_sel:DWORD dst_unused:UNUSED_PAD src0_sel:WORD_1
	v_cvt_f32_f16_e32 v1, v1
	v_mul_f32_e32 v0, 0.5, v0
	v_add_f32_e32 v8, 1.0, v8
	v_mul_f32_e32 v0, v0, v8
	v_add_f32_e32 v18, v18, v1
	v_mul_f32_e32 v1, 0.5, v9
	v_cvt_f32_f16_e32 v9, v10
	v_bfi_b32 v8, s41, v22, v21
	v_add_f32_e32 v8, 1.0, v8
	v_mul_f32_e32 v1, v1, v8
	v_add_f32_e32 v8, v12, v9
	v_mul_f32_e32 v9, 0x3f3504f3, v8
	v_cmp_nlt_f32_e64 s[14:15], |v9|, 1.0
	v_add_f32_e32 v19, v19, v20
	;;#ASMSTART
	v_pk_mul_f32 v[0:1], v[0:1], v[18:19]
	;;#ASMEND
                                        ; implicit-def: $vgpr12
	s_and_saveexec_b64 s[42:43], s[14:15]
	s_xor_b64 s[14:15], exec, s[42:43]
	s_cbranch_execz .LBB367_123
; %bb.122:                              ;   in Loop: Header=BB367_9 Depth=1
	v_fma_f32 v12, |v9|, s31, v99
	v_fma_f32 v12, |v9|, v12, s33
	;; [unrolled: 1-line block ×6, first 2 shown]
	v_fma_f32 v12, |v9|, v12, |v9|
	v_mul_f32_e32 v18, 0xbfb8aa3b, v12
	v_fma_f32 v19, v12, s38, -v18
	v_rndne_f32_e32 v20, v18
	v_fmac_f32_e32 v19, 0xb2a5705f, v12
	v_sub_f32_e32 v18, v18, v20
	v_add_f32_e32 v18, v18, v19
	v_cvt_i32_f32_e32 v19, v20
	v_exp_f32_e32 v18, v18
	v_cmp_nlt_f32_e32 vcc, s39, v12
	v_ldexp_f32 v18, v18, v19
	s_nop 0
	v_cndmask_b32_e32 v18, 0, v18, vcc
	v_cmp_ngt_f32_e32 vcc, s40, v12
	s_nop 1
	v_cndmask_b32_e32 v12, v100, v18, vcc
	v_sub_f32_e32 v12, 1.0, v12
.LBB367_123:                            ;   in Loop: Header=BB367_9 Depth=1
	s_andn2_saveexec_b64 s[14:15], s[14:15]
; %bb.124:                              ;   in Loop: Header=BB367_9 Depth=1
	v_mul_f32_e32 v12, v9, v9
	v_fmamk_f32 v18, v12, 0xba1345e1, v98
	v_fmaak_f32 v18, v12, v18, 0xbcdac9b8
	v_fmaak_f32 v18, v12, v18, 0x3de703be
	;; [unrolled: 1-line block ×4, first 2 shown]
	v_fma_f32 v12, |v9|, v12, |v9|
; %bb.125:                              ;   in Loop: Header=BB367_9 Depth=1
	s_or_b64 exec, exec, s[14:15]
	v_cvt_f32_f16_sdwa v10, v10 dst_sel:DWORD dst_unused:UNUSED_PAD src0_sel:WORD_1
                                        ; implicit-def: $vgpr18
	v_add_f32_e32 v10, v13, v10
	v_mul_f32_e32 v13, 0x3f3504f3, v10
	v_cmp_nlt_f32_e64 s[14:15], |v13|, 1.0
	s_and_saveexec_b64 s[42:43], s[14:15]
	s_xor_b64 s[14:15], exec, s[42:43]
	s_cbranch_execz .LBB367_127
; %bb.126:                              ;   in Loop: Header=BB367_9 Depth=1
	v_fma_f32 v18, |v13|, s31, v99
	v_fma_f32 v18, |v13|, v18, s33
	;; [unrolled: 1-line block ×6, first 2 shown]
	v_fma_f32 v18, |v13|, v18, |v13|
	v_mul_f32_e32 v19, 0xbfb8aa3b, v18
	v_fma_f32 v20, v18, s38, -v19
	v_rndne_f32_e32 v21, v19
	v_fmac_f32_e32 v20, 0xb2a5705f, v18
	v_sub_f32_e32 v19, v19, v21
	v_add_f32_e32 v19, v19, v20
	v_cvt_i32_f32_e32 v20, v21
	v_exp_f32_e32 v19, v19
	v_cmp_nlt_f32_e32 vcc, s39, v18
	v_ldexp_f32 v19, v19, v20
	s_nop 0
	v_cndmask_b32_e32 v19, 0, v19, vcc
	v_cmp_ngt_f32_e32 vcc, s40, v18
	s_nop 1
	v_cndmask_b32_e32 v18, v100, v19, vcc
	v_sub_f32_e32 v18, 1.0, v18
.LBB367_127:                            ;   in Loop: Header=BB367_9 Depth=1
	s_andn2_saveexec_b64 s[14:15], s[14:15]
; %bb.128:                              ;   in Loop: Header=BB367_9 Depth=1
	v_mul_f32_e32 v18, v13, v13
	v_fmamk_f32 v19, v18, 0xba1345e1, v98
	v_fmaak_f32 v19, v18, v19, 0xbcdac9b8
	v_fmaak_f32 v19, v18, v19, 0x3de703be
	;; [unrolled: 1-line block ×4, first 2 shown]
	v_fma_f32 v18, |v13|, v18, |v13|
; %bb.129:                              ;   in Loop: Header=BB367_9 Depth=1
	s_or_b64 exec, exec, s[14:15]
	v_bfi_b32 v9, s41, v12, v9
	v_cvt_f32_f16_sdwa v12, v2 dst_sel:DWORD dst_unused:UNUSED_PAD src0_sel:WORD_1
	v_cvt_f32_f16_e32 v2, v2
	v_mul_f32_e32 v8, 0.5, v8
	v_add_f32_e32 v9, 1.0, v9
	v_mul_f32_e32 v8, v8, v9
	s_waitcnt vmcnt(0)
	v_add_f32_e32 v4, v4, v2
	v_mul_f32_e32 v2, 0.5, v10
	v_cvt_f32_f16_e32 v10, v11
	v_bfi_b32 v9, s41, v18, v13
	v_add_f32_e32 v5, v5, v12
	v_add_f32_e32 v9, 1.0, v9
	v_mul_f32_e32 v9, v2, v9
	;;#ASMSTART
	v_pk_mul_f32 v[4:5], v[8:9], v[4:5]
	;;#ASMEND
	v_add_f32_e32 v8, v14, v10
	v_mul_f32_e32 v2, 0x3f3504f3, v8
	v_cmp_nlt_f32_e64 s[14:15], |v2|, 1.0
                                        ; implicit-def: $vgpr12
	s_and_saveexec_b64 s[42:43], s[14:15]
	s_xor_b64 s[14:15], exec, s[42:43]
	s_cbranch_execz .LBB367_131
; %bb.130:                              ;   in Loop: Header=BB367_9 Depth=1
	v_fma_f32 v9, |v2|, s31, v99
	v_fma_f32 v9, |v2|, v9, s33
	;; [unrolled: 1-line block ×6, first 2 shown]
	v_fma_f32 v9, |v2|, v9, |v2|
	v_mul_f32_e32 v10, 0xbfb8aa3b, v9
	v_fma_f32 v12, v9, s38, -v10
	v_rndne_f32_e32 v13, v10
	v_fmac_f32_e32 v12, 0xb2a5705f, v9
	v_sub_f32_e32 v10, v10, v13
	v_add_f32_e32 v10, v10, v12
	v_cvt_i32_f32_e32 v12, v13
	v_exp_f32_e32 v10, v10
	v_cmp_nlt_f32_e32 vcc, s39, v9
	v_ldexp_f32 v10, v10, v12
	s_nop 0
	v_cndmask_b32_e32 v10, 0, v10, vcc
	v_cmp_ngt_f32_e32 vcc, s40, v9
	s_nop 1
	v_cndmask_b32_e32 v9, v100, v10, vcc
	v_sub_f32_e32 v12, 1.0, v9
.LBB367_131:                            ;   in Loop: Header=BB367_9 Depth=1
	s_andn2_saveexec_b64 s[14:15], s[14:15]
; %bb.132:                              ;   in Loop: Header=BB367_9 Depth=1
	v_mul_f32_e32 v9, v2, v2
	v_fmamk_f32 v10, v9, 0xba1345e1, v98
	v_fmaak_f32 v10, v9, v10, 0xbcdac9b8
	v_fmaak_f32 v10, v9, v10, 0x3de703be
	;; [unrolled: 1-line block ×4, first 2 shown]
	v_fma_f32 v12, |v2|, v9, |v2|
; %bb.133:                              ;   in Loop: Header=BB367_9 Depth=1
	s_or_b64 exec, exec, s[14:15]
	v_cvt_f32_f16_sdwa v9, v11 dst_sel:DWORD dst_unused:UNUSED_PAD src0_sel:WORD_1
                                        ; implicit-def: $vgpr11
	v_add_f32_e32 v9, v15, v9
	v_mul_f32_e32 v10, 0x3f3504f3, v9
	v_cmp_nlt_f32_e64 s[14:15], |v10|, 1.0
	s_and_saveexec_b64 s[42:43], s[14:15]
	s_xor_b64 s[14:15], exec, s[42:43]
	s_cbranch_execz .LBB367_135
; %bb.134:                              ;   in Loop: Header=BB367_9 Depth=1
	v_fma_f32 v11, |v10|, s31, v99
	v_fma_f32 v11, |v10|, v11, s33
	;; [unrolled: 1-line block ×6, first 2 shown]
	v_fma_f32 v11, |v10|, v11, |v10|
	v_mul_f32_e32 v13, 0xbfb8aa3b, v11
	v_fma_f32 v14, v11, s38, -v13
	v_rndne_f32_e32 v15, v13
	v_fmac_f32_e32 v14, 0xb2a5705f, v11
	v_sub_f32_e32 v13, v13, v15
	v_add_f32_e32 v13, v13, v14
	v_cvt_i32_f32_e32 v14, v15
	v_exp_f32_e32 v13, v13
	v_cmp_nlt_f32_e32 vcc, s39, v11
	v_ldexp_f32 v13, v13, v14
	s_nop 0
	v_cndmask_b32_e32 v13, 0, v13, vcc
	v_cmp_ngt_f32_e32 vcc, s40, v11
	s_nop 1
	v_cndmask_b32_e32 v11, v100, v13, vcc
	v_sub_f32_e32 v11, 1.0, v11
.LBB367_135:                            ;   in Loop: Header=BB367_9 Depth=1
	s_andn2_saveexec_b64 s[14:15], s[14:15]
	s_cbranch_execz .LBB367_8
; %bb.136:                              ;   in Loop: Header=BB367_9 Depth=1
	v_mul_f32_e32 v11, v10, v10
	v_fmamk_f32 v13, v11, 0xba1345e1, v98
	v_fmaak_f32 v13, v11, v13, 0xbcdac9b8
	v_fmaak_f32 v13, v11, v13, 0x3de703be
	;; [unrolled: 1-line block ×4, first 2 shown]
	v_fma_f32 v11, |v10|, v11, |v10|
	s_branch .LBB367_8
.LBB367_137:
	s_endpgm
	.section	.rodata,"a",@progbits
	.p2align	6, 0x0
	.amdhsa_kernel _ZN5aiter23act_and_mul_bias_kernelIDF16_DF16_hfTnPFfRKT2_EXadL_ZNS_11gelu_kernelIfEEfRKT_EELi32EEEvPT0_PS8_PKT1_PS2_il
		.amdhsa_group_segment_fixed_size 0
		.amdhsa_private_segment_fixed_size 0
		.amdhsa_kernarg_size 304
		.amdhsa_user_sgpr_count 2
		.amdhsa_user_sgpr_dispatch_ptr 0
		.amdhsa_user_sgpr_queue_ptr 0
		.amdhsa_user_sgpr_kernarg_segment_ptr 1
		.amdhsa_user_sgpr_dispatch_id 0
		.amdhsa_user_sgpr_kernarg_preload_length 0
		.amdhsa_user_sgpr_kernarg_preload_offset 0
		.amdhsa_user_sgpr_private_segment_size 0
		.amdhsa_uses_dynamic_stack 0
		.amdhsa_enable_private_segment 0
		.amdhsa_system_sgpr_workgroup_id_x 1
		.amdhsa_system_sgpr_workgroup_id_y 0
		.amdhsa_system_sgpr_workgroup_id_z 0
		.amdhsa_system_sgpr_workgroup_info 0
		.amdhsa_system_vgpr_workitem_id 0
		.amdhsa_next_free_vgpr 108
		.amdhsa_next_free_sgpr 44
		.amdhsa_accum_offset 108
		.amdhsa_reserve_vcc 1
		.amdhsa_float_round_mode_32 0
		.amdhsa_float_round_mode_16_64 0
		.amdhsa_float_denorm_mode_32 3
		.amdhsa_float_denorm_mode_16_64 3
		.amdhsa_dx10_clamp 1
		.amdhsa_ieee_mode 1
		.amdhsa_fp16_overflow 0
		.amdhsa_tg_split 0
		.amdhsa_exception_fp_ieee_invalid_op 0
		.amdhsa_exception_fp_denorm_src 0
		.amdhsa_exception_fp_ieee_div_zero 0
		.amdhsa_exception_fp_ieee_overflow 0
		.amdhsa_exception_fp_ieee_underflow 0
		.amdhsa_exception_fp_ieee_inexact 0
		.amdhsa_exception_int_div_zero 0
	.end_amdhsa_kernel
	.section	.text._ZN5aiter23act_and_mul_bias_kernelIDF16_DF16_hfTnPFfRKT2_EXadL_ZNS_11gelu_kernelIfEEfRKT_EELi32EEEvPT0_PS8_PKT1_PS2_il,"axG",@progbits,_ZN5aiter23act_and_mul_bias_kernelIDF16_DF16_hfTnPFfRKT2_EXadL_ZNS_11gelu_kernelIfEEfRKT_EELi32EEEvPT0_PS8_PKT1_PS2_il,comdat
.Lfunc_end367:
	.size	_ZN5aiter23act_and_mul_bias_kernelIDF16_DF16_hfTnPFfRKT2_EXadL_ZNS_11gelu_kernelIfEEfRKT_EELi32EEEvPT0_PS8_PKT1_PS2_il, .Lfunc_end367-_ZN5aiter23act_and_mul_bias_kernelIDF16_DF16_hfTnPFfRKT2_EXadL_ZNS_11gelu_kernelIfEEfRKT_EELi32EEEvPT0_PS8_PKT1_PS2_il
                                        ; -- End function
	.section	.AMDGPU.csdata,"",@progbits
; Kernel info:
; codeLenInByte = 9804
; NumSgprs: 50
; NumVgprs: 108
; NumAgprs: 0
; TotalNumVgprs: 108
; ScratchSize: 0
; MemoryBound: 0
; FloatMode: 240
; IeeeMode: 1
; LDSByteSize: 0 bytes/workgroup (compile time only)
; SGPRBlocks: 6
; VGPRBlocks: 13
; NumSGPRsForWavesPerEU: 50
; NumVGPRsForWavesPerEU: 108
; AccumOffset: 108
; Occupancy: 4
; WaveLimiterHint : 0
; COMPUTE_PGM_RSRC2:SCRATCH_EN: 0
; COMPUTE_PGM_RSRC2:USER_SGPR: 2
; COMPUTE_PGM_RSRC2:TRAP_HANDLER: 0
; COMPUTE_PGM_RSRC2:TGID_X_EN: 1
; COMPUTE_PGM_RSRC2:TGID_Y_EN: 0
; COMPUTE_PGM_RSRC2:TGID_Z_EN: 0
; COMPUTE_PGM_RSRC2:TIDIG_COMP_CNT: 0
; COMPUTE_PGM_RSRC3_GFX90A:ACCUM_OFFSET: 26
; COMPUTE_PGM_RSRC3_GFX90A:TG_SPLIT: 0
	.section	.text._ZN5aiter23act_and_mul_bias_kernelIDF16_DF16_hfTnPFfRKT2_EXadL_ZNS_11gelu_kernelIfEEfRKT_EELi16EEEvPT0_PS8_PKT1_PS2_il,"axG",@progbits,_ZN5aiter23act_and_mul_bias_kernelIDF16_DF16_hfTnPFfRKT2_EXadL_ZNS_11gelu_kernelIfEEfRKT_EELi16EEEvPT0_PS8_PKT1_PS2_il,comdat
	.protected	_ZN5aiter23act_and_mul_bias_kernelIDF16_DF16_hfTnPFfRKT2_EXadL_ZNS_11gelu_kernelIfEEfRKT_EELi16EEEvPT0_PS8_PKT1_PS2_il ; -- Begin function _ZN5aiter23act_and_mul_bias_kernelIDF16_DF16_hfTnPFfRKT2_EXadL_ZNS_11gelu_kernelIfEEfRKT_EELi16EEEvPT0_PS8_PKT1_PS2_il
	.globl	_ZN5aiter23act_and_mul_bias_kernelIDF16_DF16_hfTnPFfRKT2_EXadL_ZNS_11gelu_kernelIfEEfRKT_EELi16EEEvPT0_PS8_PKT1_PS2_il
	.p2align	8
	.type	_ZN5aiter23act_and_mul_bias_kernelIDF16_DF16_hfTnPFfRKT2_EXadL_ZNS_11gelu_kernelIfEEfRKT_EELi16EEEvPT0_PS8_PKT1_PS2_il,@function
_ZN5aiter23act_and_mul_bias_kernelIDF16_DF16_hfTnPFfRKT2_EXadL_ZNS_11gelu_kernelIfEEfRKT_EELi16EEEvPT0_PS8_PKT1_PS2_il: ; @_ZN5aiter23act_and_mul_bias_kernelIDF16_DF16_hfTnPFfRKT2_EXadL_ZNS_11gelu_kernelIfEEfRKT_EELi16EEEvPT0_PS8_PKT1_PS2_il
; %bb.0:
	s_load_dwordx2 s[4:5], s[0:1], 0x10
	s_load_dword s24, s[0:1], 0x20
	s_load_dwordx2 s[6:7], s[0:1], 0x28
	v_mov_b32_e32 v1, s2
	s_mov_b32 s9, 0
	s_waitcnt lgkmcnt(0)
	global_load_ubyte v1, v1, s[4:5]
	s_add_i32 s3, s24, 1
	s_load_dwordx2 s[4:5], s[0:1], 0x0
	v_mov_b64_e32 v[2:3], s[6:7]
	s_lshr_b32 s6, s3, 31
	s_ashr_i32 s25, s24, 31
	s_add_i32 s3, s3, s6
	s_mul_hi_u32 s8, s24, s2
	s_mul_i32 s7, s25, s2
	s_lshl_b32 s3, s3, 1
	s_mul_i32 s12, s24, s2
	s_add_i32 s13, s8, s7
	s_and_b32 s6, s3, -4
	s_lshl_b64 s[12:13], s[12:13], 1
	s_mov_b64 s[10:11], -1
	v_lshlrev_b32_e32 v48, 4, v0
	s_waitcnt vmcnt(0)
	v_readfirstlane_b32 s3, v1
	s_and_b32 s8, s3, 0xffff
	s_waitcnt lgkmcnt(0)
	s_add_u32 s4, s4, s12
	v_cmp_lt_i64_e32 vcc, s[8:9], v[2:3]
	s_addc_u32 s3, s5, s13
	s_and_b32 s5, s3, 0xffff
	s_cbranch_vccnz .LBB368_5
; %bb.1:
	v_cmp_gt_i32_e32 vcc, s24, v48
	s_and_saveexec_b64 s[10:11], vcc
	s_cbranch_execz .LBB368_4
; %bb.2:
	s_load_dword s3, s[0:1], 0x3c
	s_mov_b32 s13, 0
	s_mov_b32 s16, s13
	;; [unrolled: 1-line block ×3, first 2 shown]
	v_mov_b32_e32 v49, 0
	v_lshlrev_b32_e32 v6, 5, v0
	s_waitcnt lgkmcnt(0)
	s_and_b32 s3, s3, 0xffff
	s_mov_b32 s18, s13
	s_mov_b32 s19, s13
	v_mov_b64_e32 v[0:1], s[16:17]
	s_lshl_b32 s12, s3, 4
	s_lshl_b32 s3, s3, 5
	s_mov_b64 s[14:15], 0
	s_mov_b32 s7, 0x20000
	v_mov_b64_e32 v[2:3], s[18:19]
	v_mov_b64_e32 v[4:5], v[48:49]
.LBB368_3:                              ; =>This Inner Loop Header: Depth=1
	v_lshl_add_u64 v[4:5], s[12:13], 0, v[4:5]
	v_cmp_le_i64_e32 vcc, s[24:25], v[4:5]
	buffer_store_dwordx4 v[0:3], v6, s[4:7], 0 offen
	buffer_store_dwordx4 v[0:3], v6, s[4:7], 16 offen
	s_or_b64 s[14:15], vcc, s[14:15]
	v_add_u32_e32 v6, s3, v6
	s_andn2_b64 exec, exec, s[14:15]
	s_cbranch_execnz .LBB368_3
.LBB368_4:
	s_or_b64 exec, exec, s[10:11]
	s_mov_b64 s[10:11], 0
.LBB368_5:
	s_andn2_b64 vcc, exec, s[10:11]
	s_cbranch_vccnz .LBB368_73
; %bb.6:
	v_cmp_gt_i32_e32 vcc, s24, v48
	s_and_saveexec_b64 s[10:11], vcc
	s_cbranch_execz .LBB368_73
; %bb.7:
	s_load_dwordx2 s[10:11], s[0:1], 0x18
	s_load_dwordx2 s[14:15], s[0:1], 0x8
	s_mul_hi_i32 s9, s24, s8
	s_mul_i32 s8, s24, s8
	s_lshl_b64 s[8:9], s[8:9], 3
	s_waitcnt lgkmcnt(0)
	s_add_u32 s8, s10, s8
	s_addc_u32 s3, s11, s9
	s_lshl_b64 s[10:11], s[24:25], 2
	s_add_u32 s12, s8, s10
	s_addc_u32 s13, s3, s11
	s_and_b32 s9, s3, 0xffff
	s_mul_i32 s3, s2, s25
	s_mul_hi_u32 s16, s2, s24
	s_add_i32 s3, s16, s3
	s_mul_i32 s2, s2, s24
	s_lshl_b32 s10, s24, 2
	s_and_b32 s13, s13, 0xffff
	s_lshl_b64 s[2:3], s[2:3], 2
	s_add_u32 s16, s14, s2
	s_addc_u32 s14, s15, s3
	s_lshl_b64 s[2:3], s[24:25], 1
	s_add_u32 s20, s16, s2
	s_addc_u32 s2, s14, s3
	s_and_b32 s17, s14, 0xffff
	s_and_b32 s21, s2, 0xffff
	s_mov_b32 s7, 0x20000
	s_add_u32 s0, s0, 48
	s_mov_b32 s11, s7
	s_mov_b64 s[22:23], s[6:7]
	v_mov_b32_e32 v49, 0
	s_addc_u32 s1, s1, 0
	s_mov_b64 s[2:3], 0
	s_mov_b32 s18, s6
	s_mov_b32 s19, s7
	;; [unrolled: 1-line block ×12, first 2 shown]
	v_mov_b32_e32 v50, 0x3ba10414
	s_brev_b32 s38, -2
	v_mov_b32_e32 v51, 0xb9c68948
	v_mov_b32_e32 v52, 0x7f800000
                                        ; implicit-def: $vgpr0
                                        ; implicit-def: $vgpr0
	;; [unrolled: 1-line block ×4, first 2 shown]
	s_branch .LBB368_9
.LBB368_8:                              ;   in Loop: Header=BB368_9 Depth=1
	s_or_b64 exec, exec, s[14:15]
	v_cvt_f32_f16_sdwa v13, v3 dst_sel:DWORD dst_unused:UNUSED_PAD src0_sel:WORD_1
	v_bfi_b32 v2, s38, v12, v2
	v_cvt_f16_f32_e32 v14, v1
	v_bfi_b32 v1, s38, v11, v10
	v_add_f32_e32 v7, v7, v13
	v_cvt_f16_f32_e32 v13, v0
	v_cvt_f32_f16_e32 v0, v3
	v_mul_f32_e32 v8, 0.5, v8
	v_add_f32_e32 v2, 1.0, v2
	v_add_f32_e32 v1, 1.0, v1
	v_add_f32_e32 v6, v6, v0
	v_mul_f32_e32 v0, 0.5, v9
	v_mul_f32_e32 v2, v8, v2
	v_mul_f32_e32 v3, v0, v1
	;;#ASMSTART
	v_pk_mul_f32 v[0:1], v[2:3], v[6:7]
	;;#ASMEND
	s_load_dword s14, s[0:1], 0xc
	v_cvt_f16_f32_e32 v8, v16
	v_cvt_f16_f32_e32 v12, v17
	;; [unrolled: 1-line block ×14, first 2 shown]
	s_waitcnt lgkmcnt(0)
	s_and_b32 s14, s14, 0xffff
	s_lshl_b32 s26, s14, 4
	v_lshl_add_u64 v[48:49], s[26:27], 0, v[48:49]
	v_pack_b32_f16 v3, v21, v22
	v_pack_b32_f16 v2, v19, v20
	;; [unrolled: 1-line block ×4, first 2 shown]
	v_cmp_le_i64_e32 vcc, s[24:25], v[48:49]
	buffer_store_dwordx4 v[0:3], v53, s[4:7], 0 offen
	s_or_b64 s[2:3], vcc, s[2:3]
	s_nop 0
	v_pack_b32_f16 v3, v6, v7
	v_pack_b32_f16 v2, v4, v5
	;; [unrolled: 1-line block ×4, first 2 shown]
	buffer_store_dwordx4 v[0:3], v53, s[4:7], 16 offen
	s_andn2_b64 exec, exec, s[2:3]
	s_cbranch_execz .LBB368_73
.LBB368_9:                              ; =>This Inner Loop Header: Depth=1
	v_lshlrev_b32_e32 v53, 1, v48
	buffer_load_dwordx4 v[32:35], v53, s[16:19], 0 offen
	buffer_load_dwordx4 v[8:11], v53, s[16:19], 16 offen
	;; [unrolled: 1-line block ×4, first 2 shown]
	v_lshlrev_b32_e32 v54, 2, v48
	s_mov_b32 s14, s10
	s_mov_b32 s15, s11
	buffer_load_dwordx4 v[44:47], v54, s[8:11], 0 offen
	buffer_load_dwordx4 v[36:39], v54, s[8:11], 16 offen
	;; [unrolled: 1-line block ×8, first 2 shown]
                                        ; implicit-def: $vgpr55
	s_waitcnt vmcnt(11)
	v_cvt_f32_f16_e32 v54, v32
	s_waitcnt vmcnt(7)
	v_add_f32_e32 v44, v44, v54
	v_mul_f32_e32 v54, 0x3f3504f3, v44
	v_cmp_nlt_f32_e64 s[14:15], |v54|, 1.0
	s_and_saveexec_b64 s[40:41], s[14:15]
	s_xor_b64 s[14:15], exec, s[40:41]
	s_cbranch_execz .LBB368_11
; %bb.10:                               ;   in Loop: Header=BB368_9 Depth=1
	v_fma_f32 v55, |v54|, s28, v51
	v_fma_f32 v55, |v54|, v55, s29
	;; [unrolled: 1-line block ×6, first 2 shown]
	v_fma_f32 v55, |v54|, v55, |v54|
	v_mul_f32_e32 v56, 0xbfb8aa3b, v55
	v_fma_f32 v57, v55, s35, -v56
	v_rndne_f32_e32 v58, v56
	v_fmac_f32_e32 v57, 0xb2a5705f, v55
	v_sub_f32_e32 v56, v56, v58
	v_add_f32_e32 v56, v56, v57
	v_cvt_i32_f32_e32 v57, v58
	v_exp_f32_e32 v56, v56
	v_cmp_nlt_f32_e32 vcc, s36, v55
	v_ldexp_f32 v56, v56, v57
	s_nop 0
	v_cndmask_b32_e32 v56, 0, v56, vcc
	v_cmp_ngt_f32_e32 vcc, s37, v55
	s_nop 1
	v_cndmask_b32_e32 v55, v52, v56, vcc
	v_sub_f32_e32 v55, 1.0, v55
.LBB368_11:                             ;   in Loop: Header=BB368_9 Depth=1
	s_andn2_saveexec_b64 s[14:15], s[14:15]
; %bb.12:                               ;   in Loop: Header=BB368_9 Depth=1
	v_mul_f32_e32 v55, v54, v54
	v_fmamk_f32 v56, v55, 0xba1345e1, v50
	v_fmaak_f32 v56, v55, v56, 0xbcdac9b8
	v_fmaak_f32 v56, v55, v56, 0x3de703be
	;; [unrolled: 1-line block ×4, first 2 shown]
	v_fma_f32 v55, |v54|, v55, |v54|
; %bb.13:                               ;   in Loop: Header=BB368_9 Depth=1
	s_or_b64 exec, exec, s[14:15]
	v_cvt_f32_f16_sdwa v32, v32 dst_sel:DWORD dst_unused:UNUSED_PAD src0_sel:WORD_1
                                        ; implicit-def: $vgpr56
	v_add_f32_e32 v32, v45, v32
	v_mul_f32_e32 v45, 0x3f3504f3, v32
	v_cmp_nlt_f32_e64 s[14:15], |v45|, 1.0
	s_and_saveexec_b64 s[40:41], s[14:15]
	s_xor_b64 s[14:15], exec, s[40:41]
	s_cbranch_execz .LBB368_15
; %bb.14:                               ;   in Loop: Header=BB368_9 Depth=1
	v_fma_f32 v56, |v45|, s28, v51
	v_fma_f32 v56, |v45|, v56, s29
	;; [unrolled: 1-line block ×6, first 2 shown]
	v_fma_f32 v56, |v45|, v56, |v45|
	v_mul_f32_e32 v57, 0xbfb8aa3b, v56
	v_fma_f32 v58, v56, s35, -v57
	v_rndne_f32_e32 v59, v57
	v_fmac_f32_e32 v58, 0xb2a5705f, v56
	v_sub_f32_e32 v57, v57, v59
	v_add_f32_e32 v57, v57, v58
	v_cvt_i32_f32_e32 v58, v59
	v_exp_f32_e32 v57, v57
	v_cmp_nlt_f32_e32 vcc, s36, v56
	v_ldexp_f32 v57, v57, v58
	s_nop 0
	v_cndmask_b32_e32 v57, 0, v57, vcc
	v_cmp_ngt_f32_e32 vcc, s37, v56
	s_nop 1
	v_cndmask_b32_e32 v56, v52, v57, vcc
	v_sub_f32_e32 v56, 1.0, v56
.LBB368_15:                             ;   in Loop: Header=BB368_9 Depth=1
	s_andn2_saveexec_b64 s[14:15], s[14:15]
; %bb.16:                               ;   in Loop: Header=BB368_9 Depth=1
	v_mul_f32_e32 v56, v45, v45
	v_fmamk_f32 v57, v56, 0xba1345e1, v50
	v_fmaak_f32 v57, v56, v57, 0xbcdac9b8
	v_fmaak_f32 v57, v56, v57, 0x3de703be
	;; [unrolled: 1-line block ×4, first 2 shown]
	v_fma_f32 v56, |v45|, v56, |v45|
; %bb.17:                               ;   in Loop: Header=BB368_9 Depth=1
	s_or_b64 exec, exec, s[14:15]
	v_bfi_b32 v54, s38, v55, v54
	v_cvt_f32_f16_sdwa v55, v24 dst_sel:DWORD dst_unused:UNUSED_PAD src0_sel:WORD_1
	v_cvt_f32_f16_e32 v24, v24
	v_mul_f32_e32 v44, 0.5, v44
	v_add_f32_e32 v54, 1.0, v54
	v_mul_f32_e32 v44, v44, v54
	v_cvt_f32_f16_e32 v54, v33
	s_waitcnt vmcnt(3)
	v_add_f32_e32 v40, v40, v24
	v_mul_f32_e32 v24, 0.5, v32
	v_bfi_b32 v32, s38, v56, v45
	v_add_f32_e32 v32, 1.0, v32
	v_mul_f32_e32 v45, v24, v32
	v_add_f32_e32 v24, v46, v54
	v_mul_f32_e32 v32, 0x3f3504f3, v24
	v_add_f32_e32 v41, v41, v55
	v_cmp_nlt_f32_e64 s[14:15], |v32|, 1.0
	;;#ASMSTART
	v_pk_mul_f32 v[40:41], v[44:45], v[40:41]
	;;#ASMEND
                                        ; implicit-def: $vgpr44
	s_and_saveexec_b64 s[40:41], s[14:15]
	s_xor_b64 s[14:15], exec, s[40:41]
	s_cbranch_execz .LBB368_19
; %bb.18:                               ;   in Loop: Header=BB368_9 Depth=1
	v_fma_f32 v44, |v32|, s28, v51
	v_fma_f32 v44, |v32|, v44, s29
	;; [unrolled: 1-line block ×6, first 2 shown]
	v_fma_f32 v44, |v32|, v44, |v32|
	v_mul_f32_e32 v45, 0xbfb8aa3b, v44
	v_fma_f32 v46, v44, s35, -v45
	v_rndne_f32_e32 v54, v45
	v_fmac_f32_e32 v46, 0xb2a5705f, v44
	v_sub_f32_e32 v45, v45, v54
	v_add_f32_e32 v45, v45, v46
	v_cvt_i32_f32_e32 v46, v54
	v_exp_f32_e32 v45, v45
	v_cmp_nlt_f32_e32 vcc, s36, v44
	v_ldexp_f32 v45, v45, v46
	s_nop 0
	v_cndmask_b32_e32 v45, 0, v45, vcc
	v_cmp_ngt_f32_e32 vcc, s37, v44
	s_nop 1
	v_cndmask_b32_e32 v44, v52, v45, vcc
	v_sub_f32_e32 v44, 1.0, v44
.LBB368_19:                             ;   in Loop: Header=BB368_9 Depth=1
	s_andn2_saveexec_b64 s[14:15], s[14:15]
; %bb.20:                               ;   in Loop: Header=BB368_9 Depth=1
	v_mul_f32_e32 v44, v32, v32
	v_fmamk_f32 v45, v44, 0xba1345e1, v50
	v_fmaak_f32 v45, v44, v45, 0xbcdac9b8
	v_fmaak_f32 v45, v44, v45, 0x3de703be
	;; [unrolled: 1-line block ×4, first 2 shown]
	v_fma_f32 v44, |v32|, v44, |v32|
; %bb.21:                               ;   in Loop: Header=BB368_9 Depth=1
	s_or_b64 exec, exec, s[14:15]
	v_cvt_f32_f16_sdwa v33, v33 dst_sel:DWORD dst_unused:UNUSED_PAD src0_sel:WORD_1
                                        ; implicit-def: $vgpr46
	v_add_f32_e32 v33, v47, v33
	v_mul_f32_e32 v45, 0x3f3504f3, v33
	v_cmp_nlt_f32_e64 s[14:15], |v45|, 1.0
	s_and_saveexec_b64 s[40:41], s[14:15]
	s_xor_b64 s[14:15], exec, s[40:41]
	s_cbranch_execz .LBB368_23
; %bb.22:                               ;   in Loop: Header=BB368_9 Depth=1
	v_fma_f32 v46, |v45|, s28, v51
	v_fma_f32 v46, |v45|, v46, s29
	v_fma_f32 v46, |v45|, v46, s30
	v_fma_f32 v46, |v45|, v46, s31
	v_fma_f32 v46, |v45|, v46, s33
	v_fma_f32 v46, |v45|, v46, s34
	v_fma_f32 v46, |v45|, v46, |v45|
	v_mul_f32_e32 v47, 0xbfb8aa3b, v46
	v_fma_f32 v54, v46, s35, -v47
	v_rndne_f32_e32 v55, v47
	v_fmac_f32_e32 v54, 0xb2a5705f, v46
	v_sub_f32_e32 v47, v47, v55
	v_add_f32_e32 v47, v47, v54
	v_cvt_i32_f32_e32 v54, v55
	v_exp_f32_e32 v47, v47
	v_cmp_nlt_f32_e32 vcc, s36, v46
	v_ldexp_f32 v47, v47, v54
	s_nop 0
	v_cndmask_b32_e32 v47, 0, v47, vcc
	v_cmp_ngt_f32_e32 vcc, s37, v46
	s_nop 1
	v_cndmask_b32_e32 v46, v52, v47, vcc
	v_sub_f32_e32 v46, 1.0, v46
.LBB368_23:                             ;   in Loop: Header=BB368_9 Depth=1
	s_andn2_saveexec_b64 s[14:15], s[14:15]
; %bb.24:                               ;   in Loop: Header=BB368_9 Depth=1
	v_mul_f32_e32 v46, v45, v45
	v_fmamk_f32 v47, v46, 0xba1345e1, v50
	v_fmaak_f32 v47, v46, v47, 0xbcdac9b8
	v_fmaak_f32 v47, v46, v47, 0x3de703be
	v_fmaak_f32 v47, v46, v47, 0xbec09330
	v_fmaak_f32 v46, v46, v47, 0x3e0375d0
	v_fma_f32 v46, |v45|, v46, |v45|
; %bb.25:                               ;   in Loop: Header=BB368_9 Depth=1
	s_or_b64 exec, exec, s[14:15]
	v_bfi_b32 v32, s38, v44, v32
	v_cvt_f32_f16_sdwa v44, v25 dst_sel:DWORD dst_unused:UNUSED_PAD src0_sel:WORD_1
	v_cvt_f32_f16_e32 v25, v25
	v_mul_f32_e32 v24, 0.5, v24
	v_add_f32_e32 v32, 1.0, v32
	v_mul_f32_e32 v24, v24, v32
	v_add_f32_e32 v42, v42, v25
	v_mul_f32_e32 v25, 0.5, v33
	v_cvt_f32_f16_e32 v33, v34
	v_bfi_b32 v32, s38, v46, v45
	v_add_f32_e32 v32, 1.0, v32
	v_mul_f32_e32 v25, v25, v32
	v_add_f32_e32 v32, v36, v33
	v_mul_f32_e32 v33, 0x3f3504f3, v32
	v_cmp_nlt_f32_e64 s[14:15], |v33|, 1.0
	v_add_f32_e32 v43, v43, v44
	;;#ASMSTART
	v_pk_mul_f32 v[24:25], v[24:25], v[42:43]
	;;#ASMEND
                                        ; implicit-def: $vgpr36
	s_and_saveexec_b64 s[40:41], s[14:15]
	s_xor_b64 s[14:15], exec, s[40:41]
	s_cbranch_execz .LBB368_27
; %bb.26:                               ;   in Loop: Header=BB368_9 Depth=1
	v_fma_f32 v36, |v33|, s28, v51
	v_fma_f32 v36, |v33|, v36, s29
	;; [unrolled: 1-line block ×6, first 2 shown]
	v_fma_f32 v36, |v33|, v36, |v33|
	v_mul_f32_e32 v42, 0xbfb8aa3b, v36
	v_fma_f32 v43, v36, s35, -v42
	v_rndne_f32_e32 v44, v42
	v_fmac_f32_e32 v43, 0xb2a5705f, v36
	v_sub_f32_e32 v42, v42, v44
	v_add_f32_e32 v42, v42, v43
	v_cvt_i32_f32_e32 v43, v44
	v_exp_f32_e32 v42, v42
	v_cmp_nlt_f32_e32 vcc, s36, v36
	v_ldexp_f32 v42, v42, v43
	s_nop 0
	v_cndmask_b32_e32 v42, 0, v42, vcc
	v_cmp_ngt_f32_e32 vcc, s37, v36
	s_nop 1
	v_cndmask_b32_e32 v36, v52, v42, vcc
	v_sub_f32_e32 v36, 1.0, v36
.LBB368_27:                             ;   in Loop: Header=BB368_9 Depth=1
	s_andn2_saveexec_b64 s[14:15], s[14:15]
; %bb.28:                               ;   in Loop: Header=BB368_9 Depth=1
	v_mul_f32_e32 v36, v33, v33
	v_fmamk_f32 v42, v36, 0xba1345e1, v50
	v_fmaak_f32 v42, v36, v42, 0xbcdac9b8
	v_fmaak_f32 v42, v36, v42, 0x3de703be
	;; [unrolled: 1-line block ×4, first 2 shown]
	v_fma_f32 v36, |v33|, v36, |v33|
; %bb.29:                               ;   in Loop: Header=BB368_9 Depth=1
	s_or_b64 exec, exec, s[14:15]
	v_cvt_f32_f16_sdwa v34, v34 dst_sel:DWORD dst_unused:UNUSED_PAD src0_sel:WORD_1
                                        ; implicit-def: $vgpr42
	v_add_f32_e32 v34, v37, v34
	v_mul_f32_e32 v37, 0x3f3504f3, v34
	v_cmp_nlt_f32_e64 s[14:15], |v37|, 1.0
	s_and_saveexec_b64 s[40:41], s[14:15]
	s_xor_b64 s[14:15], exec, s[40:41]
	s_cbranch_execz .LBB368_31
; %bb.30:                               ;   in Loop: Header=BB368_9 Depth=1
	v_fma_f32 v42, |v37|, s28, v51
	v_fma_f32 v42, |v37|, v42, s29
	;; [unrolled: 1-line block ×6, first 2 shown]
	v_fma_f32 v42, |v37|, v42, |v37|
	v_mul_f32_e32 v43, 0xbfb8aa3b, v42
	v_fma_f32 v44, v42, s35, -v43
	v_rndne_f32_e32 v45, v43
	v_fmac_f32_e32 v44, 0xb2a5705f, v42
	v_sub_f32_e32 v43, v43, v45
	v_add_f32_e32 v43, v43, v44
	v_cvt_i32_f32_e32 v44, v45
	v_exp_f32_e32 v43, v43
	v_cmp_nlt_f32_e32 vcc, s36, v42
	v_ldexp_f32 v43, v43, v44
	s_nop 0
	v_cndmask_b32_e32 v43, 0, v43, vcc
	v_cmp_ngt_f32_e32 vcc, s37, v42
	s_nop 1
	v_cndmask_b32_e32 v42, v52, v43, vcc
	v_sub_f32_e32 v42, 1.0, v42
.LBB368_31:                             ;   in Loop: Header=BB368_9 Depth=1
	s_andn2_saveexec_b64 s[14:15], s[14:15]
; %bb.32:                               ;   in Loop: Header=BB368_9 Depth=1
	v_mul_f32_e32 v42, v37, v37
	v_fmamk_f32 v43, v42, 0xba1345e1, v50
	v_fmaak_f32 v43, v42, v43, 0xbcdac9b8
	v_fmaak_f32 v43, v42, v43, 0x3de703be
	;; [unrolled: 1-line block ×4, first 2 shown]
	v_fma_f32 v42, |v37|, v42, |v37|
; %bb.33:                               ;   in Loop: Header=BB368_9 Depth=1
	s_or_b64 exec, exec, s[14:15]
	v_bfi_b32 v33, s38, v36, v33
	v_cvt_f32_f16_sdwa v36, v26 dst_sel:DWORD dst_unused:UNUSED_PAD src0_sel:WORD_1
	v_cvt_f32_f16_e32 v26, v26
	v_mul_f32_e32 v32, 0.5, v32
	v_add_f32_e32 v33, 1.0, v33
	v_mul_f32_e32 v32, v32, v33
	s_waitcnt vmcnt(2)
	v_add_f32_e32 v28, v28, v26
	v_mul_f32_e32 v26, 0.5, v34
	v_cvt_f32_f16_e32 v34, v35
	v_bfi_b32 v33, s38, v42, v37
	v_add_f32_e32 v33, 1.0, v33
	v_add_f32_e32 v29, v29, v36
	v_mul_f32_e32 v33, v26, v33
	v_add_f32_e32 v26, v38, v34
	;;#ASMSTART
	v_pk_mul_f32 v[28:29], v[32:33], v[28:29]
	;;#ASMEND
	v_mul_f32_e32 v32, 0x3f3504f3, v26
	v_cmp_nlt_f32_e64 s[14:15], |v32|, 1.0
                                        ; implicit-def: $vgpr33
	s_and_saveexec_b64 s[40:41], s[14:15]
	s_xor_b64 s[14:15], exec, s[40:41]
	s_cbranch_execz .LBB368_35
; %bb.34:                               ;   in Loop: Header=BB368_9 Depth=1
	v_fma_f32 v33, |v32|, s28, v51
	v_fma_f32 v33, |v32|, v33, s29
	;; [unrolled: 1-line block ×6, first 2 shown]
	v_fma_f32 v33, |v32|, v33, |v32|
	v_mul_f32_e32 v34, 0xbfb8aa3b, v33
	v_fma_f32 v36, v33, s35, -v34
	v_rndne_f32_e32 v37, v34
	v_fmac_f32_e32 v36, 0xb2a5705f, v33
	v_sub_f32_e32 v34, v34, v37
	v_add_f32_e32 v34, v34, v36
	v_cvt_i32_f32_e32 v36, v37
	v_exp_f32_e32 v34, v34
	v_cmp_nlt_f32_e32 vcc, s36, v33
	v_ldexp_f32 v34, v34, v36
	s_nop 0
	v_cndmask_b32_e32 v34, 0, v34, vcc
	v_cmp_ngt_f32_e32 vcc, s37, v33
	s_nop 1
	v_cndmask_b32_e32 v33, v52, v34, vcc
	v_sub_f32_e32 v33, 1.0, v33
.LBB368_35:                             ;   in Loop: Header=BB368_9 Depth=1
	s_andn2_saveexec_b64 s[14:15], s[14:15]
; %bb.36:                               ;   in Loop: Header=BB368_9 Depth=1
	v_mul_f32_e32 v33, v32, v32
	v_fmamk_f32 v34, v33, 0xba1345e1, v50
	v_fmaak_f32 v34, v33, v34, 0xbcdac9b8
	v_fmaak_f32 v34, v33, v34, 0x3de703be
	;; [unrolled: 1-line block ×4, first 2 shown]
	v_fma_f32 v33, |v32|, v33, |v32|
; %bb.37:                               ;   in Loop: Header=BB368_9 Depth=1
	s_or_b64 exec, exec, s[14:15]
	v_cvt_f32_f16_sdwa v34, v35 dst_sel:DWORD dst_unused:UNUSED_PAD src0_sel:WORD_1
                                        ; implicit-def: $vgpr36
	v_add_f32_e32 v34, v39, v34
	v_mul_f32_e32 v35, 0x3f3504f3, v34
	v_cmp_nlt_f32_e64 s[14:15], |v35|, 1.0
	s_and_saveexec_b64 s[40:41], s[14:15]
	s_xor_b64 s[14:15], exec, s[40:41]
	s_cbranch_execz .LBB368_39
; %bb.38:                               ;   in Loop: Header=BB368_9 Depth=1
	v_fma_f32 v36, |v35|, s28, v51
	v_fma_f32 v36, |v35|, v36, s29
	;; [unrolled: 1-line block ×6, first 2 shown]
	v_fma_f32 v36, |v35|, v36, |v35|
	v_mul_f32_e32 v37, 0xbfb8aa3b, v36
	v_fma_f32 v38, v36, s35, -v37
	v_rndne_f32_e32 v39, v37
	v_fmac_f32_e32 v38, 0xb2a5705f, v36
	v_sub_f32_e32 v37, v37, v39
	v_add_f32_e32 v37, v37, v38
	v_cvt_i32_f32_e32 v38, v39
	v_exp_f32_e32 v37, v37
	v_cmp_nlt_f32_e32 vcc, s36, v36
	v_ldexp_f32 v37, v37, v38
	s_nop 0
	v_cndmask_b32_e32 v37, 0, v37, vcc
	v_cmp_ngt_f32_e32 vcc, s37, v36
	s_nop 1
	v_cndmask_b32_e32 v36, v52, v37, vcc
	v_sub_f32_e32 v36, 1.0, v36
.LBB368_39:                             ;   in Loop: Header=BB368_9 Depth=1
	s_andn2_saveexec_b64 s[14:15], s[14:15]
; %bb.40:                               ;   in Loop: Header=BB368_9 Depth=1
	v_mul_f32_e32 v36, v35, v35
	v_fmamk_f32 v37, v36, 0xba1345e1, v50
	v_fmaak_f32 v37, v36, v37, 0xbcdac9b8
	v_fmaak_f32 v37, v36, v37, 0x3de703be
	;; [unrolled: 1-line block ×4, first 2 shown]
	v_fma_f32 v36, |v35|, v36, |v35|
; %bb.41:                               ;   in Loop: Header=BB368_9 Depth=1
	s_or_b64 exec, exec, s[14:15]
	v_bfi_b32 v32, s38, v33, v32
	v_cvt_f32_f16_sdwa v33, v27 dst_sel:DWORD dst_unused:UNUSED_PAD src0_sel:WORD_1
	v_cvt_f32_f16_e32 v27, v27
	v_mul_f32_e32 v26, 0.5, v26
	v_add_f32_e32 v32, 1.0, v32
	v_add_f32_e32 v31, v31, v33
	v_cvt_f32_f16_e32 v33, v8
	v_mul_f32_e32 v26, v26, v32
	v_bfi_b32 v32, s38, v36, v35
	v_add_f32_e32 v30, v30, v27
	v_mul_f32_e32 v27, 0.5, v34
	v_add_f32_e32 v32, 1.0, v32
	v_mul_f32_e32 v27, v27, v32
	v_add_f32_e32 v20, v20, v33
	;;#ASMSTART
	v_pk_mul_f32 v[26:27], v[26:27], v[30:31]
	;;#ASMEND
	v_mul_f32_e32 v30, 0x3f3504f3, v20
	v_cmp_nlt_f32_e64 s[14:15], |v30|, 1.0
                                        ; implicit-def: $vgpr31
	s_and_saveexec_b64 s[40:41], s[14:15]
	s_xor_b64 s[14:15], exec, s[40:41]
	s_cbranch_execz .LBB368_43
; %bb.42:                               ;   in Loop: Header=BB368_9 Depth=1
	v_fma_f32 v31, |v30|, s28, v51
	v_fma_f32 v31, |v30|, v31, s29
	;; [unrolled: 1-line block ×6, first 2 shown]
	v_fma_f32 v31, |v30|, v31, |v30|
	v_mul_f32_e32 v32, 0xbfb8aa3b, v31
	v_fma_f32 v33, v31, s35, -v32
	v_rndne_f32_e32 v34, v32
	v_fmac_f32_e32 v33, 0xb2a5705f, v31
	v_sub_f32_e32 v32, v32, v34
	v_add_f32_e32 v32, v32, v33
	v_cvt_i32_f32_e32 v33, v34
	v_exp_f32_e32 v32, v32
	v_cmp_nlt_f32_e32 vcc, s36, v31
	v_ldexp_f32 v32, v32, v33
	s_nop 0
	v_cndmask_b32_e32 v32, 0, v32, vcc
	v_cmp_ngt_f32_e32 vcc, s37, v31
	s_nop 1
	v_cndmask_b32_e32 v31, v52, v32, vcc
	v_sub_f32_e32 v31, 1.0, v31
.LBB368_43:                             ;   in Loop: Header=BB368_9 Depth=1
	s_andn2_saveexec_b64 s[14:15], s[14:15]
; %bb.44:                               ;   in Loop: Header=BB368_9 Depth=1
	v_mul_f32_e32 v31, v30, v30
	v_fmamk_f32 v32, v31, 0xba1345e1, v50
	v_fmaak_f32 v32, v31, v32, 0xbcdac9b8
	v_fmaak_f32 v32, v31, v32, 0x3de703be
	;; [unrolled: 1-line block ×4, first 2 shown]
	v_fma_f32 v31, |v30|, v31, |v30|
; %bb.45:                               ;   in Loop: Header=BB368_9 Depth=1
	s_or_b64 exec, exec, s[14:15]
	v_cvt_f32_f16_sdwa v8, v8 dst_sel:DWORD dst_unused:UNUSED_PAD src0_sel:WORD_1
                                        ; implicit-def: $vgpr32
	v_add_f32_e32 v8, v21, v8
	v_mul_f32_e32 v21, 0x3f3504f3, v8
	v_cmp_nlt_f32_e64 s[14:15], |v21|, 1.0
	s_and_saveexec_b64 s[40:41], s[14:15]
	s_xor_b64 s[14:15], exec, s[40:41]
	s_cbranch_execz .LBB368_47
; %bb.46:                               ;   in Loop: Header=BB368_9 Depth=1
	v_fma_f32 v32, |v21|, s28, v51
	v_fma_f32 v32, |v21|, v32, s29
	;; [unrolled: 1-line block ×6, first 2 shown]
	v_fma_f32 v32, |v21|, v32, |v21|
	v_mul_f32_e32 v33, 0xbfb8aa3b, v32
	v_fma_f32 v34, v32, s35, -v33
	v_rndne_f32_e32 v35, v33
	v_fmac_f32_e32 v34, 0xb2a5705f, v32
	v_sub_f32_e32 v33, v33, v35
	v_add_f32_e32 v33, v33, v34
	v_cvt_i32_f32_e32 v34, v35
	v_exp_f32_e32 v33, v33
	v_cmp_nlt_f32_e32 vcc, s36, v32
	v_ldexp_f32 v33, v33, v34
	s_nop 0
	v_cndmask_b32_e32 v33, 0, v33, vcc
	v_cmp_ngt_f32_e32 vcc, s37, v32
	s_nop 1
	v_cndmask_b32_e32 v32, v52, v33, vcc
	v_sub_f32_e32 v32, 1.0, v32
.LBB368_47:                             ;   in Loop: Header=BB368_9 Depth=1
	s_andn2_saveexec_b64 s[14:15], s[14:15]
; %bb.48:                               ;   in Loop: Header=BB368_9 Depth=1
	v_mul_f32_e32 v32, v21, v21
	v_fmamk_f32 v33, v32, 0xba1345e1, v50
	v_fmaak_f32 v33, v32, v33, 0xbcdac9b8
	v_fmaak_f32 v33, v32, v33, 0x3de703be
	;; [unrolled: 1-line block ×4, first 2 shown]
	v_fma_f32 v32, |v21|, v32, |v21|
; %bb.49:                               ;   in Loop: Header=BB368_9 Depth=1
	s_or_b64 exec, exec, s[14:15]
	v_bfi_b32 v30, s38, v31, v30
	v_cvt_f32_f16_sdwa v31, v0 dst_sel:DWORD dst_unused:UNUSED_PAD src0_sel:WORD_1
	v_cvt_f32_f16_e32 v0, v0
	v_mul_f32_e32 v20, 0.5, v20
	v_add_f32_e32 v30, 1.0, v30
	v_mul_f32_e32 v20, v20, v30
	v_cvt_f32_f16_e32 v30, v9
	s_waitcnt vmcnt(1)
	v_add_f32_e32 v16, v16, v0
	v_mul_f32_e32 v0, 0.5, v8
	v_bfi_b32 v8, s38, v32, v21
	v_add_f32_e32 v8, 1.0, v8
	v_mul_f32_e32 v21, v0, v8
	v_add_f32_e32 v0, v22, v30
	v_mul_f32_e32 v8, 0x3f3504f3, v0
	v_add_f32_e32 v17, v17, v31
	v_cmp_nlt_f32_e64 s[14:15], |v8|, 1.0
	;;#ASMSTART
	v_pk_mul_f32 v[16:17], v[20:21], v[16:17]
	;;#ASMEND
                                        ; implicit-def: $vgpr20
	s_and_saveexec_b64 s[40:41], s[14:15]
	s_xor_b64 s[14:15], exec, s[40:41]
	s_cbranch_execz .LBB368_51
; %bb.50:                               ;   in Loop: Header=BB368_9 Depth=1
	v_fma_f32 v20, |v8|, s28, v51
	v_fma_f32 v20, |v8|, v20, s29
	;; [unrolled: 1-line block ×6, first 2 shown]
	v_fma_f32 v20, |v8|, v20, |v8|
	v_mul_f32_e32 v21, 0xbfb8aa3b, v20
	v_fma_f32 v22, v20, s35, -v21
	v_rndne_f32_e32 v30, v21
	v_fmac_f32_e32 v22, 0xb2a5705f, v20
	v_sub_f32_e32 v21, v21, v30
	v_add_f32_e32 v21, v21, v22
	v_cvt_i32_f32_e32 v22, v30
	v_exp_f32_e32 v21, v21
	v_cmp_nlt_f32_e32 vcc, s36, v20
	v_ldexp_f32 v21, v21, v22
	s_nop 0
	v_cndmask_b32_e32 v21, 0, v21, vcc
	v_cmp_ngt_f32_e32 vcc, s37, v20
	s_nop 1
	v_cndmask_b32_e32 v20, v52, v21, vcc
	v_sub_f32_e32 v20, 1.0, v20
.LBB368_51:                             ;   in Loop: Header=BB368_9 Depth=1
	s_andn2_saveexec_b64 s[14:15], s[14:15]
; %bb.52:                               ;   in Loop: Header=BB368_9 Depth=1
	v_mul_f32_e32 v20, v8, v8
	v_fmamk_f32 v21, v20, 0xba1345e1, v50
	v_fmaak_f32 v21, v20, v21, 0xbcdac9b8
	v_fmaak_f32 v21, v20, v21, 0x3de703be
	;; [unrolled: 1-line block ×4, first 2 shown]
	v_fma_f32 v20, |v8|, v20, |v8|
; %bb.53:                               ;   in Loop: Header=BB368_9 Depth=1
	s_or_b64 exec, exec, s[14:15]
	v_cvt_f32_f16_sdwa v9, v9 dst_sel:DWORD dst_unused:UNUSED_PAD src0_sel:WORD_1
                                        ; implicit-def: $vgpr22
	v_add_f32_e32 v9, v23, v9
	v_mul_f32_e32 v21, 0x3f3504f3, v9
	v_cmp_nlt_f32_e64 s[14:15], |v21|, 1.0
	s_and_saveexec_b64 s[40:41], s[14:15]
	s_xor_b64 s[14:15], exec, s[40:41]
	s_cbranch_execz .LBB368_55
; %bb.54:                               ;   in Loop: Header=BB368_9 Depth=1
	v_fma_f32 v22, |v21|, s28, v51
	v_fma_f32 v22, |v21|, v22, s29
	;; [unrolled: 1-line block ×6, first 2 shown]
	v_fma_f32 v22, |v21|, v22, |v21|
	v_mul_f32_e32 v23, 0xbfb8aa3b, v22
	v_fma_f32 v30, v22, s35, -v23
	v_rndne_f32_e32 v31, v23
	v_fmac_f32_e32 v30, 0xb2a5705f, v22
	v_sub_f32_e32 v23, v23, v31
	v_add_f32_e32 v23, v23, v30
	v_cvt_i32_f32_e32 v30, v31
	v_exp_f32_e32 v23, v23
	v_cmp_nlt_f32_e32 vcc, s36, v22
	v_ldexp_f32 v23, v23, v30
	s_nop 0
	v_cndmask_b32_e32 v23, 0, v23, vcc
	v_cmp_ngt_f32_e32 vcc, s37, v22
	s_nop 1
	v_cndmask_b32_e32 v22, v52, v23, vcc
	v_sub_f32_e32 v22, 1.0, v22
.LBB368_55:                             ;   in Loop: Header=BB368_9 Depth=1
	s_andn2_saveexec_b64 s[14:15], s[14:15]
; %bb.56:                               ;   in Loop: Header=BB368_9 Depth=1
	v_mul_f32_e32 v22, v21, v21
	v_fmamk_f32 v23, v22, 0xba1345e1, v50
	v_fmaak_f32 v23, v22, v23, 0xbcdac9b8
	v_fmaak_f32 v23, v22, v23, 0x3de703be
	;; [unrolled: 1-line block ×4, first 2 shown]
	v_fma_f32 v22, |v21|, v22, |v21|
; %bb.57:                               ;   in Loop: Header=BB368_9 Depth=1
	s_or_b64 exec, exec, s[14:15]
	v_bfi_b32 v8, s38, v20, v8
	v_cvt_f32_f16_sdwa v20, v1 dst_sel:DWORD dst_unused:UNUSED_PAD src0_sel:WORD_1
	v_cvt_f32_f16_e32 v1, v1
	v_mul_f32_e32 v0, 0.5, v0
	v_add_f32_e32 v8, 1.0, v8
	v_mul_f32_e32 v0, v0, v8
	v_add_f32_e32 v18, v18, v1
	v_mul_f32_e32 v1, 0.5, v9
	v_cvt_f32_f16_e32 v9, v10
	v_bfi_b32 v8, s38, v22, v21
	v_add_f32_e32 v8, 1.0, v8
	v_mul_f32_e32 v1, v1, v8
	v_add_f32_e32 v8, v12, v9
	v_mul_f32_e32 v9, 0x3f3504f3, v8
	v_cmp_nlt_f32_e64 s[14:15], |v9|, 1.0
	v_add_f32_e32 v19, v19, v20
	;;#ASMSTART
	v_pk_mul_f32 v[0:1], v[0:1], v[18:19]
	;;#ASMEND
                                        ; implicit-def: $vgpr12
	s_and_saveexec_b64 s[40:41], s[14:15]
	s_xor_b64 s[14:15], exec, s[40:41]
	s_cbranch_execz .LBB368_59
; %bb.58:                               ;   in Loop: Header=BB368_9 Depth=1
	v_fma_f32 v12, |v9|, s28, v51
	v_fma_f32 v12, |v9|, v12, s29
	;; [unrolled: 1-line block ×6, first 2 shown]
	v_fma_f32 v12, |v9|, v12, |v9|
	v_mul_f32_e32 v18, 0xbfb8aa3b, v12
	v_fma_f32 v19, v12, s35, -v18
	v_rndne_f32_e32 v20, v18
	v_fmac_f32_e32 v19, 0xb2a5705f, v12
	v_sub_f32_e32 v18, v18, v20
	v_add_f32_e32 v18, v18, v19
	v_cvt_i32_f32_e32 v19, v20
	v_exp_f32_e32 v18, v18
	v_cmp_nlt_f32_e32 vcc, s36, v12
	v_ldexp_f32 v18, v18, v19
	s_nop 0
	v_cndmask_b32_e32 v18, 0, v18, vcc
	v_cmp_ngt_f32_e32 vcc, s37, v12
	s_nop 1
	v_cndmask_b32_e32 v12, v52, v18, vcc
	v_sub_f32_e32 v12, 1.0, v12
.LBB368_59:                             ;   in Loop: Header=BB368_9 Depth=1
	s_andn2_saveexec_b64 s[14:15], s[14:15]
; %bb.60:                               ;   in Loop: Header=BB368_9 Depth=1
	v_mul_f32_e32 v12, v9, v9
	v_fmamk_f32 v18, v12, 0xba1345e1, v50
	v_fmaak_f32 v18, v12, v18, 0xbcdac9b8
	v_fmaak_f32 v18, v12, v18, 0x3de703be
	;; [unrolled: 1-line block ×4, first 2 shown]
	v_fma_f32 v12, |v9|, v12, |v9|
; %bb.61:                               ;   in Loop: Header=BB368_9 Depth=1
	s_or_b64 exec, exec, s[14:15]
	v_cvt_f32_f16_sdwa v10, v10 dst_sel:DWORD dst_unused:UNUSED_PAD src0_sel:WORD_1
                                        ; implicit-def: $vgpr18
	v_add_f32_e32 v10, v13, v10
	v_mul_f32_e32 v13, 0x3f3504f3, v10
	v_cmp_nlt_f32_e64 s[14:15], |v13|, 1.0
	s_and_saveexec_b64 s[40:41], s[14:15]
	s_xor_b64 s[14:15], exec, s[40:41]
	s_cbranch_execz .LBB368_63
; %bb.62:                               ;   in Loop: Header=BB368_9 Depth=1
	v_fma_f32 v18, |v13|, s28, v51
	v_fma_f32 v18, |v13|, v18, s29
	;; [unrolled: 1-line block ×6, first 2 shown]
	v_fma_f32 v18, |v13|, v18, |v13|
	v_mul_f32_e32 v19, 0xbfb8aa3b, v18
	v_fma_f32 v20, v18, s35, -v19
	v_rndne_f32_e32 v21, v19
	v_fmac_f32_e32 v20, 0xb2a5705f, v18
	v_sub_f32_e32 v19, v19, v21
	v_add_f32_e32 v19, v19, v20
	v_cvt_i32_f32_e32 v20, v21
	v_exp_f32_e32 v19, v19
	v_cmp_nlt_f32_e32 vcc, s36, v18
	v_ldexp_f32 v19, v19, v20
	s_nop 0
	v_cndmask_b32_e32 v19, 0, v19, vcc
	v_cmp_ngt_f32_e32 vcc, s37, v18
	s_nop 1
	v_cndmask_b32_e32 v18, v52, v19, vcc
	v_sub_f32_e32 v18, 1.0, v18
.LBB368_63:                             ;   in Loop: Header=BB368_9 Depth=1
	s_andn2_saveexec_b64 s[14:15], s[14:15]
; %bb.64:                               ;   in Loop: Header=BB368_9 Depth=1
	v_mul_f32_e32 v18, v13, v13
	v_fmamk_f32 v19, v18, 0xba1345e1, v50
	v_fmaak_f32 v19, v18, v19, 0xbcdac9b8
	v_fmaak_f32 v19, v18, v19, 0x3de703be
	;; [unrolled: 1-line block ×4, first 2 shown]
	v_fma_f32 v18, |v13|, v18, |v13|
; %bb.65:                               ;   in Loop: Header=BB368_9 Depth=1
	s_or_b64 exec, exec, s[14:15]
	v_bfi_b32 v9, s38, v12, v9
	v_cvt_f32_f16_sdwa v12, v2 dst_sel:DWORD dst_unused:UNUSED_PAD src0_sel:WORD_1
	v_cvt_f32_f16_e32 v2, v2
	v_mul_f32_e32 v8, 0.5, v8
	v_add_f32_e32 v9, 1.0, v9
	v_mul_f32_e32 v8, v8, v9
	s_waitcnt vmcnt(0)
	v_add_f32_e32 v4, v4, v2
	v_mul_f32_e32 v2, 0.5, v10
	v_cvt_f32_f16_e32 v10, v11
	v_bfi_b32 v9, s38, v18, v13
	v_add_f32_e32 v5, v5, v12
	v_add_f32_e32 v9, 1.0, v9
	v_mul_f32_e32 v9, v2, v9
	;;#ASMSTART
	v_pk_mul_f32 v[4:5], v[8:9], v[4:5]
	;;#ASMEND
	v_add_f32_e32 v8, v14, v10
	v_mul_f32_e32 v2, 0x3f3504f3, v8
	v_cmp_nlt_f32_e64 s[14:15], |v2|, 1.0
                                        ; implicit-def: $vgpr12
	s_and_saveexec_b64 s[40:41], s[14:15]
	s_xor_b64 s[14:15], exec, s[40:41]
	s_cbranch_execz .LBB368_67
; %bb.66:                               ;   in Loop: Header=BB368_9 Depth=1
	v_fma_f32 v9, |v2|, s28, v51
	v_fma_f32 v9, |v2|, v9, s29
	;; [unrolled: 1-line block ×6, first 2 shown]
	v_fma_f32 v9, |v2|, v9, |v2|
	v_mul_f32_e32 v10, 0xbfb8aa3b, v9
	v_fma_f32 v12, v9, s35, -v10
	v_rndne_f32_e32 v13, v10
	v_fmac_f32_e32 v12, 0xb2a5705f, v9
	v_sub_f32_e32 v10, v10, v13
	v_add_f32_e32 v10, v10, v12
	v_cvt_i32_f32_e32 v12, v13
	v_exp_f32_e32 v10, v10
	v_cmp_nlt_f32_e32 vcc, s36, v9
	v_ldexp_f32 v10, v10, v12
	s_nop 0
	v_cndmask_b32_e32 v10, 0, v10, vcc
	v_cmp_ngt_f32_e32 vcc, s37, v9
	s_nop 1
	v_cndmask_b32_e32 v9, v52, v10, vcc
	v_sub_f32_e32 v12, 1.0, v9
.LBB368_67:                             ;   in Loop: Header=BB368_9 Depth=1
	s_andn2_saveexec_b64 s[14:15], s[14:15]
; %bb.68:                               ;   in Loop: Header=BB368_9 Depth=1
	v_mul_f32_e32 v9, v2, v2
	v_fmamk_f32 v10, v9, 0xba1345e1, v50
	v_fmaak_f32 v10, v9, v10, 0xbcdac9b8
	v_fmaak_f32 v10, v9, v10, 0x3de703be
	v_fmaak_f32 v10, v9, v10, 0xbec09330
	v_fmaak_f32 v9, v9, v10, 0x3e0375d0
	v_fma_f32 v12, |v2|, v9, |v2|
; %bb.69:                               ;   in Loop: Header=BB368_9 Depth=1
	s_or_b64 exec, exec, s[14:15]
	v_cvt_f32_f16_sdwa v9, v11 dst_sel:DWORD dst_unused:UNUSED_PAD src0_sel:WORD_1
                                        ; implicit-def: $vgpr11
	v_add_f32_e32 v9, v15, v9
	v_mul_f32_e32 v10, 0x3f3504f3, v9
	v_cmp_nlt_f32_e64 s[14:15], |v10|, 1.0
	s_and_saveexec_b64 s[40:41], s[14:15]
	s_xor_b64 s[14:15], exec, s[40:41]
	s_cbranch_execz .LBB368_71
; %bb.70:                               ;   in Loop: Header=BB368_9 Depth=1
	v_fma_f32 v11, |v10|, s28, v51
	v_fma_f32 v11, |v10|, v11, s29
	;; [unrolled: 1-line block ×6, first 2 shown]
	v_fma_f32 v11, |v10|, v11, |v10|
	v_mul_f32_e32 v13, 0xbfb8aa3b, v11
	v_fma_f32 v14, v11, s35, -v13
	v_rndne_f32_e32 v15, v13
	v_fmac_f32_e32 v14, 0xb2a5705f, v11
	v_sub_f32_e32 v13, v13, v15
	v_add_f32_e32 v13, v13, v14
	v_cvt_i32_f32_e32 v14, v15
	v_exp_f32_e32 v13, v13
	v_cmp_nlt_f32_e32 vcc, s36, v11
	v_ldexp_f32 v13, v13, v14
	s_nop 0
	v_cndmask_b32_e32 v13, 0, v13, vcc
	v_cmp_ngt_f32_e32 vcc, s37, v11
	s_nop 1
	v_cndmask_b32_e32 v11, v52, v13, vcc
	v_sub_f32_e32 v11, 1.0, v11
.LBB368_71:                             ;   in Loop: Header=BB368_9 Depth=1
	s_andn2_saveexec_b64 s[14:15], s[14:15]
	s_cbranch_execz .LBB368_8
; %bb.72:                               ;   in Loop: Header=BB368_9 Depth=1
	v_mul_f32_e32 v11, v10, v10
	v_fmamk_f32 v13, v11, 0xba1345e1, v50
	v_fmaak_f32 v13, v11, v13, 0xbcdac9b8
	v_fmaak_f32 v13, v11, v13, 0x3de703be
	;; [unrolled: 1-line block ×4, first 2 shown]
	v_fma_f32 v11, |v10|, v11, |v10|
	s_branch .LBB368_8
.LBB368_73:
	s_endpgm
	.section	.rodata,"a",@progbits
	.p2align	6, 0x0
	.amdhsa_kernel _ZN5aiter23act_and_mul_bias_kernelIDF16_DF16_hfTnPFfRKT2_EXadL_ZNS_11gelu_kernelIfEEfRKT_EELi16EEEvPT0_PS8_PKT1_PS2_il
		.amdhsa_group_segment_fixed_size 0
		.amdhsa_private_segment_fixed_size 0
		.amdhsa_kernarg_size 304
		.amdhsa_user_sgpr_count 2
		.amdhsa_user_sgpr_dispatch_ptr 0
		.amdhsa_user_sgpr_queue_ptr 0
		.amdhsa_user_sgpr_kernarg_segment_ptr 1
		.amdhsa_user_sgpr_dispatch_id 0
		.amdhsa_user_sgpr_kernarg_preload_length 0
		.amdhsa_user_sgpr_kernarg_preload_offset 0
		.amdhsa_user_sgpr_private_segment_size 0
		.amdhsa_uses_dynamic_stack 0
		.amdhsa_enable_private_segment 0
		.amdhsa_system_sgpr_workgroup_id_x 1
		.amdhsa_system_sgpr_workgroup_id_y 0
		.amdhsa_system_sgpr_workgroup_id_z 0
		.amdhsa_system_sgpr_workgroup_info 0
		.amdhsa_system_vgpr_workitem_id 0
		.amdhsa_next_free_vgpr 60
		.amdhsa_next_free_sgpr 42
		.amdhsa_accum_offset 60
		.amdhsa_reserve_vcc 1
		.amdhsa_float_round_mode_32 0
		.amdhsa_float_round_mode_16_64 0
		.amdhsa_float_denorm_mode_32 3
		.amdhsa_float_denorm_mode_16_64 3
		.amdhsa_dx10_clamp 1
		.amdhsa_ieee_mode 1
		.amdhsa_fp16_overflow 0
		.amdhsa_tg_split 0
		.amdhsa_exception_fp_ieee_invalid_op 0
		.amdhsa_exception_fp_denorm_src 0
		.amdhsa_exception_fp_ieee_div_zero 0
		.amdhsa_exception_fp_ieee_overflow 0
		.amdhsa_exception_fp_ieee_underflow 0
		.amdhsa_exception_fp_ieee_inexact 0
		.amdhsa_exception_int_div_zero 0
	.end_amdhsa_kernel
	.section	.text._ZN5aiter23act_and_mul_bias_kernelIDF16_DF16_hfTnPFfRKT2_EXadL_ZNS_11gelu_kernelIfEEfRKT_EELi16EEEvPT0_PS8_PKT1_PS2_il,"axG",@progbits,_ZN5aiter23act_and_mul_bias_kernelIDF16_DF16_hfTnPFfRKT2_EXadL_ZNS_11gelu_kernelIfEEfRKT_EELi16EEEvPT0_PS8_PKT1_PS2_il,comdat
.Lfunc_end368:
	.size	_ZN5aiter23act_and_mul_bias_kernelIDF16_DF16_hfTnPFfRKT2_EXadL_ZNS_11gelu_kernelIfEEfRKT_EELi16EEEvPT0_PS8_PKT1_PS2_il, .Lfunc_end368-_ZN5aiter23act_and_mul_bias_kernelIDF16_DF16_hfTnPFfRKT2_EXadL_ZNS_11gelu_kernelIfEEfRKT_EELi16EEEvPT0_PS8_PKT1_PS2_il
                                        ; -- End function
	.section	.AMDGPU.csdata,"",@progbits
; Kernel info:
; codeLenInByte = 5224
; NumSgprs: 48
; NumVgprs: 60
; NumAgprs: 0
; TotalNumVgprs: 60
; ScratchSize: 0
; MemoryBound: 0
; FloatMode: 240
; IeeeMode: 1
; LDSByteSize: 0 bytes/workgroup (compile time only)
; SGPRBlocks: 5
; VGPRBlocks: 7
; NumSGPRsForWavesPerEU: 48
; NumVGPRsForWavesPerEU: 60
; AccumOffset: 60
; Occupancy: 8
; WaveLimiterHint : 0
; COMPUTE_PGM_RSRC2:SCRATCH_EN: 0
; COMPUTE_PGM_RSRC2:USER_SGPR: 2
; COMPUTE_PGM_RSRC2:TRAP_HANDLER: 0
; COMPUTE_PGM_RSRC2:TGID_X_EN: 1
; COMPUTE_PGM_RSRC2:TGID_Y_EN: 0
; COMPUTE_PGM_RSRC2:TGID_Z_EN: 0
; COMPUTE_PGM_RSRC2:TIDIG_COMP_CNT: 0
; COMPUTE_PGM_RSRC3_GFX90A:ACCUM_OFFSET: 14
; COMPUTE_PGM_RSRC3_GFX90A:TG_SPLIT: 0
	.section	.text._ZN5aiter23act_and_mul_bias_kernelIDF16_DF16_hfTnPFfRKT2_EXadL_ZNS_11gelu_kernelIfEEfRKT_EELi8EEEvPT0_PS8_PKT1_PS2_il,"axG",@progbits,_ZN5aiter23act_and_mul_bias_kernelIDF16_DF16_hfTnPFfRKT2_EXadL_ZNS_11gelu_kernelIfEEfRKT_EELi8EEEvPT0_PS8_PKT1_PS2_il,comdat
	.protected	_ZN5aiter23act_and_mul_bias_kernelIDF16_DF16_hfTnPFfRKT2_EXadL_ZNS_11gelu_kernelIfEEfRKT_EELi8EEEvPT0_PS8_PKT1_PS2_il ; -- Begin function _ZN5aiter23act_and_mul_bias_kernelIDF16_DF16_hfTnPFfRKT2_EXadL_ZNS_11gelu_kernelIfEEfRKT_EELi8EEEvPT0_PS8_PKT1_PS2_il
	.globl	_ZN5aiter23act_and_mul_bias_kernelIDF16_DF16_hfTnPFfRKT2_EXadL_ZNS_11gelu_kernelIfEEfRKT_EELi8EEEvPT0_PS8_PKT1_PS2_il
	.p2align	8
	.type	_ZN5aiter23act_and_mul_bias_kernelIDF16_DF16_hfTnPFfRKT2_EXadL_ZNS_11gelu_kernelIfEEfRKT_EELi8EEEvPT0_PS8_PKT1_PS2_il,@function
_ZN5aiter23act_and_mul_bias_kernelIDF16_DF16_hfTnPFfRKT2_EXadL_ZNS_11gelu_kernelIfEEfRKT_EELi8EEEvPT0_PS8_PKT1_PS2_il: ; @_ZN5aiter23act_and_mul_bias_kernelIDF16_DF16_hfTnPFfRKT2_EXadL_ZNS_11gelu_kernelIfEEfRKT_EELi8EEEvPT0_PS8_PKT1_PS2_il
; %bb.0:
	s_load_dwordx2 s[4:5], s[0:1], 0x10
	s_load_dword s24, s[0:1], 0x20
	s_load_dwordx2 s[6:7], s[0:1], 0x28
	v_mov_b32_e32 v1, s2
	s_mov_b32 s9, 0
	s_waitcnt lgkmcnt(0)
	global_load_ubyte v1, v1, s[4:5]
	s_add_i32 s3, s24, 1
	s_load_dwordx2 s[4:5], s[0:1], 0x0
	v_mov_b64_e32 v[2:3], s[6:7]
	s_lshr_b32 s6, s3, 31
	s_ashr_i32 s25, s24, 31
	s_add_i32 s3, s3, s6
	s_mul_hi_u32 s8, s24, s2
	s_mul_i32 s7, s25, s2
	s_lshl_b32 s3, s3, 1
	s_mul_i32 s12, s24, s2
	s_add_i32 s13, s8, s7
	s_and_b32 s6, s3, -4
	s_lshl_b64 s[12:13], s[12:13], 1
	s_mov_b64 s[10:11], -1
	v_lshlrev_b32_e32 v24, 3, v0
	s_waitcnt vmcnt(0)
	v_readfirstlane_b32 s3, v1
	s_and_b32 s8, s3, 0xffff
	s_waitcnt lgkmcnt(0)
	s_add_u32 s4, s4, s12
	v_cmp_lt_i64_e32 vcc, s[8:9], v[2:3]
	s_addc_u32 s3, s5, s13
	s_and_b32 s5, s3, 0xffff
	s_cbranch_vccnz .LBB369_5
; %bb.1:
	v_cmp_gt_i32_e32 vcc, s24, v24
	s_and_saveexec_b64 s[10:11], vcc
	s_cbranch_execz .LBB369_4
; %bb.2:
	s_load_dword s3, s[0:1], 0x3c
	v_mov_b32_e32 v25, 0
	s_mov_b32 s13, 0
	v_lshlrev_b32_e32 v6, 4, v0
	s_mov_b64 s[14:15], 0
	s_waitcnt lgkmcnt(0)
	s_and_b32 s3, s3, 0xffff
	s_lshl_b32 s12, s3, 3
	s_lshl_b32 s3, s3, 4
	s_mov_b32 s7, 0x20000
	v_mov_b32_e32 v0, v25
	v_mov_b32_e32 v1, v25
	;; [unrolled: 1-line block ×4, first 2 shown]
	v_mov_b64_e32 v[4:5], v[24:25]
.LBB369_3:                              ; =>This Inner Loop Header: Depth=1
	v_lshl_add_u64 v[4:5], s[12:13], 0, v[4:5]
	v_cmp_le_i64_e32 vcc, s[24:25], v[4:5]
	buffer_store_dwordx4 v[0:3], v6, s[4:7], 0 offen
	s_or_b64 s[14:15], vcc, s[14:15]
	v_add_u32_e32 v6, s3, v6
	s_andn2_b64 exec, exec, s[14:15]
	s_cbranch_execnz .LBB369_3
.LBB369_4:
	s_or_b64 exec, exec, s[10:11]
	s_mov_b64 s[10:11], 0
.LBB369_5:
	s_andn2_b64 vcc, exec, s[10:11]
	s_cbranch_vccnz .LBB369_41
; %bb.6:
	v_cmp_gt_i32_e32 vcc, s24, v24
	s_and_saveexec_b64 s[10:11], vcc
	s_cbranch_execz .LBB369_41
; %bb.7:
	s_load_dwordx2 s[10:11], s[0:1], 0x18
	s_load_dwordx2 s[14:15], s[0:1], 0x8
	s_mul_hi_i32 s9, s24, s8
	s_mul_i32 s8, s24, s8
	s_lshl_b64 s[8:9], s[8:9], 3
	s_waitcnt lgkmcnt(0)
	s_add_u32 s8, s10, s8
	s_addc_u32 s3, s11, s9
	s_lshl_b64 s[10:11], s[24:25], 2
	s_add_u32 s12, s8, s10
	s_addc_u32 s13, s3, s11
	s_and_b32 s9, s3, 0xffff
	s_mul_i32 s3, s2, s25
	s_mul_hi_u32 s16, s2, s24
	s_add_i32 s3, s16, s3
	s_mul_i32 s2, s2, s24
	s_lshl_b32 s10, s24, 2
	s_and_b32 s13, s13, 0xffff
	s_lshl_b64 s[2:3], s[2:3], 2
	s_add_u32 s16, s14, s2
	s_addc_u32 s14, s15, s3
	s_lshl_b64 s[2:3], s[24:25], 1
	s_add_u32 s20, s16, s2
	s_addc_u32 s2, s14, s3
	s_and_b32 s17, s14, 0xffff
	s_and_b32 s21, s2, 0xffff
	s_mov_b32 s7, 0x20000
	s_add_u32 s0, s0, 48
	s_mov_b32 s11, s7
	s_mov_b64 s[22:23], s[6:7]
	v_mov_b32_e32 v25, 0
	s_addc_u32 s1, s1, 0
	s_mov_b64 s[2:3], 0
	s_mov_b32 s18, s6
	s_mov_b32 s19, s7
	;; [unrolled: 1-line block ×12, first 2 shown]
	v_mov_b32_e32 v26, 0x3ba10414
	s_brev_b32 s38, -2
	v_mov_b32_e32 v27, 0xb9c68948
	v_mov_b32_e32 v28, 0x7f800000
                                        ; implicit-def: $vgpr0
                                        ; implicit-def: $vgpr0
	;; [unrolled: 1-line block ×4, first 2 shown]
	s_branch .LBB369_9
.LBB369_8:                              ;   in Loop: Header=BB369_9 Depth=1
	s_or_b64 exec, exec, s[14:15]
	v_cvt_f32_f16_sdwa v13, v3 dst_sel:DWORD dst_unused:UNUSED_PAD src0_sel:WORD_1
	v_cvt_f32_f16_e32 v3, v3
	v_bfi_b32 v2, s38, v9, v2
	v_mul_f32_e32 v8, 0.5, v8
	v_add_f32_e32 v2, 1.0, v2
	v_add_f32_e32 v6, v6, v3
	v_mul_f32_e32 v3, 0.5, v10
	v_bfi_b32 v10, s38, v12, v11
	v_add_f32_e32 v10, 1.0, v10
	v_mul_f32_e32 v2, v8, v2
	v_mul_f32_e32 v3, v3, v10
	v_add_f32_e32 v7, v7, v13
	;;#ASMSTART
	v_pk_mul_f32 v[2:3], v[2:3], v[6:7]
	;;#ASMEND
	s_load_dword s14, s[0:1], 0xc
	v_cvt_f16_f32_e32 v8, v16
	v_cvt_f16_f32_e32 v9, v17
	v_cvt_f16_f32_e32 v0, v0
	v_cvt_f16_f32_e32 v4, v4
	v_cvt_f16_f32_e32 v2, v2
	v_cvt_f16_f32_e32 v3, v3
	v_cvt_f16_f32_e32 v5, v5
	v_cvt_f16_f32_e32 v1, v1
	s_waitcnt lgkmcnt(0)
	s_and_b32 s14, s14, 0xffff
	s_lshl_b32 s26, s14, 3
	v_lshl_add_u64 v[24:25], s[26:27], 0, v[24:25]
	v_cmp_le_i64_e32 vcc, s[24:25], v[24:25]
	v_pack_b32_f16 v3, v2, v3
	v_pack_b32_f16 v2, v4, v5
	;; [unrolled: 1-line block ×4, first 2 shown]
	s_or_b64 s[2:3], vcc, s[2:3]
	buffer_store_dwordx4 v[0:3], v29, s[4:7], 0 offen
	s_andn2_b64 exec, exec, s[2:3]
	s_cbranch_execz .LBB369_41
.LBB369_9:                              ; =>This Inner Loop Header: Depth=1
	v_lshlrev_b32_e32 v29, 1, v24
	buffer_load_dwordx4 v[8:11], v29, s[16:19], 0 offen
	buffer_load_dwordx4 v[0:3], v29, s[20:23], 0 offen
	v_lshlrev_b32_e32 v30, 2, v24
	buffer_load_dwordx4 v[20:23], v30, s[8:11], 0 offen
	buffer_load_dwordx4 v[12:15], v30, s[8:11], 16 offen
	s_mov_b32 s14, s10
	s_mov_b32 s15, s11
	buffer_load_dwordx4 v[16:19], v30, s[12:15], 0 offen
	buffer_load_dwordx4 v[4:7], v30, s[12:15], 16 offen
                                        ; implicit-def: $vgpr31
	s_waitcnt vmcnt(5)
	v_cvt_f32_f16_e32 v30, v8
	s_waitcnt vmcnt(3)
	v_add_f32_e32 v20, v20, v30
	v_mul_f32_e32 v30, 0x3f3504f3, v20
	v_cmp_nlt_f32_e64 s[14:15], |v30|, 1.0
	s_and_saveexec_b64 s[40:41], s[14:15]
	s_xor_b64 s[14:15], exec, s[40:41]
	s_cbranch_execz .LBB369_11
; %bb.10:                               ;   in Loop: Header=BB369_9 Depth=1
	v_fma_f32 v31, |v30|, s28, v27
	v_fma_f32 v31, |v30|, v31, s29
	;; [unrolled: 1-line block ×6, first 2 shown]
	v_fma_f32 v31, |v30|, v31, |v30|
	v_mul_f32_e32 v32, 0xbfb8aa3b, v31
	v_fma_f32 v33, v31, s35, -v32
	v_rndne_f32_e32 v34, v32
	v_fmac_f32_e32 v33, 0xb2a5705f, v31
	v_sub_f32_e32 v32, v32, v34
	v_add_f32_e32 v32, v32, v33
	v_cvt_i32_f32_e32 v33, v34
	v_exp_f32_e32 v32, v32
	v_cmp_nlt_f32_e32 vcc, s36, v31
	v_ldexp_f32 v32, v32, v33
	s_nop 0
	v_cndmask_b32_e32 v32, 0, v32, vcc
	v_cmp_ngt_f32_e32 vcc, s37, v31
	s_nop 1
	v_cndmask_b32_e32 v31, v28, v32, vcc
	v_sub_f32_e32 v31, 1.0, v31
.LBB369_11:                             ;   in Loop: Header=BB369_9 Depth=1
	s_andn2_saveexec_b64 s[14:15], s[14:15]
; %bb.12:                               ;   in Loop: Header=BB369_9 Depth=1
	v_mul_f32_e32 v31, v30, v30
	v_fmamk_f32 v32, v31, 0xba1345e1, v26
	v_fmaak_f32 v32, v31, v32, 0xbcdac9b8
	v_fmaak_f32 v32, v31, v32, 0x3de703be
	;; [unrolled: 1-line block ×4, first 2 shown]
	v_fma_f32 v31, |v30|, v31, |v30|
; %bb.13:                               ;   in Loop: Header=BB369_9 Depth=1
	s_or_b64 exec, exec, s[14:15]
	v_cvt_f32_f16_sdwa v8, v8 dst_sel:DWORD dst_unused:UNUSED_PAD src0_sel:WORD_1
                                        ; implicit-def: $vgpr32
	v_add_f32_e32 v8, v21, v8
	v_mul_f32_e32 v21, 0x3f3504f3, v8
	v_cmp_nlt_f32_e64 s[14:15], |v21|, 1.0
	s_and_saveexec_b64 s[40:41], s[14:15]
	s_xor_b64 s[14:15], exec, s[40:41]
	s_cbranch_execz .LBB369_15
; %bb.14:                               ;   in Loop: Header=BB369_9 Depth=1
	v_fma_f32 v32, |v21|, s28, v27
	v_fma_f32 v32, |v21|, v32, s29
	;; [unrolled: 1-line block ×6, first 2 shown]
	v_fma_f32 v32, |v21|, v32, |v21|
	v_mul_f32_e32 v33, 0xbfb8aa3b, v32
	v_fma_f32 v34, v32, s35, -v33
	v_rndne_f32_e32 v35, v33
	v_fmac_f32_e32 v34, 0xb2a5705f, v32
	v_sub_f32_e32 v33, v33, v35
	v_add_f32_e32 v33, v33, v34
	v_cvt_i32_f32_e32 v34, v35
	v_exp_f32_e32 v33, v33
	v_cmp_nlt_f32_e32 vcc, s36, v32
	v_ldexp_f32 v33, v33, v34
	s_nop 0
	v_cndmask_b32_e32 v33, 0, v33, vcc
	v_cmp_ngt_f32_e32 vcc, s37, v32
	s_nop 1
	v_cndmask_b32_e32 v32, v28, v33, vcc
	v_sub_f32_e32 v32, 1.0, v32
.LBB369_15:                             ;   in Loop: Header=BB369_9 Depth=1
	s_andn2_saveexec_b64 s[14:15], s[14:15]
; %bb.16:                               ;   in Loop: Header=BB369_9 Depth=1
	v_mul_f32_e32 v32, v21, v21
	v_fmamk_f32 v33, v32, 0xba1345e1, v26
	v_fmaak_f32 v33, v32, v33, 0xbcdac9b8
	v_fmaak_f32 v33, v32, v33, 0x3de703be
	;; [unrolled: 1-line block ×4, first 2 shown]
	v_fma_f32 v32, |v21|, v32, |v21|
; %bb.17:                               ;   in Loop: Header=BB369_9 Depth=1
	s_or_b64 exec, exec, s[14:15]
	v_bfi_b32 v30, s38, v31, v30
	v_cvt_f32_f16_sdwa v31, v0 dst_sel:DWORD dst_unused:UNUSED_PAD src0_sel:WORD_1
	v_cvt_f32_f16_e32 v0, v0
	v_mul_f32_e32 v20, 0.5, v20
	v_add_f32_e32 v30, 1.0, v30
	v_mul_f32_e32 v20, v20, v30
	v_cvt_f32_f16_e32 v30, v9
	s_waitcnt vmcnt(1)
	v_add_f32_e32 v16, v16, v0
	v_mul_f32_e32 v0, 0.5, v8
	v_bfi_b32 v8, s38, v32, v21
	v_add_f32_e32 v8, 1.0, v8
	v_mul_f32_e32 v21, v0, v8
	v_add_f32_e32 v0, v22, v30
	v_mul_f32_e32 v8, 0x3f3504f3, v0
	v_add_f32_e32 v17, v17, v31
	v_cmp_nlt_f32_e64 s[14:15], |v8|, 1.0
	;;#ASMSTART
	v_pk_mul_f32 v[16:17], v[20:21], v[16:17]
	;;#ASMEND
                                        ; implicit-def: $vgpr20
	s_and_saveexec_b64 s[40:41], s[14:15]
	s_xor_b64 s[14:15], exec, s[40:41]
	s_cbranch_execz .LBB369_19
; %bb.18:                               ;   in Loop: Header=BB369_9 Depth=1
	v_fma_f32 v20, |v8|, s28, v27
	v_fma_f32 v20, |v8|, v20, s29
	;; [unrolled: 1-line block ×6, first 2 shown]
	v_fma_f32 v20, |v8|, v20, |v8|
	v_mul_f32_e32 v21, 0xbfb8aa3b, v20
	v_fma_f32 v22, v20, s35, -v21
	v_rndne_f32_e32 v30, v21
	v_fmac_f32_e32 v22, 0xb2a5705f, v20
	v_sub_f32_e32 v21, v21, v30
	v_add_f32_e32 v21, v21, v22
	v_cvt_i32_f32_e32 v22, v30
	v_exp_f32_e32 v21, v21
	v_cmp_nlt_f32_e32 vcc, s36, v20
	v_ldexp_f32 v21, v21, v22
	s_nop 0
	v_cndmask_b32_e32 v21, 0, v21, vcc
	v_cmp_ngt_f32_e32 vcc, s37, v20
	s_nop 1
	v_cndmask_b32_e32 v20, v28, v21, vcc
	v_sub_f32_e32 v20, 1.0, v20
.LBB369_19:                             ;   in Loop: Header=BB369_9 Depth=1
	s_andn2_saveexec_b64 s[14:15], s[14:15]
; %bb.20:                               ;   in Loop: Header=BB369_9 Depth=1
	v_mul_f32_e32 v20, v8, v8
	v_fmamk_f32 v21, v20, 0xba1345e1, v26
	v_fmaak_f32 v21, v20, v21, 0xbcdac9b8
	v_fmaak_f32 v21, v20, v21, 0x3de703be
	;; [unrolled: 1-line block ×4, first 2 shown]
	v_fma_f32 v20, |v8|, v20, |v8|
; %bb.21:                               ;   in Loop: Header=BB369_9 Depth=1
	s_or_b64 exec, exec, s[14:15]
	v_cvt_f32_f16_sdwa v9, v9 dst_sel:DWORD dst_unused:UNUSED_PAD src0_sel:WORD_1
                                        ; implicit-def: $vgpr22
	v_add_f32_e32 v9, v23, v9
	v_mul_f32_e32 v21, 0x3f3504f3, v9
	v_cmp_nlt_f32_e64 s[14:15], |v21|, 1.0
	s_and_saveexec_b64 s[40:41], s[14:15]
	s_xor_b64 s[14:15], exec, s[40:41]
	s_cbranch_execz .LBB369_23
; %bb.22:                               ;   in Loop: Header=BB369_9 Depth=1
	v_fma_f32 v22, |v21|, s28, v27
	v_fma_f32 v22, |v21|, v22, s29
	;; [unrolled: 1-line block ×6, first 2 shown]
	v_fma_f32 v22, |v21|, v22, |v21|
	v_mul_f32_e32 v23, 0xbfb8aa3b, v22
	v_fma_f32 v30, v22, s35, -v23
	v_rndne_f32_e32 v31, v23
	v_fmac_f32_e32 v30, 0xb2a5705f, v22
	v_sub_f32_e32 v23, v23, v31
	v_add_f32_e32 v23, v23, v30
	v_cvt_i32_f32_e32 v30, v31
	v_exp_f32_e32 v23, v23
	v_cmp_nlt_f32_e32 vcc, s36, v22
	v_ldexp_f32 v23, v23, v30
	s_nop 0
	v_cndmask_b32_e32 v23, 0, v23, vcc
	v_cmp_ngt_f32_e32 vcc, s37, v22
	s_nop 1
	v_cndmask_b32_e32 v22, v28, v23, vcc
	v_sub_f32_e32 v22, 1.0, v22
.LBB369_23:                             ;   in Loop: Header=BB369_9 Depth=1
	s_andn2_saveexec_b64 s[14:15], s[14:15]
; %bb.24:                               ;   in Loop: Header=BB369_9 Depth=1
	v_mul_f32_e32 v22, v21, v21
	v_fmamk_f32 v23, v22, 0xba1345e1, v26
	v_fmaak_f32 v23, v22, v23, 0xbcdac9b8
	v_fmaak_f32 v23, v22, v23, 0x3de703be
	;; [unrolled: 1-line block ×4, first 2 shown]
	v_fma_f32 v22, |v21|, v22, |v21|
; %bb.25:                               ;   in Loop: Header=BB369_9 Depth=1
	s_or_b64 exec, exec, s[14:15]
	v_bfi_b32 v8, s38, v20, v8
	v_cvt_f32_f16_sdwa v20, v1 dst_sel:DWORD dst_unused:UNUSED_PAD src0_sel:WORD_1
	v_cvt_f32_f16_e32 v1, v1
	v_mul_f32_e32 v0, 0.5, v0
	v_add_f32_e32 v8, 1.0, v8
	v_mul_f32_e32 v0, v0, v8
	v_add_f32_e32 v18, v18, v1
	v_mul_f32_e32 v1, 0.5, v9
	v_cvt_f32_f16_e32 v9, v10
	v_bfi_b32 v8, s38, v22, v21
	v_add_f32_e32 v8, 1.0, v8
	v_mul_f32_e32 v1, v1, v8
	v_add_f32_e32 v8, v12, v9
	v_mul_f32_e32 v9, 0x3f3504f3, v8
	v_cmp_nlt_f32_e64 s[14:15], |v9|, 1.0
	v_add_f32_e32 v19, v19, v20
	;;#ASMSTART
	v_pk_mul_f32 v[0:1], v[0:1], v[18:19]
	;;#ASMEND
                                        ; implicit-def: $vgpr12
	s_and_saveexec_b64 s[40:41], s[14:15]
	s_xor_b64 s[14:15], exec, s[40:41]
	s_cbranch_execz .LBB369_27
; %bb.26:                               ;   in Loop: Header=BB369_9 Depth=1
	v_fma_f32 v12, |v9|, s28, v27
	v_fma_f32 v12, |v9|, v12, s29
	;; [unrolled: 1-line block ×6, first 2 shown]
	v_fma_f32 v12, |v9|, v12, |v9|
	v_mul_f32_e32 v18, 0xbfb8aa3b, v12
	v_fma_f32 v19, v12, s35, -v18
	v_rndne_f32_e32 v20, v18
	v_fmac_f32_e32 v19, 0xb2a5705f, v12
	v_sub_f32_e32 v18, v18, v20
	v_add_f32_e32 v18, v18, v19
	v_cvt_i32_f32_e32 v19, v20
	v_exp_f32_e32 v18, v18
	v_cmp_nlt_f32_e32 vcc, s36, v12
	v_ldexp_f32 v18, v18, v19
	s_nop 0
	v_cndmask_b32_e32 v18, 0, v18, vcc
	v_cmp_ngt_f32_e32 vcc, s37, v12
	s_nop 1
	v_cndmask_b32_e32 v12, v28, v18, vcc
	v_sub_f32_e32 v12, 1.0, v12
.LBB369_27:                             ;   in Loop: Header=BB369_9 Depth=1
	s_andn2_saveexec_b64 s[14:15], s[14:15]
; %bb.28:                               ;   in Loop: Header=BB369_9 Depth=1
	v_mul_f32_e32 v12, v9, v9
	v_fmamk_f32 v18, v12, 0xba1345e1, v26
	v_fmaak_f32 v18, v12, v18, 0xbcdac9b8
	v_fmaak_f32 v18, v12, v18, 0x3de703be
	;; [unrolled: 1-line block ×4, first 2 shown]
	v_fma_f32 v12, |v9|, v12, |v9|
; %bb.29:                               ;   in Loop: Header=BB369_9 Depth=1
	s_or_b64 exec, exec, s[14:15]
	v_cvt_f32_f16_sdwa v10, v10 dst_sel:DWORD dst_unused:UNUSED_PAD src0_sel:WORD_1
                                        ; implicit-def: $vgpr18
	v_add_f32_e32 v10, v13, v10
	v_mul_f32_e32 v13, 0x3f3504f3, v10
	v_cmp_nlt_f32_e64 s[14:15], |v13|, 1.0
	s_and_saveexec_b64 s[40:41], s[14:15]
	s_xor_b64 s[14:15], exec, s[40:41]
	s_cbranch_execz .LBB369_31
; %bb.30:                               ;   in Loop: Header=BB369_9 Depth=1
	v_fma_f32 v18, |v13|, s28, v27
	v_fma_f32 v18, |v13|, v18, s29
	;; [unrolled: 1-line block ×6, first 2 shown]
	v_fma_f32 v18, |v13|, v18, |v13|
	v_mul_f32_e32 v19, 0xbfb8aa3b, v18
	v_fma_f32 v20, v18, s35, -v19
	v_rndne_f32_e32 v21, v19
	v_fmac_f32_e32 v20, 0xb2a5705f, v18
	v_sub_f32_e32 v19, v19, v21
	v_add_f32_e32 v19, v19, v20
	v_cvt_i32_f32_e32 v20, v21
	v_exp_f32_e32 v19, v19
	v_cmp_nlt_f32_e32 vcc, s36, v18
	v_ldexp_f32 v19, v19, v20
	s_nop 0
	v_cndmask_b32_e32 v19, 0, v19, vcc
	v_cmp_ngt_f32_e32 vcc, s37, v18
	s_nop 1
	v_cndmask_b32_e32 v18, v28, v19, vcc
	v_sub_f32_e32 v18, 1.0, v18
.LBB369_31:                             ;   in Loop: Header=BB369_9 Depth=1
	s_andn2_saveexec_b64 s[14:15], s[14:15]
; %bb.32:                               ;   in Loop: Header=BB369_9 Depth=1
	v_mul_f32_e32 v18, v13, v13
	v_fmamk_f32 v19, v18, 0xba1345e1, v26
	v_fmaak_f32 v19, v18, v19, 0xbcdac9b8
	v_fmaak_f32 v19, v18, v19, 0x3de703be
	;; [unrolled: 1-line block ×4, first 2 shown]
	v_fma_f32 v18, |v13|, v18, |v13|
; %bb.33:                               ;   in Loop: Header=BB369_9 Depth=1
	s_or_b64 exec, exec, s[14:15]
	v_bfi_b32 v9, s38, v12, v9
	v_cvt_f32_f16_sdwa v12, v2 dst_sel:DWORD dst_unused:UNUSED_PAD src0_sel:WORD_1
	v_cvt_f32_f16_e32 v2, v2
	v_mul_f32_e32 v8, 0.5, v8
	v_add_f32_e32 v9, 1.0, v9
	v_mul_f32_e32 v8, v8, v9
	s_waitcnt vmcnt(0)
	v_add_f32_e32 v4, v4, v2
	v_mul_f32_e32 v2, 0.5, v10
	v_cvt_f32_f16_e32 v10, v11
	v_bfi_b32 v9, s38, v18, v13
	v_add_f32_e32 v5, v5, v12
	v_add_f32_e32 v9, 1.0, v9
	v_mul_f32_e32 v9, v2, v9
	;;#ASMSTART
	v_pk_mul_f32 v[4:5], v[8:9], v[4:5]
	;;#ASMEND
	v_add_f32_e32 v8, v14, v10
	v_mul_f32_e32 v2, 0x3f3504f3, v8
	v_cmp_nlt_f32_e64 s[14:15], |v2|, 1.0
                                        ; implicit-def: $vgpr9
	s_and_saveexec_b64 s[40:41], s[14:15]
	s_xor_b64 s[14:15], exec, s[40:41]
	s_cbranch_execz .LBB369_35
; %bb.34:                               ;   in Loop: Header=BB369_9 Depth=1
	v_fma_f32 v9, |v2|, s28, v27
	v_fma_f32 v9, |v2|, v9, s29
	;; [unrolled: 1-line block ×6, first 2 shown]
	v_fma_f32 v9, |v2|, v9, |v2|
	v_mul_f32_e32 v10, 0xbfb8aa3b, v9
	v_fma_f32 v12, v9, s35, -v10
	v_rndne_f32_e32 v13, v10
	v_fmac_f32_e32 v12, 0xb2a5705f, v9
	v_sub_f32_e32 v10, v10, v13
	v_add_f32_e32 v10, v10, v12
	v_cvt_i32_f32_e32 v12, v13
	v_exp_f32_e32 v10, v10
	v_cmp_nlt_f32_e32 vcc, s36, v9
	v_ldexp_f32 v10, v10, v12
	s_nop 0
	v_cndmask_b32_e32 v10, 0, v10, vcc
	v_cmp_ngt_f32_e32 vcc, s37, v9
	s_nop 1
	v_cndmask_b32_e32 v9, v28, v10, vcc
	v_sub_f32_e32 v9, 1.0, v9
.LBB369_35:                             ;   in Loop: Header=BB369_9 Depth=1
	s_andn2_saveexec_b64 s[14:15], s[14:15]
; %bb.36:                               ;   in Loop: Header=BB369_9 Depth=1
	v_mul_f32_e32 v9, v2, v2
	v_fmamk_f32 v10, v9, 0xba1345e1, v26
	v_fmaak_f32 v10, v9, v10, 0xbcdac9b8
	v_fmaak_f32 v10, v9, v10, 0x3de703be
	;; [unrolled: 1-line block ×4, first 2 shown]
	v_fma_f32 v9, |v2|, v9, |v2|
; %bb.37:                               ;   in Loop: Header=BB369_9 Depth=1
	s_or_b64 exec, exec, s[14:15]
	v_cvt_f32_f16_sdwa v10, v11 dst_sel:DWORD dst_unused:UNUSED_PAD src0_sel:WORD_1
                                        ; implicit-def: $vgpr12
	v_add_f32_e32 v10, v15, v10
	v_mul_f32_e32 v11, 0x3f3504f3, v10
	v_cmp_nlt_f32_e64 s[14:15], |v11|, 1.0
	s_and_saveexec_b64 s[40:41], s[14:15]
	s_xor_b64 s[14:15], exec, s[40:41]
	s_cbranch_execz .LBB369_39
; %bb.38:                               ;   in Loop: Header=BB369_9 Depth=1
	v_fma_f32 v12, |v11|, s28, v27
	v_fma_f32 v12, |v11|, v12, s29
	;; [unrolled: 1-line block ×6, first 2 shown]
	v_fma_f32 v12, |v11|, v12, |v11|
	v_mul_f32_e32 v13, 0xbfb8aa3b, v12
	v_fma_f32 v14, v12, s35, -v13
	v_rndne_f32_e32 v15, v13
	v_fmac_f32_e32 v14, 0xb2a5705f, v12
	v_sub_f32_e32 v13, v13, v15
	v_add_f32_e32 v13, v13, v14
	v_cvt_i32_f32_e32 v14, v15
	v_exp_f32_e32 v13, v13
	v_cmp_nlt_f32_e32 vcc, s36, v12
	v_ldexp_f32 v13, v13, v14
	s_nop 0
	v_cndmask_b32_e32 v13, 0, v13, vcc
	v_cmp_ngt_f32_e32 vcc, s37, v12
	s_nop 1
	v_cndmask_b32_e32 v12, v28, v13, vcc
	v_sub_f32_e32 v12, 1.0, v12
.LBB369_39:                             ;   in Loop: Header=BB369_9 Depth=1
	s_andn2_saveexec_b64 s[14:15], s[14:15]
	s_cbranch_execz .LBB369_8
; %bb.40:                               ;   in Loop: Header=BB369_9 Depth=1
	v_mul_f32_e32 v12, v11, v11
	v_fmamk_f32 v13, v12, 0xba1345e1, v26
	v_fmaak_f32 v13, v12, v13, 0xbcdac9b8
	v_fmaak_f32 v13, v12, v13, 0x3de703be
	;; [unrolled: 1-line block ×4, first 2 shown]
	v_fma_f32 v12, |v11|, v12, |v11|
	s_branch .LBB369_8
.LBB369_41:
	s_endpgm
	.section	.rodata,"a",@progbits
	.p2align	6, 0x0
	.amdhsa_kernel _ZN5aiter23act_and_mul_bias_kernelIDF16_DF16_hfTnPFfRKT2_EXadL_ZNS_11gelu_kernelIfEEfRKT_EELi8EEEvPT0_PS8_PKT1_PS2_il
		.amdhsa_group_segment_fixed_size 0
		.amdhsa_private_segment_fixed_size 0
		.amdhsa_kernarg_size 304
		.amdhsa_user_sgpr_count 2
		.amdhsa_user_sgpr_dispatch_ptr 0
		.amdhsa_user_sgpr_queue_ptr 0
		.amdhsa_user_sgpr_kernarg_segment_ptr 1
		.amdhsa_user_sgpr_dispatch_id 0
		.amdhsa_user_sgpr_kernarg_preload_length 0
		.amdhsa_user_sgpr_kernarg_preload_offset 0
		.amdhsa_user_sgpr_private_segment_size 0
		.amdhsa_uses_dynamic_stack 0
		.amdhsa_enable_private_segment 0
		.amdhsa_system_sgpr_workgroup_id_x 1
		.amdhsa_system_sgpr_workgroup_id_y 0
		.amdhsa_system_sgpr_workgroup_id_z 0
		.amdhsa_system_sgpr_workgroup_info 0
		.amdhsa_system_vgpr_workitem_id 0
		.amdhsa_next_free_vgpr 36
		.amdhsa_next_free_sgpr 42
		.amdhsa_accum_offset 36
		.amdhsa_reserve_vcc 1
		.amdhsa_float_round_mode_32 0
		.amdhsa_float_round_mode_16_64 0
		.amdhsa_float_denorm_mode_32 3
		.amdhsa_float_denorm_mode_16_64 3
		.amdhsa_dx10_clamp 1
		.amdhsa_ieee_mode 1
		.amdhsa_fp16_overflow 0
		.amdhsa_tg_split 0
		.amdhsa_exception_fp_ieee_invalid_op 0
		.amdhsa_exception_fp_denorm_src 0
		.amdhsa_exception_fp_ieee_div_zero 0
		.amdhsa_exception_fp_ieee_overflow 0
		.amdhsa_exception_fp_ieee_underflow 0
		.amdhsa_exception_fp_ieee_inexact 0
		.amdhsa_exception_int_div_zero 0
	.end_amdhsa_kernel
	.section	.text._ZN5aiter23act_and_mul_bias_kernelIDF16_DF16_hfTnPFfRKT2_EXadL_ZNS_11gelu_kernelIfEEfRKT_EELi8EEEvPT0_PS8_PKT1_PS2_il,"axG",@progbits,_ZN5aiter23act_and_mul_bias_kernelIDF16_DF16_hfTnPFfRKT2_EXadL_ZNS_11gelu_kernelIfEEfRKT_EELi8EEEvPT0_PS8_PKT1_PS2_il,comdat
.Lfunc_end369:
	.size	_ZN5aiter23act_and_mul_bias_kernelIDF16_DF16_hfTnPFfRKT2_EXadL_ZNS_11gelu_kernelIfEEfRKT_EELi8EEEvPT0_PS8_PKT1_PS2_il, .Lfunc_end369-_ZN5aiter23act_and_mul_bias_kernelIDF16_DF16_hfTnPFfRKT2_EXadL_ZNS_11gelu_kernelIfEEfRKT_EELi8EEEvPT0_PS8_PKT1_PS2_il
                                        ; -- End function
	.section	.AMDGPU.csdata,"",@progbits
; Kernel info:
; codeLenInByte = 2932
; NumSgprs: 48
; NumVgprs: 36
; NumAgprs: 0
; TotalNumVgprs: 36
; ScratchSize: 0
; MemoryBound: 0
; FloatMode: 240
; IeeeMode: 1
; LDSByteSize: 0 bytes/workgroup (compile time only)
; SGPRBlocks: 5
; VGPRBlocks: 4
; NumSGPRsForWavesPerEU: 48
; NumVGPRsForWavesPerEU: 36
; AccumOffset: 36
; Occupancy: 8
; WaveLimiterHint : 0
; COMPUTE_PGM_RSRC2:SCRATCH_EN: 0
; COMPUTE_PGM_RSRC2:USER_SGPR: 2
; COMPUTE_PGM_RSRC2:TRAP_HANDLER: 0
; COMPUTE_PGM_RSRC2:TGID_X_EN: 1
; COMPUTE_PGM_RSRC2:TGID_Y_EN: 0
; COMPUTE_PGM_RSRC2:TGID_Z_EN: 0
; COMPUTE_PGM_RSRC2:TIDIG_COMP_CNT: 0
; COMPUTE_PGM_RSRC3_GFX90A:ACCUM_OFFSET: 8
; COMPUTE_PGM_RSRC3_GFX90A:TG_SPLIT: 0
	.section	.text._ZN5aiter23act_and_mul_bias_kernelIDF16_DF16_hfTnPFfRKT2_EXadL_ZNS_11gelu_kernelIfEEfRKT_EELi4EEEvPT0_PS8_PKT1_PS2_il,"axG",@progbits,_ZN5aiter23act_and_mul_bias_kernelIDF16_DF16_hfTnPFfRKT2_EXadL_ZNS_11gelu_kernelIfEEfRKT_EELi4EEEvPT0_PS8_PKT1_PS2_il,comdat
	.protected	_ZN5aiter23act_and_mul_bias_kernelIDF16_DF16_hfTnPFfRKT2_EXadL_ZNS_11gelu_kernelIfEEfRKT_EELi4EEEvPT0_PS8_PKT1_PS2_il ; -- Begin function _ZN5aiter23act_and_mul_bias_kernelIDF16_DF16_hfTnPFfRKT2_EXadL_ZNS_11gelu_kernelIfEEfRKT_EELi4EEEvPT0_PS8_PKT1_PS2_il
	.globl	_ZN5aiter23act_and_mul_bias_kernelIDF16_DF16_hfTnPFfRKT2_EXadL_ZNS_11gelu_kernelIfEEfRKT_EELi4EEEvPT0_PS8_PKT1_PS2_il
	.p2align	8
	.type	_ZN5aiter23act_and_mul_bias_kernelIDF16_DF16_hfTnPFfRKT2_EXadL_ZNS_11gelu_kernelIfEEfRKT_EELi4EEEvPT0_PS8_PKT1_PS2_il,@function
_ZN5aiter23act_and_mul_bias_kernelIDF16_DF16_hfTnPFfRKT2_EXadL_ZNS_11gelu_kernelIfEEfRKT_EELi4EEEvPT0_PS8_PKT1_PS2_il: ; @_ZN5aiter23act_and_mul_bias_kernelIDF16_DF16_hfTnPFfRKT2_EXadL_ZNS_11gelu_kernelIfEEfRKT_EELi4EEEvPT0_PS8_PKT1_PS2_il
; %bb.0:
	s_load_dwordx2 s[4:5], s[0:1], 0x10
	s_load_dword s24, s[0:1], 0x20
	s_load_dwordx2 s[6:7], s[0:1], 0x28
	v_mov_b32_e32 v1, s2
	s_mov_b32 s9, 0
	s_waitcnt lgkmcnt(0)
	global_load_ubyte v1, v1, s[4:5]
	s_add_i32 s3, s24, 1
	s_load_dwordx2 s[4:5], s[0:1], 0x0
	v_mov_b64_e32 v[2:3], s[6:7]
	s_lshr_b32 s6, s3, 31
	s_ashr_i32 s25, s24, 31
	s_add_i32 s3, s3, s6
	s_mul_hi_u32 s8, s24, s2
	s_mul_i32 s7, s25, s2
	s_lshl_b32 s3, s3, 1
	s_mul_i32 s12, s24, s2
	s_add_i32 s13, s8, s7
	s_and_b32 s6, s3, -4
	s_lshl_b64 s[12:13], s[12:13], 1
	s_mov_b64 s[10:11], -1
	v_lshlrev_b32_e32 v8, 2, v0
	s_waitcnt vmcnt(0)
	v_readfirstlane_b32 s3, v1
	s_and_b32 s8, s3, 0xffff
	s_waitcnt lgkmcnt(0)
	s_add_u32 s4, s4, s12
	v_cmp_lt_i64_e32 vcc, s[8:9], v[2:3]
	s_addc_u32 s3, s5, s13
	s_and_b32 s5, s3, 0xffff
	s_cbranch_vccnz .LBB370_5
; %bb.1:
	v_cmp_gt_i32_e32 vcc, s24, v8
	s_and_saveexec_b64 s[10:11], vcc
	s_cbranch_execz .LBB370_4
; %bb.2:
	s_load_dword s3, s[0:1], 0x3c
	v_mov_b32_e32 v9, 0
	s_mov_b32 s13, 0
	v_lshlrev_b32_e32 v4, 3, v0
	s_mov_b64 s[14:15], 0
	s_waitcnt lgkmcnt(0)
	s_and_b32 s3, s3, 0xffff
	s_lshl_b32 s12, s3, 2
	s_lshl_b32 s3, s3, 3
	s_mov_b32 s7, 0x20000
	v_mov_b32_e32 v0, v9
	v_mov_b32_e32 v1, v9
	v_mov_b64_e32 v[2:3], v[8:9]
.LBB370_3:                              ; =>This Inner Loop Header: Depth=1
	v_lshl_add_u64 v[2:3], s[12:13], 0, v[2:3]
	v_cmp_le_i64_e32 vcc, s[24:25], v[2:3]
	buffer_store_dwordx2 v[0:1], v4, s[4:7], 0 offen
	s_or_b64 s[14:15], vcc, s[14:15]
	v_add_u32_e32 v4, s3, v4
	s_andn2_b64 exec, exec, s[14:15]
	s_cbranch_execnz .LBB370_3
.LBB370_4:
	s_or_b64 exec, exec, s[10:11]
	s_mov_b64 s[10:11], 0
.LBB370_5:
	s_andn2_b64 vcc, exec, s[10:11]
	s_cbranch_vccnz .LBB370_25
; %bb.6:
	v_cmp_gt_i32_e32 vcc, s24, v8
	s_and_saveexec_b64 s[10:11], vcc
	s_cbranch_execz .LBB370_25
; %bb.7:
	s_load_dwordx2 s[10:11], s[0:1], 0x18
	s_load_dwordx2 s[14:15], s[0:1], 0x8
	s_mul_hi_i32 s9, s24, s8
	s_mul_i32 s8, s24, s8
	s_lshl_b64 s[8:9], s[8:9], 3
	s_waitcnt lgkmcnt(0)
	s_add_u32 s8, s10, s8
	s_addc_u32 s3, s11, s9
	s_lshl_b64 s[10:11], s[24:25], 2
	s_add_u32 s12, s8, s10
	s_addc_u32 s13, s3, s11
	s_and_b32 s9, s3, 0xffff
	s_mul_i32 s3, s2, s25
	s_mul_hi_u32 s16, s2, s24
	s_add_i32 s3, s16, s3
	s_mul_i32 s2, s2, s24
	s_lshl_b32 s10, s24, 2
	s_and_b32 s13, s13, 0xffff
	s_lshl_b64 s[2:3], s[2:3], 2
	s_add_u32 s16, s14, s2
	s_addc_u32 s14, s15, s3
	s_lshl_b64 s[2:3], s[24:25], 1
	s_add_u32 s20, s16, s2
	s_addc_u32 s2, s14, s3
	s_and_b32 s17, s14, 0xffff
	s_and_b32 s21, s2, 0xffff
	s_mov_b32 s7, 0x20000
	s_add_u32 s0, s0, 48
	s_mov_b32 s11, s7
	s_mov_b64 s[22:23], s[6:7]
	v_mov_b32_e32 v9, 0
	s_addc_u32 s1, s1, 0
	s_mov_b64 s[2:3], 0
	s_mov_b32 s18, s6
	s_mov_b32 s19, s7
	;; [unrolled: 1-line block ×12, first 2 shown]
	v_mov_b32_e32 v14, 0x3ba10414
	s_brev_b32 s38, -2
	v_mov_b32_e32 v15, 0xb9c68948
	v_mov_b32_e32 v16, 0x7f800000
                                        ; implicit-def: $vgpr0
                                        ; implicit-def: $vgpr0
	;; [unrolled: 1-line block ×4, first 2 shown]
	s_branch .LBB370_9
.LBB370_8:                              ;   in Loop: Header=BB370_9 Depth=1
	s_or_b64 exec, exec, s[14:15]
	v_bfi_b32 v5, s38, v6, v5
	v_mul_f32_e32 v4, 0.5, v4
	v_cvt_f32_f16_sdwa v6, v11 dst_sel:DWORD dst_unused:UNUSED_PAD src0_sel:WORD_1
	v_add_f32_e32 v5, 1.0, v5
	v_mul_f32_e32 v4, v4, v5
	v_cvt_f32_f16_e32 v5, v11
	v_cvt_f16_f32_e32 v11, v1
	v_bfi_b32 v1, s38, v12, v10
	v_add_f32_e32 v3, v3, v6
	v_cvt_f16_f32_e32 v6, v0
	v_mul_f32_e32 v0, 0.5, v7
	v_add_f32_e32 v1, 1.0, v1
	v_add_f32_e32 v2, v2, v5
	v_mul_f32_e32 v5, v0, v1
	;;#ASMSTART
	v_pk_mul_f32 v[0:1], v[4:5], v[2:3]
	;;#ASMEND
	s_load_dword s14, s[0:1], 0xc
	v_cvt_f16_f32_e32 v0, v0
	v_cvt_f16_f32_e32 v1, v1
	s_waitcnt lgkmcnt(0)
	s_and_b32 s14, s14, 0xffff
	s_lshl_b32 s26, s14, 2
	v_lshl_add_u64 v[8:9], s[26:27], 0, v[8:9]
	v_cmp_le_i64_e32 vcc, s[24:25], v[8:9]
	v_pack_b32_f16 v1, v0, v1
	v_pack_b32_f16 v0, v6, v11
	s_or_b64 s[2:3], vcc, s[2:3]
	buffer_store_dwordx2 v[0:1], v17, s[4:7], 0 offen
	s_andn2_b64 exec, exec, s[2:3]
	s_cbranch_execz .LBB370_25
.LBB370_9:                              ; =>This Inner Loop Header: Depth=1
	v_lshlrev_b32_e32 v17, 1, v8
	buffer_load_dwordx2 v[12:13], v17, s[16:19], 0 offen
	buffer_load_dwordx2 v[10:11], v17, s[20:23], 0 offen
	v_lshlrev_b32_e32 v0, 2, v8
	buffer_load_dwordx4 v[4:7], v0, s[8:11], 0 offen
	s_mov_b32 s14, s10
	s_mov_b32 s15, s11
	buffer_load_dwordx4 v[0:3], v0, s[12:15], 0 offen
                                        ; implicit-def: $vgpr19
	s_waitcnt vmcnt(3)
	v_cvt_f32_f16_e32 v18, v12
	s_waitcnt vmcnt(1)
	v_add_f32_e32 v4, v4, v18
	v_mul_f32_e32 v18, 0x3f3504f3, v4
	v_cmp_nlt_f32_e64 s[14:15], |v18|, 1.0
	s_and_saveexec_b64 s[40:41], s[14:15]
	s_xor_b64 s[14:15], exec, s[40:41]
	s_cbranch_execz .LBB370_11
; %bb.10:                               ;   in Loop: Header=BB370_9 Depth=1
	v_fma_f32 v19, |v18|, s28, v15
	v_fma_f32 v19, |v18|, v19, s29
	;; [unrolled: 1-line block ×6, first 2 shown]
	v_fma_f32 v19, |v18|, v19, |v18|
	v_mul_f32_e32 v20, 0xbfb8aa3b, v19
	v_fma_f32 v21, v19, s35, -v20
	v_rndne_f32_e32 v22, v20
	v_fmac_f32_e32 v21, 0xb2a5705f, v19
	v_sub_f32_e32 v20, v20, v22
	v_add_f32_e32 v20, v20, v21
	v_cvt_i32_f32_e32 v21, v22
	v_exp_f32_e32 v20, v20
	v_cmp_nlt_f32_e32 vcc, s36, v19
	v_ldexp_f32 v20, v20, v21
	s_nop 0
	v_cndmask_b32_e32 v20, 0, v20, vcc
	v_cmp_ngt_f32_e32 vcc, s37, v19
	s_nop 1
	v_cndmask_b32_e32 v19, v16, v20, vcc
	v_sub_f32_e32 v19, 1.0, v19
.LBB370_11:                             ;   in Loop: Header=BB370_9 Depth=1
	s_andn2_saveexec_b64 s[14:15], s[14:15]
; %bb.12:                               ;   in Loop: Header=BB370_9 Depth=1
	v_mul_f32_e32 v19, v18, v18
	v_fmamk_f32 v20, v19, 0xba1345e1, v14
	v_fmaak_f32 v20, v19, v20, 0xbcdac9b8
	v_fmaak_f32 v20, v19, v20, 0x3de703be
	;; [unrolled: 1-line block ×4, first 2 shown]
	v_fma_f32 v19, |v18|, v19, |v18|
; %bb.13:                               ;   in Loop: Header=BB370_9 Depth=1
	s_or_b64 exec, exec, s[14:15]
	v_cvt_f32_f16_sdwa v12, v12 dst_sel:DWORD dst_unused:UNUSED_PAD src0_sel:WORD_1
                                        ; implicit-def: $vgpr20
	v_add_f32_e32 v5, v5, v12
	v_mul_f32_e32 v12, 0x3f3504f3, v5
	v_cmp_nlt_f32_e64 s[14:15], |v12|, 1.0
	s_and_saveexec_b64 s[40:41], s[14:15]
	s_xor_b64 s[14:15], exec, s[40:41]
	s_cbranch_execz .LBB370_15
; %bb.14:                               ;   in Loop: Header=BB370_9 Depth=1
	v_fma_f32 v20, |v12|, s28, v15
	v_fma_f32 v20, |v12|, v20, s29
	v_fma_f32 v20, |v12|, v20, s30
	v_fma_f32 v20, |v12|, v20, s31
	v_fma_f32 v20, |v12|, v20, s33
	v_fma_f32 v20, |v12|, v20, s34
	v_fma_f32 v20, |v12|, v20, |v12|
	v_mul_f32_e32 v21, 0xbfb8aa3b, v20
	v_fma_f32 v22, v20, s35, -v21
	v_rndne_f32_e32 v23, v21
	v_fmac_f32_e32 v22, 0xb2a5705f, v20
	v_sub_f32_e32 v21, v21, v23
	v_add_f32_e32 v21, v21, v22
	v_cvt_i32_f32_e32 v22, v23
	v_exp_f32_e32 v21, v21
	v_cmp_nlt_f32_e32 vcc, s36, v20
	v_ldexp_f32 v21, v21, v22
	s_nop 0
	v_cndmask_b32_e32 v21, 0, v21, vcc
	v_cmp_ngt_f32_e32 vcc, s37, v20
	s_nop 1
	v_cndmask_b32_e32 v20, v16, v21, vcc
	v_sub_f32_e32 v20, 1.0, v20
.LBB370_15:                             ;   in Loop: Header=BB370_9 Depth=1
	s_andn2_saveexec_b64 s[14:15], s[14:15]
; %bb.16:                               ;   in Loop: Header=BB370_9 Depth=1
	v_mul_f32_e32 v20, v12, v12
	v_fmamk_f32 v21, v20, 0xba1345e1, v14
	v_fmaak_f32 v21, v20, v21, 0xbcdac9b8
	v_fmaak_f32 v21, v20, v21, 0x3de703be
	;; [unrolled: 1-line block ×4, first 2 shown]
	v_fma_f32 v20, |v12|, v20, |v12|
; %bb.17:                               ;   in Loop: Header=BB370_9 Depth=1
	s_or_b64 exec, exec, s[14:15]
	v_bfi_b32 v18, s38, v19, v18
	v_cvt_f32_f16_sdwa v19, v10 dst_sel:DWORD dst_unused:UNUSED_PAD src0_sel:WORD_1
	v_cvt_f32_f16_e32 v10, v10
	v_mul_f32_e32 v4, 0.5, v4
	v_add_f32_e32 v18, 1.0, v18
	v_mul_f32_e32 v4, v4, v18
	s_waitcnt vmcnt(0)
	v_add_f32_e32 v0, v0, v10
	v_bfi_b32 v10, s38, v20, v12
	v_cvt_f32_f16_e32 v12, v13
	v_add_f32_e32 v1, v1, v19
	v_mul_f32_e32 v5, 0.5, v5
	v_add_f32_e32 v10, 1.0, v10
	v_mul_f32_e32 v5, v5, v10
	;;#ASMSTART
	v_pk_mul_f32 v[0:1], v[4:5], v[0:1]
	;;#ASMEND
	v_add_f32_e32 v4, v6, v12
	v_mul_f32_e32 v5, 0x3f3504f3, v4
	v_cmp_nlt_f32_e64 s[14:15], |v5|, 1.0
                                        ; implicit-def: $vgpr6
	s_and_saveexec_b64 s[40:41], s[14:15]
	s_xor_b64 s[14:15], exec, s[40:41]
	s_cbranch_execz .LBB370_19
; %bb.18:                               ;   in Loop: Header=BB370_9 Depth=1
	v_fma_f32 v6, |v5|, s28, v15
	v_fma_f32 v6, |v5|, v6, s29
	;; [unrolled: 1-line block ×6, first 2 shown]
	v_fma_f32 v6, |v5|, v6, |v5|
	v_mul_f32_e32 v10, 0xbfb8aa3b, v6
	v_fma_f32 v12, v6, s35, -v10
	v_rndne_f32_e32 v18, v10
	v_fmac_f32_e32 v12, 0xb2a5705f, v6
	v_sub_f32_e32 v10, v10, v18
	v_add_f32_e32 v10, v10, v12
	v_cvt_i32_f32_e32 v12, v18
	v_exp_f32_e32 v10, v10
	v_cmp_nlt_f32_e32 vcc, s36, v6
	v_ldexp_f32 v10, v10, v12
	s_nop 0
	v_cndmask_b32_e32 v10, 0, v10, vcc
	v_cmp_ngt_f32_e32 vcc, s37, v6
	s_nop 1
	v_cndmask_b32_e32 v6, v16, v10, vcc
	v_sub_f32_e32 v6, 1.0, v6
.LBB370_19:                             ;   in Loop: Header=BB370_9 Depth=1
	s_andn2_saveexec_b64 s[14:15], s[14:15]
; %bb.20:                               ;   in Loop: Header=BB370_9 Depth=1
	v_mul_f32_e32 v6, v5, v5
	v_fmamk_f32 v10, v6, 0xba1345e1, v14
	v_fmaak_f32 v10, v6, v10, 0xbcdac9b8
	v_fmaak_f32 v10, v6, v10, 0x3de703be
	;; [unrolled: 1-line block ×4, first 2 shown]
	v_fma_f32 v6, |v5|, v6, |v5|
; %bb.21:                               ;   in Loop: Header=BB370_9 Depth=1
	s_or_b64 exec, exec, s[14:15]
	v_cvt_f32_f16_sdwa v10, v13 dst_sel:DWORD dst_unused:UNUSED_PAD src0_sel:WORD_1
                                        ; implicit-def: $vgpr12
	v_add_f32_e32 v7, v7, v10
	v_mul_f32_e32 v10, 0x3f3504f3, v7
	v_cmp_nlt_f32_e64 s[14:15], |v10|, 1.0
	s_and_saveexec_b64 s[40:41], s[14:15]
	s_xor_b64 s[14:15], exec, s[40:41]
	s_cbranch_execz .LBB370_23
; %bb.22:                               ;   in Loop: Header=BB370_9 Depth=1
	v_fma_f32 v12, |v10|, s28, v15
	v_fma_f32 v12, |v10|, v12, s29
	;; [unrolled: 1-line block ×6, first 2 shown]
	v_fma_f32 v12, |v10|, v12, |v10|
	v_mul_f32_e32 v13, 0xbfb8aa3b, v12
	v_fma_f32 v18, v12, s35, -v13
	v_rndne_f32_e32 v19, v13
	v_fmac_f32_e32 v18, 0xb2a5705f, v12
	v_sub_f32_e32 v13, v13, v19
	v_add_f32_e32 v13, v13, v18
	v_cvt_i32_f32_e32 v18, v19
	v_exp_f32_e32 v13, v13
	v_cmp_nlt_f32_e32 vcc, s36, v12
	v_ldexp_f32 v13, v13, v18
	s_nop 0
	v_cndmask_b32_e32 v13, 0, v13, vcc
	v_cmp_ngt_f32_e32 vcc, s37, v12
	s_nop 1
	v_cndmask_b32_e32 v12, v16, v13, vcc
	v_sub_f32_e32 v12, 1.0, v12
.LBB370_23:                             ;   in Loop: Header=BB370_9 Depth=1
	s_andn2_saveexec_b64 s[14:15], s[14:15]
	s_cbranch_execz .LBB370_8
; %bb.24:                               ;   in Loop: Header=BB370_9 Depth=1
	v_mul_f32_e32 v12, v10, v10
	v_fmamk_f32 v13, v12, 0xba1345e1, v14
	v_fmaak_f32 v13, v12, v13, 0xbcdac9b8
	v_fmaak_f32 v13, v12, v13, 0x3de703be
	;; [unrolled: 1-line block ×4, first 2 shown]
	v_fma_f32 v12, |v10|, v12, |v10|
	s_branch .LBB370_8
.LBB370_25:
	s_endpgm
	.section	.rodata,"a",@progbits
	.p2align	6, 0x0
	.amdhsa_kernel _ZN5aiter23act_and_mul_bias_kernelIDF16_DF16_hfTnPFfRKT2_EXadL_ZNS_11gelu_kernelIfEEfRKT_EELi4EEEvPT0_PS8_PKT1_PS2_il
		.amdhsa_group_segment_fixed_size 0
		.amdhsa_private_segment_fixed_size 0
		.amdhsa_kernarg_size 304
		.amdhsa_user_sgpr_count 2
		.amdhsa_user_sgpr_dispatch_ptr 0
		.amdhsa_user_sgpr_queue_ptr 0
		.amdhsa_user_sgpr_kernarg_segment_ptr 1
		.amdhsa_user_sgpr_dispatch_id 0
		.amdhsa_user_sgpr_kernarg_preload_length 0
		.amdhsa_user_sgpr_kernarg_preload_offset 0
		.amdhsa_user_sgpr_private_segment_size 0
		.amdhsa_uses_dynamic_stack 0
		.amdhsa_enable_private_segment 0
		.amdhsa_system_sgpr_workgroup_id_x 1
		.amdhsa_system_sgpr_workgroup_id_y 0
		.amdhsa_system_sgpr_workgroup_id_z 0
		.amdhsa_system_sgpr_workgroup_info 0
		.amdhsa_system_vgpr_workitem_id 0
		.amdhsa_next_free_vgpr 24
		.amdhsa_next_free_sgpr 42
		.amdhsa_accum_offset 24
		.amdhsa_reserve_vcc 1
		.amdhsa_float_round_mode_32 0
		.amdhsa_float_round_mode_16_64 0
		.amdhsa_float_denorm_mode_32 3
		.amdhsa_float_denorm_mode_16_64 3
		.amdhsa_dx10_clamp 1
		.amdhsa_ieee_mode 1
		.amdhsa_fp16_overflow 0
		.amdhsa_tg_split 0
		.amdhsa_exception_fp_ieee_invalid_op 0
		.amdhsa_exception_fp_denorm_src 0
		.amdhsa_exception_fp_ieee_div_zero 0
		.amdhsa_exception_fp_ieee_overflow 0
		.amdhsa_exception_fp_ieee_underflow 0
		.amdhsa_exception_fp_ieee_inexact 0
		.amdhsa_exception_int_div_zero 0
	.end_amdhsa_kernel
	.section	.text._ZN5aiter23act_and_mul_bias_kernelIDF16_DF16_hfTnPFfRKT2_EXadL_ZNS_11gelu_kernelIfEEfRKT_EELi4EEEvPT0_PS8_PKT1_PS2_il,"axG",@progbits,_ZN5aiter23act_and_mul_bias_kernelIDF16_DF16_hfTnPFfRKT2_EXadL_ZNS_11gelu_kernelIfEEfRKT_EELi4EEEvPT0_PS8_PKT1_PS2_il,comdat
.Lfunc_end370:
	.size	_ZN5aiter23act_and_mul_bias_kernelIDF16_DF16_hfTnPFfRKT2_EXadL_ZNS_11gelu_kernelIfEEfRKT_EELi4EEEvPT0_PS8_PKT1_PS2_il, .Lfunc_end370-_ZN5aiter23act_and_mul_bias_kernelIDF16_DF16_hfTnPFfRKT2_EXadL_ZNS_11gelu_kernelIfEEfRKT_EELi4EEEvPT0_PS8_PKT1_PS2_il
                                        ; -- End function
	.section	.AMDGPU.csdata,"",@progbits
; Kernel info:
; codeLenInByte = 1800
; NumSgprs: 48
; NumVgprs: 24
; NumAgprs: 0
; TotalNumVgprs: 24
; ScratchSize: 0
; MemoryBound: 0
; FloatMode: 240
; IeeeMode: 1
; LDSByteSize: 0 bytes/workgroup (compile time only)
; SGPRBlocks: 5
; VGPRBlocks: 2
; NumSGPRsForWavesPerEU: 48
; NumVGPRsForWavesPerEU: 24
; AccumOffset: 24
; Occupancy: 8
; WaveLimiterHint : 0
; COMPUTE_PGM_RSRC2:SCRATCH_EN: 0
; COMPUTE_PGM_RSRC2:USER_SGPR: 2
; COMPUTE_PGM_RSRC2:TRAP_HANDLER: 0
; COMPUTE_PGM_RSRC2:TGID_X_EN: 1
; COMPUTE_PGM_RSRC2:TGID_Y_EN: 0
; COMPUTE_PGM_RSRC2:TGID_Z_EN: 0
; COMPUTE_PGM_RSRC2:TIDIG_COMP_CNT: 0
; COMPUTE_PGM_RSRC3_GFX90A:ACCUM_OFFSET: 5
; COMPUTE_PGM_RSRC3_GFX90A:TG_SPLIT: 0
	.section	.text._ZN5aiter23act_and_mul_bias_kernelIDF16_DF16_hfTnPFfRKT2_EXadL_ZNS_11gelu_kernelIfEEfRKT_EELi2EEEvPT0_PS8_PKT1_PS2_il,"axG",@progbits,_ZN5aiter23act_and_mul_bias_kernelIDF16_DF16_hfTnPFfRKT2_EXadL_ZNS_11gelu_kernelIfEEfRKT_EELi2EEEvPT0_PS8_PKT1_PS2_il,comdat
	.protected	_ZN5aiter23act_and_mul_bias_kernelIDF16_DF16_hfTnPFfRKT2_EXadL_ZNS_11gelu_kernelIfEEfRKT_EELi2EEEvPT0_PS8_PKT1_PS2_il ; -- Begin function _ZN5aiter23act_and_mul_bias_kernelIDF16_DF16_hfTnPFfRKT2_EXadL_ZNS_11gelu_kernelIfEEfRKT_EELi2EEEvPT0_PS8_PKT1_PS2_il
	.globl	_ZN5aiter23act_and_mul_bias_kernelIDF16_DF16_hfTnPFfRKT2_EXadL_ZNS_11gelu_kernelIfEEfRKT_EELi2EEEvPT0_PS8_PKT1_PS2_il
	.p2align	8
	.type	_ZN5aiter23act_and_mul_bias_kernelIDF16_DF16_hfTnPFfRKT2_EXadL_ZNS_11gelu_kernelIfEEfRKT_EELi2EEEvPT0_PS8_PKT1_PS2_il,@function
_ZN5aiter23act_and_mul_bias_kernelIDF16_DF16_hfTnPFfRKT2_EXadL_ZNS_11gelu_kernelIfEEfRKT_EELi2EEEvPT0_PS8_PKT1_PS2_il: ; @_ZN5aiter23act_and_mul_bias_kernelIDF16_DF16_hfTnPFfRKT2_EXadL_ZNS_11gelu_kernelIfEEfRKT_EELi2EEEvPT0_PS8_PKT1_PS2_il
; %bb.0:
	s_load_dwordx2 s[4:5], s[0:1], 0x10
	s_load_dword s24, s[0:1], 0x20
	s_load_dwordx2 s[6:7], s[0:1], 0x28
	v_mov_b32_e32 v1, s2
	s_mov_b32 s9, 0
	s_waitcnt lgkmcnt(0)
	global_load_ubyte v1, v1, s[4:5]
	s_add_i32 s3, s24, 1
	s_load_dwordx2 s[4:5], s[0:1], 0x0
	v_mov_b64_e32 v[4:5], s[6:7]
	s_lshr_b32 s6, s3, 31
	s_ashr_i32 s25, s24, 31
	s_add_i32 s3, s3, s6
	s_mul_hi_u32 s8, s24, s2
	s_mul_i32 s7, s25, s2
	s_lshl_b32 s3, s3, 1
	s_mul_i32 s12, s24, s2
	s_add_i32 s13, s8, s7
	s_and_b32 s6, s3, -4
	s_lshl_b64 s[12:13], s[12:13], 1
	s_mov_b64 s[10:11], -1
	v_lshlrev_b32_e32 v2, 1, v0
	s_waitcnt vmcnt(0)
	v_readfirstlane_b32 s3, v1
	s_and_b32 s8, s3, 0xffff
	s_waitcnt lgkmcnt(0)
	s_add_u32 s4, s4, s12
	v_cmp_lt_i64_e32 vcc, s[8:9], v[4:5]
	s_addc_u32 s3, s5, s13
	s_and_b32 s5, s3, 0xffff
	s_cbranch_vccnz .LBB371_5
; %bb.1:
	v_cmp_gt_i32_e32 vcc, s24, v2
	s_and_saveexec_b64 s[10:11], vcc
	s_cbranch_execz .LBB371_4
; %bb.2:
	s_load_dword s3, s[0:1], 0x3c
	v_mov_b32_e32 v3, 0
	s_mov_b32 s13, 0
	v_lshlrev_b32_e32 v4, 2, v0
	s_mov_b64 s[14:15], 0
	s_waitcnt lgkmcnt(0)
	s_and_b32 s3, s3, 0xffff
	s_lshl_b32 s12, s3, 1
	s_lshl_b32 s3, s3, 2
	s_mov_b32 s7, 0x20000
	v_mov_b64_e32 v[0:1], v[2:3]
.LBB371_3:                              ; =>This Inner Loop Header: Depth=1
	v_lshl_add_u64 v[0:1], s[12:13], 0, v[0:1]
	v_cmp_le_i64_e32 vcc, s[24:25], v[0:1]
	buffer_store_dword v3, v4, s[4:7], 0 offen
	s_or_b64 s[14:15], vcc, s[14:15]
	v_add_u32_e32 v4, s3, v4
	s_andn2_b64 exec, exec, s[14:15]
	s_cbranch_execnz .LBB371_3
.LBB371_4:
	s_or_b64 exec, exec, s[10:11]
	s_mov_b64 s[10:11], 0
.LBB371_5:
	s_andn2_b64 vcc, exec, s[10:11]
	s_cbranch_vccnz .LBB371_13
; %bb.6:
	v_cmp_gt_i32_e32 vcc, s24, v2
	s_and_saveexec_b64 s[10:11], vcc
	s_cbranch_execz .LBB371_13
; %bb.7:
	s_load_dwordx2 s[10:11], s[0:1], 0x18
	s_load_dwordx2 s[14:15], s[0:1], 0x8
	s_mul_hi_i32 s9, s24, s8
	s_mul_i32 s8, s24, s8
	s_lshl_b64 s[8:9], s[8:9], 3
	s_waitcnt lgkmcnt(0)
	s_add_u32 s8, s10, s8
	s_addc_u32 s3, s11, s9
	s_lshl_b64 s[10:11], s[24:25], 2
	s_add_u32 s12, s8, s10
	s_addc_u32 s13, s3, s11
	s_and_b32 s9, s3, 0xffff
	s_mul_i32 s3, s2, s25
	s_mul_hi_u32 s16, s2, s24
	s_add_i32 s3, s16, s3
	s_mul_i32 s2, s2, s24
	s_lshl_b32 s10, s24, 2
	s_and_b32 s13, s13, 0xffff
	s_lshl_b64 s[2:3], s[2:3], 2
	s_add_u32 s16, s14, s2
	s_addc_u32 s14, s15, s3
	s_lshl_b64 s[2:3], s[24:25], 1
	s_add_u32 s20, s16, s2
	s_addc_u32 s2, s14, s3
	s_and_b32 s17, s14, 0xffff
	s_and_b32 s21, s2, 0xffff
	s_mov_b32 s7, 0x20000
	s_add_u32 s0, s0, 48
	s_mov_b32 s11, s7
	s_mov_b64 s[22:23], s[6:7]
	v_mov_b32_e32 v3, 0
	s_addc_u32 s1, s1, 0
	s_mov_b64 s[2:3], 0
	s_mov_b32 s18, s6
	s_mov_b32 s19, s7
	;; [unrolled: 1-line block ×13, first 2 shown]
	v_mov_b32_e32 v10, 0x3ba10414
	v_mov_b32_e32 v11, 0xb9c68948
	;; [unrolled: 1-line block ×3, first 2 shown]
	s_brev_b32 s39, -2
                                        ; implicit-def: $vgpr0
                                        ; implicit-def: $vgpr0
                                        ; implicit-def: $vgpr0
                                        ; implicit-def: $vgpr0
	s_branch .LBB371_9
.LBB371_8:                              ;   in Loop: Header=BB371_9 Depth=1
	s_or_b64 exec, exec, s[14:15]
	v_fma_f32 v8, |v1|, s29, v11
	v_fma_f32 v8, |v1|, v8, s30
	;; [unrolled: 1-line block ×6, first 2 shown]
	v_fma_f32 v8, |v1|, v8, |v1|
	s_waitcnt vmcnt(1)
	v_cvt_f32_f16_sdwa v17, v14 dst_sel:DWORD dst_unused:UNUSED_PAD src0_sel:WORD_1
	v_cvt_f32_f16_e32 v16, v14
	v_mul_f32_e32 v14, 0xbfb8aa3b, v8
	v_fma_f32 v18, v8, s36, -v14
	v_rndne_f32_e32 v19, v14
	v_fmac_f32_e32 v18, 0xb2a5705f, v8
	v_sub_f32_e32 v14, v14, v19
	v_add_f32_e32 v14, v14, v18
	v_exp_f32_e32 v14, v14
	v_cvt_i32_f32_e32 v18, v19
	v_cmp_nlt_f32_e32 vcc, s37, v8
	v_bfi_b32 v0, s39, v15, v0
	v_mul_f32_e32 v5, 0.5, v5
	v_ldexp_f32 v14, v14, v18
	v_cndmask_b32_e32 v14, 0, v14, vcc
	v_cmp_ngt_f32_e32 vcc, s38, v8
	v_mul_f32_e32 v4, 0.5, v4
	s_waitcnt vmcnt(0)
	v_pk_add_f32 v[6:7], v[6:7], v[16:17]
	v_cndmask_b32_e32 v8, v12, v14, vcc
	v_fmamk_f32 v14, v9, 0xba1345e1, v10
	v_fmaak_f32 v14, v9, v14, 0xbcdac9b8
	v_fmaak_f32 v14, v9, v14, 0x3de703be
	;; [unrolled: 1-line block ×4, first 2 shown]
	v_sub_f32_e32 v8, 1.0, v8
	v_fma_f32 v9, |v1|, v9, |v1|
	v_cmp_lt_f32_e64 vcc, |v1|, 1.0
	s_nop 1
	v_cndmask_b32_e32 v8, v8, v9, vcc
	v_bfi_b32 v1, s39, v8, v1
	v_pk_add_f32 v[0:1], v[0:1], 1.0 op_sel_hi:[1,0]
	s_nop 0
	v_pk_mul_f32 v[0:1], v[4:5], v[0:1]
	s_nop 0
	;;#ASMSTART
	v_pk_mul_f32 v[0:1], v[0:1], v[6:7]
	;;#ASMEND
	s_load_dword s14, s[0:1], 0xc
	v_cvt_f16_f32_e32 v0, v0
	v_cvt_f16_f32_e32 v1, v1
	s_waitcnt lgkmcnt(0)
	s_and_b32 s14, s14, 0xffff
	s_lshl_b32 s26, s14, 1
	v_lshl_add_u64 v[2:3], s[26:27], 0, v[2:3]
	v_cmp_le_i64_e32 vcc, s[24:25], v[2:3]
	v_pack_b32_f16 v0, v0, v1
	s_or_b64 s[2:3], vcc, s[2:3]
	buffer_store_dword v0, v13, s[4:7], 0 offen
	s_andn2_b64 exec, exec, s[2:3]
	s_cbranch_execz .LBB371_13
.LBB371_9:                              ; =>This Inner Loop Header: Depth=1
	v_lshlrev_b32_e32 v13, 1, v2
	buffer_load_dword v5, v13, s[16:19], 0 offen
	v_lshlrev_b32_e32 v4, 2, v2
	buffer_load_dwordx2 v[0:1], v4, s[8:11], 0 offen
	s_mov_b32 s14, s10
	s_mov_b32 s15, s11
	buffer_load_dword v14, v13, s[20:23], 0 offen
	buffer_load_dwordx2 v[6:7], v4, s[12:15], 0 offen
                                        ; implicit-def: $vgpr15
	s_waitcnt vmcnt(3)
	v_cvt_f32_f16_e32 v4, v5
	v_cvt_f32_f16_sdwa v5, v5 dst_sel:DWORD dst_unused:UNUSED_PAD src0_sel:WORD_1
	s_waitcnt vmcnt(2)
	v_pk_add_f32 v[4:5], v[0:1], v[4:5]
	s_nop 0
	v_pk_mul_f32 v[0:1], v[4:5], s[28:29] op_sel_hi:[1,0]
	s_nop 0
	v_cmp_nlt_f32_e64 s[14:15], |v0|, 1.0
	s_and_saveexec_b64 s[40:41], s[14:15]
	s_xor_b64 s[14:15], exec, s[40:41]
	s_cbranch_execz .LBB371_11
; %bb.10:                               ;   in Loop: Header=BB371_9 Depth=1
	v_fma_f32 v8, |v0|, s29, v11
	v_fma_f32 v8, |v0|, v8, s30
	;; [unrolled: 1-line block ×6, first 2 shown]
	v_fma_f32 v8, |v0|, v8, |v0|
	v_mul_f32_e32 v9, 0xbfb8aa3b, v8
	v_fma_f32 v15, v8, s36, -v9
	v_rndne_f32_e32 v16, v9
	v_fmac_f32_e32 v15, 0xb2a5705f, v8
	v_sub_f32_e32 v9, v9, v16
	v_add_f32_e32 v9, v9, v15
	v_cvt_i32_f32_e32 v15, v16
	v_exp_f32_e32 v9, v9
	v_cmp_nlt_f32_e32 vcc, s37, v8
	v_ldexp_f32 v9, v9, v15
	s_nop 0
	v_cndmask_b32_e32 v9, 0, v9, vcc
	v_cmp_ngt_f32_e32 vcc, s38, v8
	s_nop 1
	v_cndmask_b32_e32 v8, v12, v9, vcc
	v_sub_f32_e32 v15, 1.0, v8
.LBB371_11:                             ;   in Loop: Header=BB371_9 Depth=1
	s_or_saveexec_b64 s[14:15], s[14:15]
	v_pk_mul_f32 v[8:9], v[0:1], v[0:1]
	s_xor_b64 exec, exec, s[14:15]
	s_cbranch_execz .LBB371_8
; %bb.12:                               ;   in Loop: Header=BB371_9 Depth=1
	v_fmamk_f32 v15, v8, 0xba1345e1, v10
	v_fmaak_f32 v15, v8, v15, 0xbcdac9b8
	v_fmaak_f32 v15, v8, v15, 0x3de703be
	;; [unrolled: 1-line block ×4, first 2 shown]
	v_fma_f32 v15, |v0|, v8, |v0|
	s_branch .LBB371_8
.LBB371_13:
	s_endpgm
	.section	.rodata,"a",@progbits
	.p2align	6, 0x0
	.amdhsa_kernel _ZN5aiter23act_and_mul_bias_kernelIDF16_DF16_hfTnPFfRKT2_EXadL_ZNS_11gelu_kernelIfEEfRKT_EELi2EEEvPT0_PS8_PKT1_PS2_il
		.amdhsa_group_segment_fixed_size 0
		.amdhsa_private_segment_fixed_size 0
		.amdhsa_kernarg_size 304
		.amdhsa_user_sgpr_count 2
		.amdhsa_user_sgpr_dispatch_ptr 0
		.amdhsa_user_sgpr_queue_ptr 0
		.amdhsa_user_sgpr_kernarg_segment_ptr 1
		.amdhsa_user_sgpr_dispatch_id 0
		.amdhsa_user_sgpr_kernarg_preload_length 0
		.amdhsa_user_sgpr_kernarg_preload_offset 0
		.amdhsa_user_sgpr_private_segment_size 0
		.amdhsa_uses_dynamic_stack 0
		.amdhsa_enable_private_segment 0
		.amdhsa_system_sgpr_workgroup_id_x 1
		.amdhsa_system_sgpr_workgroup_id_y 0
		.amdhsa_system_sgpr_workgroup_id_z 0
		.amdhsa_system_sgpr_workgroup_info 0
		.amdhsa_system_vgpr_workitem_id 0
		.amdhsa_next_free_vgpr 20
		.amdhsa_next_free_sgpr 42
		.amdhsa_accum_offset 20
		.amdhsa_reserve_vcc 1
		.amdhsa_float_round_mode_32 0
		.amdhsa_float_round_mode_16_64 0
		.amdhsa_float_denorm_mode_32 3
		.amdhsa_float_denorm_mode_16_64 3
		.amdhsa_dx10_clamp 1
		.amdhsa_ieee_mode 1
		.amdhsa_fp16_overflow 0
		.amdhsa_tg_split 0
		.amdhsa_exception_fp_ieee_invalid_op 0
		.amdhsa_exception_fp_denorm_src 0
		.amdhsa_exception_fp_ieee_div_zero 0
		.amdhsa_exception_fp_ieee_overflow 0
		.amdhsa_exception_fp_ieee_underflow 0
		.amdhsa_exception_fp_ieee_inexact 0
		.amdhsa_exception_int_div_zero 0
	.end_amdhsa_kernel
	.section	.text._ZN5aiter23act_and_mul_bias_kernelIDF16_DF16_hfTnPFfRKT2_EXadL_ZNS_11gelu_kernelIfEEfRKT_EELi2EEEvPT0_PS8_PKT1_PS2_il,"axG",@progbits,_ZN5aiter23act_and_mul_bias_kernelIDF16_DF16_hfTnPFfRKT2_EXadL_ZNS_11gelu_kernelIfEEfRKT_EELi2EEEvPT0_PS8_PKT1_PS2_il,comdat
.Lfunc_end371:
	.size	_ZN5aiter23act_and_mul_bias_kernelIDF16_DF16_hfTnPFfRKT2_EXadL_ZNS_11gelu_kernelIfEEfRKT_EELi2EEEvPT0_PS8_PKT1_PS2_il, .Lfunc_end371-_ZN5aiter23act_and_mul_bias_kernelIDF16_DF16_hfTnPFfRKT2_EXadL_ZNS_11gelu_kernelIfEEfRKT_EELi2EEEvPT0_PS8_PKT1_PS2_il
                                        ; -- End function
	.section	.AMDGPU.csdata,"",@progbits
; Kernel info:
; codeLenInByte = 1244
; NumSgprs: 48
; NumVgprs: 20
; NumAgprs: 0
; TotalNumVgprs: 20
; ScratchSize: 0
; MemoryBound: 0
; FloatMode: 240
; IeeeMode: 1
; LDSByteSize: 0 bytes/workgroup (compile time only)
; SGPRBlocks: 5
; VGPRBlocks: 2
; NumSGPRsForWavesPerEU: 48
; NumVGPRsForWavesPerEU: 20
; AccumOffset: 20
; Occupancy: 8
; WaveLimiterHint : 0
; COMPUTE_PGM_RSRC2:SCRATCH_EN: 0
; COMPUTE_PGM_RSRC2:USER_SGPR: 2
; COMPUTE_PGM_RSRC2:TRAP_HANDLER: 0
; COMPUTE_PGM_RSRC2:TGID_X_EN: 1
; COMPUTE_PGM_RSRC2:TGID_Y_EN: 0
; COMPUTE_PGM_RSRC2:TGID_Z_EN: 0
; COMPUTE_PGM_RSRC2:TIDIG_COMP_CNT: 0
; COMPUTE_PGM_RSRC3_GFX90A:ACCUM_OFFSET: 4
; COMPUTE_PGM_RSRC3_GFX90A:TG_SPLIT: 0
	.section	.text._ZN5aiter23act_and_mul_bias_kernelIDF16_DF16_hfTnPFfRKT2_EXadL_ZNS_11gelu_kernelIfEEfRKT_EELi1EEEvPT0_PS8_PKT1_PS2_il,"axG",@progbits,_ZN5aiter23act_and_mul_bias_kernelIDF16_DF16_hfTnPFfRKT2_EXadL_ZNS_11gelu_kernelIfEEfRKT_EELi1EEEvPT0_PS8_PKT1_PS2_il,comdat
	.protected	_ZN5aiter23act_and_mul_bias_kernelIDF16_DF16_hfTnPFfRKT2_EXadL_ZNS_11gelu_kernelIfEEfRKT_EELi1EEEvPT0_PS8_PKT1_PS2_il ; -- Begin function _ZN5aiter23act_and_mul_bias_kernelIDF16_DF16_hfTnPFfRKT2_EXadL_ZNS_11gelu_kernelIfEEfRKT_EELi1EEEvPT0_PS8_PKT1_PS2_il
	.globl	_ZN5aiter23act_and_mul_bias_kernelIDF16_DF16_hfTnPFfRKT2_EXadL_ZNS_11gelu_kernelIfEEfRKT_EELi1EEEvPT0_PS8_PKT1_PS2_il
	.p2align	8
	.type	_ZN5aiter23act_and_mul_bias_kernelIDF16_DF16_hfTnPFfRKT2_EXadL_ZNS_11gelu_kernelIfEEfRKT_EELi1EEEvPT0_PS8_PKT1_PS2_il,@function
_ZN5aiter23act_and_mul_bias_kernelIDF16_DF16_hfTnPFfRKT2_EXadL_ZNS_11gelu_kernelIfEEfRKT_EELi1EEEvPT0_PS8_PKT1_PS2_il: ; @_ZN5aiter23act_and_mul_bias_kernelIDF16_DF16_hfTnPFfRKT2_EXadL_ZNS_11gelu_kernelIfEEfRKT_EELi1EEEvPT0_PS8_PKT1_PS2_il
; %bb.0:
	s_load_dwordx2 s[4:5], s[0:1], 0x10
	s_load_dword s20, s[0:1], 0x20
	s_load_dwordx2 s[8:9], s[0:1], 0x28
	v_mov_b32_e32 v1, s2
	s_load_dwordx2 s[14:15], s[0:1], 0x0
	s_waitcnt lgkmcnt(0)
	global_load_ubyte v1, v1, s[4:5]
	s_add_i32 s3, s20, 1
	s_ashr_i32 s21, s20, 31
	v_mov_b64_e32 v[2:3], s[8:9]
	s_lshr_b32 s8, s3, 31
	s_mul_hi_u32 s6, s20, s2
	s_mul_i32 s9, s21, s2
	s_add_i32 s3, s3, s8
	s_mul_i32 s10, s20, s2
	s_add_i32 s11, s6, s9
	s_lshl_b32 s3, s3, 1
	s_lshl_b64 s[8:9], s[10:11], 1
	s_and_b32 s10, s3, -4
	s_mov_b32 s7, 0
	s_mov_b64 s[12:13], -1
	v_cmp_gt_i32_e64 s[4:5], s20, v0
	s_waitcnt vmcnt(0)
	v_readfirstlane_b32 s3, v1
	s_and_b32 s6, s3, 0xffff
	s_add_u32 s8, s14, s8
	v_cmp_lt_i64_e32 vcc, s[6:7], v[2:3]
	s_addc_u32 s3, s15, s9
	s_and_b32 s9, s3, 0xffff
	s_cbranch_vccnz .LBB372_5
; %bb.1:
	s_and_saveexec_b64 s[12:13], s[4:5]
	s_cbranch_execz .LBB372_4
; %bb.2:
	s_load_dword s3, s[0:1], 0x3c
	v_mov_b32_e32 v1, 0
	s_mov_b32 s5, 0
	v_lshlrev_b32_e32 v4, 1, v0
	s_mov_b64 s[14:15], 0
	s_waitcnt lgkmcnt(0)
	s_and_b32 s4, s3, 0xffff
	s_lshl_b32 s3, s4, 1
	s_mov_b32 s11, 0x20000
	v_mov_b64_e32 v[2:3], v[0:1]
.LBB372_3:                              ; =>This Inner Loop Header: Depth=1
	v_lshl_add_u64 v[2:3], v[2:3], 0, s[4:5]
	v_cmp_le_i64_e32 vcc, s[20:21], v[2:3]
	buffer_store_short v1, v4, s[8:11], 0 offen
	s_or_b64 s[14:15], vcc, s[14:15]
	v_add_u32_e32 v4, s3, v4
	s_andn2_b64 exec, exec, s[14:15]
	s_cbranch_execnz .LBB372_3
.LBB372_4:
	s_or_b64 exec, exec, s[12:13]
	s_mov_b64 s[12:13], 0
.LBB372_5:
	s_andn2_b64 vcc, exec, s[12:13]
	s_cbranch_vccnz .LBB372_13
; %bb.6:
	v_cmp_gt_i32_e32 vcc, s20, v0
	s_and_saveexec_b64 s[4:5], vcc
	s_cbranch_execz .LBB372_13
; %bb.7:
	s_load_dwordx2 s[12:13], s[0:1], 0x8
	s_load_dwordx2 s[4:5], s[0:1], 0x18
	s_mul_hi_i32 s7, s20, s6
	s_mul_i32 s6, s20, s6
	s_lshl_b64 s[6:7], s[6:7], 3
	s_load_dword s14, s[0:1], 0x3c
	s_waitcnt lgkmcnt(0)
	s_add_u32 s4, s4, s6
	s_addc_u32 s3, s5, s7
	s_lshl_b64 s[0:1], s[20:21], 2
	s_add_u32 s0, s4, s0
	s_addc_u32 s1, s3, s1
	s_and_b32 s5, s3, 0xffff
	s_mul_i32 s3, s2, s21
	s_mul_hi_u32 s15, s2, s20
	s_add_i32 s3, s15, s3
	s_mul_i32 s2, s2, s20
	s_lshl_b32 s6, s20, 2
	s_and_b32 s1, s1, 0xffff
	s_lshl_b64 s[2:3], s[2:3], 2
	s_add_u32 s12, s12, s2
	s_addc_u32 s13, s13, s3
	s_lshl_b64 s[2:3], s[20:21], 1
	s_add_u32 s16, s12, s2
	s_mov_b32 s11, 0x20000
	s_addc_u32 s2, s13, s3
	s_and_b32 s22, s14, 0xffff
                                        ; implicit-def: $vgpr5
                                        ; implicit-def: $vgpr5
	;; [unrolled: 1-line block ×4, first 2 shown]
	s_mov_b32 s7, s11
	s_and_b32 s13, s13, 0xffff
	s_mov_b64 s[18:19], s[10:11]
	s_and_b32 s17, s2, 0xffff
	s_mov_b32 s23, 0
	v_mov_b32_e32 v1, 0
	v_lshlrev_b32_e32 v2, 2, v0
	s_lshl_b32 s26, s22, 2
	v_lshlrev_b32_e32 v3, 1, v0
	s_lshl_b32 s27, s22, 1
	s_mov_b64 s[24:25], 0
	s_mov_b32 s14, s10
	s_mov_b32 s15, s11
	;; [unrolled: 1-line block ×11, first 2 shown]
	v_mov_b32_e32 v4, 0x3ba10414
	s_brev_b32 s38, -2
	v_mov_b32_e32 v5, 0xb9c68948
	v_mov_b32_e32 v6, 0x7f800000
	s_branch .LBB372_9
.LBB372_8:                              ;   in Loop: Header=BB372_9 Depth=1
	s_or_b64 exec, exec, s[2:3]
	v_cvt_f32_f16_e32 v7, v7
	v_bfi_b32 v10, s38, v11, v10
	v_mul_f32_e32 v9, 0.5, v9
	v_add_f32_e32 v10, 1.0, v10
	s_waitcnt vmcnt(0)
	v_add_f32_e32 v7, v7, v8
	v_mul_f32_e32 v8, v9, v10
	v_lshl_add_u64 v[0:1], v[0:1], 0, s[22:23]
	v_fma_mixlo_f16 v7, v7, v8, 0
	v_cmp_le_i64_e32 vcc, s[20:21], v[0:1]
	buffer_store_short v7, v3, s[8:11], 0 offen
	v_add_u32_e32 v2, s26, v2
	s_or_b64 s[24:25], vcc, s[24:25]
	v_add_u32_e32 v3, s27, v3
	s_andn2_b64 exec, exec, s[24:25]
	s_cbranch_execz .LBB372_13
.LBB372_9:                              ; =>This Inner Loop Header: Depth=1
	buffer_load_ushort v9, v3, s[12:15], 0 offen
	buffer_load_ushort v7, v3, s[16:19], 0 offen
	buffer_load_dword v10, v2, s[4:7], 0 offen
	s_mov_b32 s2, s6
	s_mov_b32 s3, s7
	buffer_load_dword v8, v2, s[0:3], 0 offen
                                        ; implicit-def: $vgpr11
	s_waitcnt vmcnt(3)
	v_cvt_f32_f16_e32 v9, v9
	s_waitcnt vmcnt(1)
	v_add_f32_e32 v9, v9, v10
	v_mul_f32_e32 v10, 0x3f3504f3, v9
	v_cmp_nlt_f32_e64 s[2:3], |v10|, 1.0
	s_and_saveexec_b64 s[40:41], s[2:3]
	s_xor_b64 s[2:3], exec, s[40:41]
	s_cbranch_execz .LBB372_11
; %bb.10:                               ;   in Loop: Header=BB372_9 Depth=1
	v_fma_f32 v11, |v10|, s28, v5
	v_fma_f32 v11, |v10|, v11, s29
	;; [unrolled: 1-line block ×6, first 2 shown]
	v_fma_f32 v11, |v10|, v11, |v10|
	v_mul_f32_e32 v12, 0xbfb8aa3b, v11
	v_fma_f32 v13, v11, s35, -v12
	v_rndne_f32_e32 v14, v12
	v_fmac_f32_e32 v13, 0xb2a5705f, v11
	v_sub_f32_e32 v12, v12, v14
	v_add_f32_e32 v12, v12, v13
	v_cvt_i32_f32_e32 v13, v14
	v_exp_f32_e32 v12, v12
	v_cmp_nlt_f32_e32 vcc, s36, v11
	v_ldexp_f32 v12, v12, v13
	s_nop 0
	v_cndmask_b32_e32 v12, 0, v12, vcc
	v_cmp_ngt_f32_e32 vcc, s37, v11
	s_nop 1
	v_cndmask_b32_e32 v11, v6, v12, vcc
	v_sub_f32_e32 v11, 1.0, v11
.LBB372_11:                             ;   in Loop: Header=BB372_9 Depth=1
	s_andn2_saveexec_b64 s[2:3], s[2:3]
	s_cbranch_execz .LBB372_8
; %bb.12:                               ;   in Loop: Header=BB372_9 Depth=1
	v_mul_f32_e32 v11, v10, v10
	v_fmamk_f32 v12, v11, 0xba1345e1, v4
	v_fmaak_f32 v12, v11, v12, 0xbcdac9b8
	v_fmaak_f32 v12, v11, v12, 0x3de703be
	;; [unrolled: 1-line block ×4, first 2 shown]
	v_fma_f32 v11, |v10|, v11, |v10|
	s_branch .LBB372_8
.LBB372_13:
	s_endpgm
	.section	.rodata,"a",@progbits
	.p2align	6, 0x0
	.amdhsa_kernel _ZN5aiter23act_and_mul_bias_kernelIDF16_DF16_hfTnPFfRKT2_EXadL_ZNS_11gelu_kernelIfEEfRKT_EELi1EEEvPT0_PS8_PKT1_PS2_il
		.amdhsa_group_segment_fixed_size 0
		.amdhsa_private_segment_fixed_size 0
		.amdhsa_kernarg_size 304
		.amdhsa_user_sgpr_count 2
		.amdhsa_user_sgpr_dispatch_ptr 0
		.amdhsa_user_sgpr_queue_ptr 0
		.amdhsa_user_sgpr_kernarg_segment_ptr 1
		.amdhsa_user_sgpr_dispatch_id 0
		.amdhsa_user_sgpr_kernarg_preload_length 0
		.amdhsa_user_sgpr_kernarg_preload_offset 0
		.amdhsa_user_sgpr_private_segment_size 0
		.amdhsa_uses_dynamic_stack 0
		.amdhsa_enable_private_segment 0
		.amdhsa_system_sgpr_workgroup_id_x 1
		.amdhsa_system_sgpr_workgroup_id_y 0
		.amdhsa_system_sgpr_workgroup_id_z 0
		.amdhsa_system_sgpr_workgroup_info 0
		.amdhsa_system_vgpr_workitem_id 0
		.amdhsa_next_free_vgpr 15
		.amdhsa_next_free_sgpr 42
		.amdhsa_accum_offset 16
		.amdhsa_reserve_vcc 1
		.amdhsa_float_round_mode_32 0
		.amdhsa_float_round_mode_16_64 0
		.amdhsa_float_denorm_mode_32 3
		.amdhsa_float_denorm_mode_16_64 3
		.amdhsa_dx10_clamp 1
		.amdhsa_ieee_mode 1
		.amdhsa_fp16_overflow 0
		.amdhsa_tg_split 0
		.amdhsa_exception_fp_ieee_invalid_op 0
		.amdhsa_exception_fp_denorm_src 0
		.amdhsa_exception_fp_ieee_div_zero 0
		.amdhsa_exception_fp_ieee_overflow 0
		.amdhsa_exception_fp_ieee_underflow 0
		.amdhsa_exception_fp_ieee_inexact 0
		.amdhsa_exception_int_div_zero 0
	.end_amdhsa_kernel
	.section	.text._ZN5aiter23act_and_mul_bias_kernelIDF16_DF16_hfTnPFfRKT2_EXadL_ZNS_11gelu_kernelIfEEfRKT_EELi1EEEvPT0_PS8_PKT1_PS2_il,"axG",@progbits,_ZN5aiter23act_and_mul_bias_kernelIDF16_DF16_hfTnPFfRKT2_EXadL_ZNS_11gelu_kernelIfEEfRKT_EELi1EEEvPT0_PS8_PKT1_PS2_il,comdat
.Lfunc_end372:
	.size	_ZN5aiter23act_and_mul_bias_kernelIDF16_DF16_hfTnPFfRKT2_EXadL_ZNS_11gelu_kernelIfEEfRKT_EELi1EEEvPT0_PS8_PKT1_PS2_il, .Lfunc_end372-_ZN5aiter23act_and_mul_bias_kernelIDF16_DF16_hfTnPFfRKT2_EXadL_ZNS_11gelu_kernelIfEEfRKT_EELi1EEEvPT0_PS8_PKT1_PS2_il
                                        ; -- End function
	.section	.AMDGPU.csdata,"",@progbits
; Kernel info:
; codeLenInByte = 948
; NumSgprs: 48
; NumVgprs: 15
; NumAgprs: 0
; TotalNumVgprs: 15
; ScratchSize: 0
; MemoryBound: 0
; FloatMode: 240
; IeeeMode: 1
; LDSByteSize: 0 bytes/workgroup (compile time only)
; SGPRBlocks: 5
; VGPRBlocks: 1
; NumSGPRsForWavesPerEU: 48
; NumVGPRsForWavesPerEU: 15
; AccumOffset: 16
; Occupancy: 8
; WaveLimiterHint : 0
; COMPUTE_PGM_RSRC2:SCRATCH_EN: 0
; COMPUTE_PGM_RSRC2:USER_SGPR: 2
; COMPUTE_PGM_RSRC2:TRAP_HANDLER: 0
; COMPUTE_PGM_RSRC2:TGID_X_EN: 1
; COMPUTE_PGM_RSRC2:TGID_Y_EN: 0
; COMPUTE_PGM_RSRC2:TGID_Z_EN: 0
; COMPUTE_PGM_RSRC2:TIDIG_COMP_CNT: 0
; COMPUTE_PGM_RSRC3_GFX90A:ACCUM_OFFSET: 3
; COMPUTE_PGM_RSRC3_GFX90A:TG_SPLIT: 0
	.section	.text._ZN5aiter23act_and_mul_bias_kernelItthfTnPFfRKT2_EXadL_ZNS_11gelu_kernelIfEEfRKT_EELi32EEEvPT0_PS8_PKT1_PS2_il,"axG",@progbits,_ZN5aiter23act_and_mul_bias_kernelItthfTnPFfRKT2_EXadL_ZNS_11gelu_kernelIfEEfRKT_EELi32EEEvPT0_PS8_PKT1_PS2_il,comdat
	.protected	_ZN5aiter23act_and_mul_bias_kernelItthfTnPFfRKT2_EXadL_ZNS_11gelu_kernelIfEEfRKT_EELi32EEEvPT0_PS8_PKT1_PS2_il ; -- Begin function _ZN5aiter23act_and_mul_bias_kernelItthfTnPFfRKT2_EXadL_ZNS_11gelu_kernelIfEEfRKT_EELi32EEEvPT0_PS8_PKT1_PS2_il
	.globl	_ZN5aiter23act_and_mul_bias_kernelItthfTnPFfRKT2_EXadL_ZNS_11gelu_kernelIfEEfRKT_EELi32EEEvPT0_PS8_PKT1_PS2_il
	.p2align	8
	.type	_ZN5aiter23act_and_mul_bias_kernelItthfTnPFfRKT2_EXadL_ZNS_11gelu_kernelIfEEfRKT_EELi32EEEvPT0_PS8_PKT1_PS2_il,@function
_ZN5aiter23act_and_mul_bias_kernelItthfTnPFfRKT2_EXadL_ZNS_11gelu_kernelIfEEfRKT_EELi32EEEvPT0_PS8_PKT1_PS2_il: ; @_ZN5aiter23act_and_mul_bias_kernelItthfTnPFfRKT2_EXadL_ZNS_11gelu_kernelIfEEfRKT_EELi32EEEvPT0_PS8_PKT1_PS2_il
; %bb.0:
	s_load_dwordx2 s[4:5], s[0:1], 0x10
	s_load_dword s24, s[0:1], 0x20
	s_load_dwordx2 s[6:7], s[0:1], 0x28
	v_mov_b32_e32 v1, s2
	s_mov_b32 s9, 0
	s_waitcnt lgkmcnt(0)
	global_load_ubyte v1, v1, s[4:5]
	s_add_i32 s3, s24, 1
	s_load_dwordx2 s[4:5], s[0:1], 0x0
	v_mov_b64_e32 v[2:3], s[6:7]
	s_lshr_b32 s6, s3, 31
	s_ashr_i32 s25, s24, 31
	s_add_i32 s3, s3, s6
	s_mul_hi_u32 s8, s24, s2
	s_mul_i32 s7, s25, s2
	s_lshl_b32 s3, s3, 1
	s_mul_i32 s12, s24, s2
	s_add_i32 s13, s8, s7
	s_and_b32 s6, s3, -4
	s_lshl_b64 s[12:13], s[12:13], 1
	s_mov_b64 s[10:11], -1
	v_lshlrev_b32_e32 v96, 5, v0
	s_waitcnt vmcnt(0)
	v_readfirstlane_b32 s3, v1
	s_and_b32 s8, s3, 0xffff
	s_waitcnt lgkmcnt(0)
	s_add_u32 s4, s4, s12
	v_cmp_lt_i64_e32 vcc, s[8:9], v[2:3]
	s_addc_u32 s3, s5, s13
	s_and_b32 s5, s3, 0xffff
	s_cbranch_vccnz .LBB373_5
; %bb.1:
	v_cmp_gt_i32_e32 vcc, s24, v96
	s_and_saveexec_b64 s[10:11], vcc
	s_cbranch_execz .LBB373_4
; %bb.2:
	s_load_dword s3, s[0:1], 0x3c
	s_mov_b32 s13, 0
	s_mov_b32 s16, s13
	;; [unrolled: 1-line block ×3, first 2 shown]
	v_mov_b32_e32 v97, 0
	v_lshlrev_b32_e32 v6, 6, v0
	s_waitcnt lgkmcnt(0)
	s_and_b32 s3, s3, 0xffff
	s_mov_b32 s18, s13
	s_mov_b32 s19, s13
	v_mov_b64_e32 v[0:1], s[16:17]
	s_lshl_b32 s12, s3, 5
	s_lshl_b32 s3, s3, 6
	s_mov_b64 s[14:15], 0
	s_mov_b32 s7, 0x20000
	v_mov_b64_e32 v[2:3], s[18:19]
	v_mov_b64_e32 v[4:5], v[96:97]
.LBB373_3:                              ; =>This Inner Loop Header: Depth=1
	v_lshl_add_u64 v[4:5], s[12:13], 0, v[4:5]
	v_cmp_le_i64_e32 vcc, s[24:25], v[4:5]
	buffer_store_dwordx4 v[0:3], v6, s[4:7], 0 offen
	buffer_store_dwordx4 v[0:3], v6, s[4:7], 16 offen
	;; [unrolled: 1-line block ×4, first 2 shown]
	s_or_b64 s[14:15], vcc, s[14:15]
	v_add_u32_e32 v6, s3, v6
	s_andn2_b64 exec, exec, s[14:15]
	s_cbranch_execnz .LBB373_3
.LBB373_4:
	s_or_b64 exec, exec, s[10:11]
	s_mov_b64 s[10:11], 0
.LBB373_5:
	s_andn2_b64 vcc, exec, s[10:11]
	s_cbranch_vccnz .LBB373_137
; %bb.6:
	v_cmp_gt_i32_e32 vcc, s24, v96
	s_and_saveexec_b64 s[10:11], vcc
	s_cbranch_execz .LBB373_137
; %bb.7:
	s_load_dwordx2 s[10:11], s[0:1], 0x18
	s_load_dwordx2 s[14:15], s[0:1], 0x8
	s_mul_hi_i32 s9, s24, s8
	s_mul_i32 s8, s24, s8
	s_lshl_b64 s[8:9], s[8:9], 3
	s_waitcnt lgkmcnt(0)
	s_add_u32 s8, s10, s8
	s_addc_u32 s3, s11, s9
	s_lshl_b64 s[10:11], s[24:25], 2
	s_add_u32 s12, s8, s10
	s_addc_u32 s13, s3, s11
	s_and_b32 s9, s3, 0xffff
	s_mul_i32 s3, s2, s25
	s_mul_hi_u32 s16, s2, s24
	s_add_i32 s3, s16, s3
	s_mul_i32 s2, s2, s24
	s_lshl_b32 s10, s24, 2
	s_and_b32 s13, s13, 0xffff
	s_lshl_b64 s[2:3], s[2:3], 2
	s_add_u32 s16, s14, s2
	s_addc_u32 s14, s15, s3
	s_lshl_b64 s[2:3], s[24:25], 1
	s_add_u32 s20, s16, s2
	s_addc_u32 s2, s14, s3
	s_and_b32 s17, s14, 0xffff
	s_and_b32 s21, s2, 0xffff
	s_mov_b32 s7, 0x20000
	s_add_u32 s0, s0, 48
	s_mov_b32 s11, s7
	s_mov_b64 s[22:23], s[6:7]
	v_mov_b32_e32 v97, 0
	s_addc_u32 s1, s1, 0
	s_mov_b64 s[2:3], 0
	s_mov_b32 s18, s6
	s_mov_b32 s19, s7
	;; [unrolled: 1-line block ×3, first 2 shown]
	s_movk_i32 s28, 0x50
	s_movk_i32 s29, 0x60
	;; [unrolled: 1-line block ×3, first 2 shown]
	s_mov_b32 s31, 0x378e98ab
	s_mov_b32 s33, 0x3b7cd369
	;; [unrolled: 1-line block ×9, first 2 shown]
	v_mov_b32_e32 v98, 0x3ba10414
	s_brev_b32 s41, -2
	s_mov_b32 s42, 0x7060302
	v_mov_b32_e32 v99, 0xb9c68948
	v_mov_b32_e32 v100, 0x7f800000
                                        ; implicit-def: $vgpr0
                                        ; implicit-def: $vgpr0
	;; [unrolled: 1-line block ×4, first 2 shown]
	s_branch .LBB373_9
.LBB373_8:                              ;   in Loop: Header=BB373_9 Depth=1
	s_or_b64 exec, exec, s[14:15]
	v_bfi_b32 v8, s41, v9, v8
	v_mul_f32_e32 v2, 0.5, v2
	v_add_f32_e32 v8, 1.0, v8
	v_mul_f32_e32 v2, v2, v8
	v_and_b32_e32 v8, 0xffff0000, v3
	v_add_f32_e32 v7, v7, v8
	v_lshlrev_b32_e32 v3, 16, v3
	v_bfi_b32 v8, s41, v12, v11
	v_add_f32_e32 v6, v6, v3
	v_mul_f32_e32 v3, 0.5, v10
	v_add_f32_e32 v8, 1.0, v8
	v_mul_f32_e32 v3, v3, v8
	;;#ASMSTART
	v_pk_mul_f32 v[2:3], v[2:3], v[6:7]
	;;#ASMEND
	s_load_dword s14, s[0:1], 0xc
	v_perm_b32 v9, v75, v74, s42
	v_perm_b32 v8, v77, v76, s42
	;; [unrolled: 1-line block ×4, first 2 shown]
	s_waitcnt lgkmcnt(0)
	s_and_b32 s14, s14, 0xffff
	s_lshl_b32 s26, s14, 5
	v_lshl_add_u64 v[96:97], s[26:27], 0, v[96:97]
	buffer_store_dwordx4 v[6:9], v101, s[4:7], 0 offen
	v_cmp_le_i64_e32 vcc, s[24:25], v[96:97]
	v_perm_b32 v3, v3, v2, s42
	v_perm_b32 v9, v51, v50, s42
	v_perm_b32 v8, v53, v52, s42
	v_perm_b32 v7, v49, v48, s42
	v_perm_b32 v6, v65, v64, s42
	buffer_store_dwordx4 v[6:9], v101, s[4:7], 16 offen
	v_perm_b32 v2, v5, v4, s42
	v_perm_b32 v1, v1, v0, s42
	;; [unrolled: 1-line block ×7, first 2 shown]
	s_or_b64 s[2:3], vcc, s[2:3]
	buffer_store_dwordx4 v[6:9], v101, s[4:7], 32 offen
	buffer_store_dwordx4 v[0:3], v101, s[4:7], 48 offen
	s_andn2_b64 exec, exec, s[2:3]
	s_cbranch_execz .LBB373_137
.LBB373_9:                              ; =>This Inner Loop Header: Depth=1
	v_lshlrev_b32_e32 v101, 1, v96
	v_lshlrev_b32_e32 v4, 2, v96
	s_mov_b32 s14, s10
	s_mov_b32 s15, s11
	buffer_load_dwordx4 v[80:83], v101, s[16:19], 0 offen
	buffer_load_dwordx4 v[56:59], v101, s[16:19], 16 offen
	buffer_load_dwordx4 v[32:35], v101, s[16:19], 32 offen
	buffer_load_dwordx4 v[8:11], v101, s[16:19], 48 offen
	buffer_load_dwordx4 v[72:75], v101, s[20:23], 0 offen
	buffer_load_dwordx4 v[48:51], v101, s[20:23], 16 offen
	buffer_load_dwordx4 v[24:27], v101, s[20:23], 32 offen
	buffer_load_dwordx4 v[0:3], v101, s[20:23], 48 offen
	buffer_load_dwordx4 v[92:95], v4, s[8:11], 0 offen
	buffer_load_dwordx4 v[84:87], v4, s[8:11], 16 offen
	buffer_load_dwordx4 v[68:71], v4, s[8:11], 32 offen
	buffer_load_dwordx4 v[60:63], v4, s[8:11], 48 offen
	buffer_load_dwordx4 v[44:47], v4, s[8:11], 64 offen
	buffer_load_dwordx4 v[36:39], v4, s[8:11], s28 offen
	buffer_load_dwordx4 v[20:23], v4, s[8:11], s29 offen
	buffer_load_dwordx4 v[12:15], v4, s[8:11], s30 offen
	buffer_load_dwordx4 v[88:91], v4, s[12:15], 0 offen
	buffer_load_dwordx4 v[76:79], v4, s[12:15], 16 offen
	buffer_load_dwordx4 v[64:67], v4, s[12:15], 32 offen
	buffer_load_dwordx4 v[52:55], v4, s[12:15], 48 offen
	buffer_load_dwordx4 v[40:43], v4, s[12:15], 64 offen
	buffer_load_dwordx4 v[28:31], v4, s[12:15], s28 offen
	buffer_load_dwordx4 v[16:19], v4, s[12:15], s29 offen
	s_nop 0
	buffer_load_dwordx4 v[4:7], v4, s[12:15], s30 offen
                                        ; implicit-def: $vgpr103
	s_waitcnt vmcnt(23)
	v_lshlrev_b32_e32 v102, 16, v80
	s_waitcnt vmcnt(15)
	v_add_f32_e32 v92, v92, v102
	v_mul_f32_e32 v102, 0x3f3504f3, v92
	v_cmp_nlt_f32_e64 s[14:15], |v102|, 1.0
	s_and_saveexec_b64 s[44:45], s[14:15]
	s_xor_b64 s[14:15], exec, s[44:45]
	s_cbranch_execz .LBB373_11
; %bb.10:                               ;   in Loop: Header=BB373_9 Depth=1
	v_fma_f32 v103, |v102|, s31, v99
	v_fma_f32 v103, |v102|, v103, s33
	;; [unrolled: 1-line block ×6, first 2 shown]
	v_fma_f32 v103, |v102|, v103, |v102|
	v_mul_f32_e32 v104, 0xbfb8aa3b, v103
	v_fma_f32 v105, v103, s38, -v104
	v_rndne_f32_e32 v106, v104
	v_fmac_f32_e32 v105, 0xb2a5705f, v103
	v_sub_f32_e32 v104, v104, v106
	v_add_f32_e32 v104, v104, v105
	v_cvt_i32_f32_e32 v105, v106
	v_exp_f32_e32 v104, v104
	v_cmp_nlt_f32_e32 vcc, s39, v103
	v_ldexp_f32 v104, v104, v105
	s_nop 0
	v_cndmask_b32_e32 v104, 0, v104, vcc
	v_cmp_ngt_f32_e32 vcc, s40, v103
	s_nop 1
	v_cndmask_b32_e32 v103, v100, v104, vcc
	v_sub_f32_e32 v103, 1.0, v103
.LBB373_11:                             ;   in Loop: Header=BB373_9 Depth=1
	s_andn2_saveexec_b64 s[14:15], s[14:15]
; %bb.12:                               ;   in Loop: Header=BB373_9 Depth=1
	v_mul_f32_e32 v103, v102, v102
	v_fmamk_f32 v104, v103, 0xba1345e1, v98
	v_fmaak_f32 v104, v103, v104, 0xbcdac9b8
	v_fmaak_f32 v104, v103, v104, 0x3de703be
	;; [unrolled: 1-line block ×4, first 2 shown]
	v_fma_f32 v103, |v102|, v103, |v102|
; %bb.13:                               ;   in Loop: Header=BB373_9 Depth=1
	s_or_b64 exec, exec, s[14:15]
	v_and_b32_e32 v80, 0xffff0000, v80
	v_add_f32_e32 v80, v93, v80
	v_mul_f32_e32 v93, 0x3f3504f3, v80
	v_cmp_nlt_f32_e64 s[14:15], |v93|, 1.0
                                        ; implicit-def: $vgpr104
	s_and_saveexec_b64 s[44:45], s[14:15]
	s_xor_b64 s[14:15], exec, s[44:45]
	s_cbranch_execz .LBB373_15
; %bb.14:                               ;   in Loop: Header=BB373_9 Depth=1
	v_fma_f32 v104, |v93|, s31, v99
	v_fma_f32 v104, |v93|, v104, s33
	;; [unrolled: 1-line block ×6, first 2 shown]
	v_fma_f32 v104, |v93|, v104, |v93|
	v_mul_f32_e32 v105, 0xbfb8aa3b, v104
	v_fma_f32 v106, v104, s38, -v105
	v_rndne_f32_e32 v107, v105
	v_fmac_f32_e32 v106, 0xb2a5705f, v104
	v_sub_f32_e32 v105, v105, v107
	v_add_f32_e32 v105, v105, v106
	v_cvt_i32_f32_e32 v106, v107
	v_exp_f32_e32 v105, v105
	v_cmp_nlt_f32_e32 vcc, s39, v104
	v_ldexp_f32 v105, v105, v106
	s_nop 0
	v_cndmask_b32_e32 v105, 0, v105, vcc
	v_cmp_ngt_f32_e32 vcc, s40, v104
	s_nop 1
	v_cndmask_b32_e32 v104, v100, v105, vcc
	v_sub_f32_e32 v104, 1.0, v104
.LBB373_15:                             ;   in Loop: Header=BB373_9 Depth=1
	s_andn2_saveexec_b64 s[14:15], s[14:15]
; %bb.16:                               ;   in Loop: Header=BB373_9 Depth=1
	v_mul_f32_e32 v104, v93, v93
	v_fmamk_f32 v105, v104, 0xba1345e1, v98
	v_fmaak_f32 v105, v104, v105, 0xbcdac9b8
	v_fmaak_f32 v105, v104, v105, 0x3de703be
	;; [unrolled: 1-line block ×4, first 2 shown]
	v_fma_f32 v104, |v93|, v104, |v93|
; %bb.17:                               ;   in Loop: Header=BB373_9 Depth=1
	s_or_b64 exec, exec, s[14:15]
	v_bfi_b32 v102, s41, v103, v102
	v_mul_f32_e32 v92, 0.5, v92
	v_add_f32_e32 v102, 1.0, v102
	v_mul_f32_e32 v92, v92, v102
	v_and_b32_e32 v102, 0xffff0000, v72
	v_lshlrev_b32_e32 v72, 16, v72
	s_waitcnt vmcnt(7)
	v_add_f32_e32 v88, v88, v72
	v_mul_f32_e32 v72, 0.5, v80
	v_bfi_b32 v80, s41, v104, v93
	v_add_f32_e32 v80, 1.0, v80
	v_mul_f32_e32 v93, v72, v80
	v_lshlrev_b32_e32 v72, 16, v81
	v_add_f32_e32 v72, v94, v72
	v_mul_f32_e32 v80, 0x3f3504f3, v72
	v_add_f32_e32 v89, v89, v102
	v_cmp_nlt_f32_e64 s[14:15], |v80|, 1.0
	;;#ASMSTART
	v_pk_mul_f32 v[88:89], v[92:93], v[88:89]
	;;#ASMEND
                                        ; implicit-def: $vgpr92
	s_and_saveexec_b64 s[44:45], s[14:15]
	s_xor_b64 s[14:15], exec, s[44:45]
	s_cbranch_execz .LBB373_19
; %bb.18:                               ;   in Loop: Header=BB373_9 Depth=1
	v_fma_f32 v92, |v80|, s31, v99
	v_fma_f32 v92, |v80|, v92, s33
	;; [unrolled: 1-line block ×6, first 2 shown]
	v_fma_f32 v92, |v80|, v92, |v80|
	v_mul_f32_e32 v93, 0xbfb8aa3b, v92
	v_fma_f32 v94, v92, s38, -v93
	v_rndne_f32_e32 v102, v93
	v_fmac_f32_e32 v94, 0xb2a5705f, v92
	v_sub_f32_e32 v93, v93, v102
	v_add_f32_e32 v93, v93, v94
	v_cvt_i32_f32_e32 v94, v102
	v_exp_f32_e32 v93, v93
	v_cmp_nlt_f32_e32 vcc, s39, v92
	v_ldexp_f32 v93, v93, v94
	s_nop 0
	v_cndmask_b32_e32 v93, 0, v93, vcc
	v_cmp_ngt_f32_e32 vcc, s40, v92
	s_nop 1
	v_cndmask_b32_e32 v92, v100, v93, vcc
	v_sub_f32_e32 v92, 1.0, v92
.LBB373_19:                             ;   in Loop: Header=BB373_9 Depth=1
	s_andn2_saveexec_b64 s[14:15], s[14:15]
; %bb.20:                               ;   in Loop: Header=BB373_9 Depth=1
	v_mul_f32_e32 v92, v80, v80
	v_fmamk_f32 v93, v92, 0xba1345e1, v98
	v_fmaak_f32 v93, v92, v93, 0xbcdac9b8
	v_fmaak_f32 v93, v92, v93, 0x3de703be
	v_fmaak_f32 v93, v92, v93, 0xbec09330
	v_fmaak_f32 v92, v92, v93, 0x3e0375d0
	v_fma_f32 v92, |v80|, v92, |v80|
; %bb.21:                               ;   in Loop: Header=BB373_9 Depth=1
	s_or_b64 exec, exec, s[14:15]
	v_and_b32_e32 v81, 0xffff0000, v81
	v_add_f32_e32 v81, v95, v81
	v_mul_f32_e32 v93, 0x3f3504f3, v81
	v_cmp_nlt_f32_e64 s[14:15], |v93|, 1.0
                                        ; implicit-def: $vgpr94
	s_and_saveexec_b64 s[44:45], s[14:15]
	s_xor_b64 s[14:15], exec, s[44:45]
	s_cbranch_execz .LBB373_23
; %bb.22:                               ;   in Loop: Header=BB373_9 Depth=1
	v_fma_f32 v94, |v93|, s31, v99
	v_fma_f32 v94, |v93|, v94, s33
	;; [unrolled: 1-line block ×6, first 2 shown]
	v_fma_f32 v94, |v93|, v94, |v93|
	v_mul_f32_e32 v95, 0xbfb8aa3b, v94
	v_fma_f32 v102, v94, s38, -v95
	v_rndne_f32_e32 v103, v95
	v_fmac_f32_e32 v102, 0xb2a5705f, v94
	v_sub_f32_e32 v95, v95, v103
	v_add_f32_e32 v95, v95, v102
	v_cvt_i32_f32_e32 v102, v103
	v_exp_f32_e32 v95, v95
	v_cmp_nlt_f32_e32 vcc, s39, v94
	v_ldexp_f32 v95, v95, v102
	s_nop 0
	v_cndmask_b32_e32 v95, 0, v95, vcc
	v_cmp_ngt_f32_e32 vcc, s40, v94
	s_nop 1
	v_cndmask_b32_e32 v94, v100, v95, vcc
	v_sub_f32_e32 v94, 1.0, v94
.LBB373_23:                             ;   in Loop: Header=BB373_9 Depth=1
	s_andn2_saveexec_b64 s[14:15], s[14:15]
; %bb.24:                               ;   in Loop: Header=BB373_9 Depth=1
	v_mul_f32_e32 v94, v93, v93
	v_fmamk_f32 v95, v94, 0xba1345e1, v98
	v_fmaak_f32 v95, v94, v95, 0xbcdac9b8
	v_fmaak_f32 v95, v94, v95, 0x3de703be
	;; [unrolled: 1-line block ×4, first 2 shown]
	v_fma_f32 v94, |v93|, v94, |v93|
; %bb.25:                               ;   in Loop: Header=BB373_9 Depth=1
	s_or_b64 exec, exec, s[14:15]
	v_bfi_b32 v80, s41, v92, v80
	v_mul_f32_e32 v72, 0.5, v72
	v_add_f32_e32 v80, 1.0, v80
	v_mul_f32_e32 v72, v72, v80
	v_and_b32_e32 v80, 0xffff0000, v73
	v_add_f32_e32 v91, v91, v80
	v_lshlrev_b32_e32 v73, 16, v73
	v_bfi_b32 v80, s41, v94, v93
	v_add_f32_e32 v90, v90, v73
	v_mul_f32_e32 v73, 0.5, v81
	v_add_f32_e32 v80, 1.0, v80
	v_mul_f32_e32 v73, v73, v80
	v_lshlrev_b32_e32 v80, 16, v82
	v_add_f32_e32 v80, v84, v80
	v_mul_f32_e32 v81, 0x3f3504f3, v80
	v_cmp_nlt_f32_e64 s[14:15], |v81|, 1.0
	;;#ASMSTART
	v_pk_mul_f32 v[72:73], v[72:73], v[90:91]
	;;#ASMEND
                                        ; implicit-def: $vgpr84
	s_and_saveexec_b64 s[44:45], s[14:15]
	s_xor_b64 s[14:15], exec, s[44:45]
	s_cbranch_execz .LBB373_27
; %bb.26:                               ;   in Loop: Header=BB373_9 Depth=1
	v_fma_f32 v84, |v81|, s31, v99
	v_fma_f32 v84, |v81|, v84, s33
	;; [unrolled: 1-line block ×6, first 2 shown]
	v_fma_f32 v84, |v81|, v84, |v81|
	v_mul_f32_e32 v90, 0xbfb8aa3b, v84
	v_fma_f32 v91, v84, s38, -v90
	v_rndne_f32_e32 v92, v90
	v_fmac_f32_e32 v91, 0xb2a5705f, v84
	v_sub_f32_e32 v90, v90, v92
	v_add_f32_e32 v90, v90, v91
	v_cvt_i32_f32_e32 v91, v92
	v_exp_f32_e32 v90, v90
	v_cmp_nlt_f32_e32 vcc, s39, v84
	v_ldexp_f32 v90, v90, v91
	s_nop 0
	v_cndmask_b32_e32 v90, 0, v90, vcc
	v_cmp_ngt_f32_e32 vcc, s40, v84
	s_nop 1
	v_cndmask_b32_e32 v84, v100, v90, vcc
	v_sub_f32_e32 v84, 1.0, v84
.LBB373_27:                             ;   in Loop: Header=BB373_9 Depth=1
	s_andn2_saveexec_b64 s[14:15], s[14:15]
; %bb.28:                               ;   in Loop: Header=BB373_9 Depth=1
	v_mul_f32_e32 v84, v81, v81
	v_fmamk_f32 v90, v84, 0xba1345e1, v98
	v_fmaak_f32 v90, v84, v90, 0xbcdac9b8
	v_fmaak_f32 v90, v84, v90, 0x3de703be
	;; [unrolled: 1-line block ×4, first 2 shown]
	v_fma_f32 v84, |v81|, v84, |v81|
; %bb.29:                               ;   in Loop: Header=BB373_9 Depth=1
	s_or_b64 exec, exec, s[14:15]
	v_and_b32_e32 v82, 0xffff0000, v82
	v_add_f32_e32 v82, v85, v82
	v_mul_f32_e32 v85, 0x3f3504f3, v82
	v_cmp_nlt_f32_e64 s[14:15], |v85|, 1.0
                                        ; implicit-def: $vgpr90
	s_and_saveexec_b64 s[44:45], s[14:15]
	s_xor_b64 s[14:15], exec, s[44:45]
	s_cbranch_execz .LBB373_31
; %bb.30:                               ;   in Loop: Header=BB373_9 Depth=1
	v_fma_f32 v90, |v85|, s31, v99
	v_fma_f32 v90, |v85|, v90, s33
	;; [unrolled: 1-line block ×6, first 2 shown]
	v_fma_f32 v90, |v85|, v90, |v85|
	v_mul_f32_e32 v91, 0xbfb8aa3b, v90
	v_fma_f32 v92, v90, s38, -v91
	v_rndne_f32_e32 v93, v91
	v_fmac_f32_e32 v92, 0xb2a5705f, v90
	v_sub_f32_e32 v91, v91, v93
	v_add_f32_e32 v91, v91, v92
	v_cvt_i32_f32_e32 v92, v93
	v_exp_f32_e32 v91, v91
	v_cmp_nlt_f32_e32 vcc, s39, v90
	v_ldexp_f32 v91, v91, v92
	s_nop 0
	v_cndmask_b32_e32 v91, 0, v91, vcc
	v_cmp_ngt_f32_e32 vcc, s40, v90
	s_nop 1
	v_cndmask_b32_e32 v90, v100, v91, vcc
	v_sub_f32_e32 v90, 1.0, v90
.LBB373_31:                             ;   in Loop: Header=BB373_9 Depth=1
	s_andn2_saveexec_b64 s[14:15], s[14:15]
; %bb.32:                               ;   in Loop: Header=BB373_9 Depth=1
	v_mul_f32_e32 v90, v85, v85
	v_fmamk_f32 v91, v90, 0xba1345e1, v98
	v_fmaak_f32 v91, v90, v91, 0xbcdac9b8
	v_fmaak_f32 v91, v90, v91, 0x3de703be
	;; [unrolled: 1-line block ×4, first 2 shown]
	v_fma_f32 v90, |v85|, v90, |v85|
; %bb.33:                               ;   in Loop: Header=BB373_9 Depth=1
	s_or_b64 exec, exec, s[14:15]
	v_bfi_b32 v81, s41, v84, v81
	v_mul_f32_e32 v80, 0.5, v80
	v_add_f32_e32 v81, 1.0, v81
	v_mul_f32_e32 v80, v80, v81
	v_and_b32_e32 v81, 0xffff0000, v74
	s_waitcnt vmcnt(6)
	v_add_f32_e32 v77, v77, v81
	v_lshlrev_b32_e32 v74, 16, v74
	v_bfi_b32 v81, s41, v90, v85
	v_add_f32_e32 v76, v76, v74
	v_mul_f32_e32 v74, 0.5, v82
	v_add_f32_e32 v81, 1.0, v81
	v_mul_f32_e32 v81, v74, v81
	v_lshlrev_b32_e32 v74, 16, v83
	v_add_f32_e32 v74, v86, v74
	;;#ASMSTART
	v_pk_mul_f32 v[76:77], v[80:81], v[76:77]
	;;#ASMEND
	v_mul_f32_e32 v80, 0x3f3504f3, v74
	v_cmp_nlt_f32_e64 s[14:15], |v80|, 1.0
                                        ; implicit-def: $vgpr81
	s_and_saveexec_b64 s[44:45], s[14:15]
	s_xor_b64 s[14:15], exec, s[44:45]
	s_cbranch_execz .LBB373_35
; %bb.34:                               ;   in Loop: Header=BB373_9 Depth=1
	v_fma_f32 v81, |v80|, s31, v99
	v_fma_f32 v81, |v80|, v81, s33
	;; [unrolled: 1-line block ×6, first 2 shown]
	v_fma_f32 v81, |v80|, v81, |v80|
	v_mul_f32_e32 v82, 0xbfb8aa3b, v81
	v_fma_f32 v84, v81, s38, -v82
	v_rndne_f32_e32 v85, v82
	v_fmac_f32_e32 v84, 0xb2a5705f, v81
	v_sub_f32_e32 v82, v82, v85
	v_add_f32_e32 v82, v82, v84
	v_cvt_i32_f32_e32 v84, v85
	v_exp_f32_e32 v82, v82
	v_cmp_nlt_f32_e32 vcc, s39, v81
	v_ldexp_f32 v82, v82, v84
	s_nop 0
	v_cndmask_b32_e32 v82, 0, v82, vcc
	v_cmp_ngt_f32_e32 vcc, s40, v81
	s_nop 1
	v_cndmask_b32_e32 v81, v100, v82, vcc
	v_sub_f32_e32 v81, 1.0, v81
.LBB373_35:                             ;   in Loop: Header=BB373_9 Depth=1
	s_andn2_saveexec_b64 s[14:15], s[14:15]
; %bb.36:                               ;   in Loop: Header=BB373_9 Depth=1
	v_mul_f32_e32 v81, v80, v80
	v_fmamk_f32 v82, v81, 0xba1345e1, v98
	v_fmaak_f32 v82, v81, v82, 0xbcdac9b8
	v_fmaak_f32 v82, v81, v82, 0x3de703be
	;; [unrolled: 1-line block ×4, first 2 shown]
	v_fma_f32 v81, |v80|, v81, |v80|
; %bb.37:                               ;   in Loop: Header=BB373_9 Depth=1
	s_or_b64 exec, exec, s[14:15]
	v_and_b32_e32 v82, 0xffff0000, v83
	v_add_f32_e32 v82, v87, v82
	v_mul_f32_e32 v83, 0x3f3504f3, v82
	v_cmp_nlt_f32_e64 s[14:15], |v83|, 1.0
                                        ; implicit-def: $vgpr84
	s_and_saveexec_b64 s[44:45], s[14:15]
	s_xor_b64 s[14:15], exec, s[44:45]
	s_cbranch_execz .LBB373_39
; %bb.38:                               ;   in Loop: Header=BB373_9 Depth=1
	v_fma_f32 v84, |v83|, s31, v99
	v_fma_f32 v84, |v83|, v84, s33
	;; [unrolled: 1-line block ×6, first 2 shown]
	v_fma_f32 v84, |v83|, v84, |v83|
	v_mul_f32_e32 v85, 0xbfb8aa3b, v84
	v_fma_f32 v86, v84, s38, -v85
	v_rndne_f32_e32 v87, v85
	v_fmac_f32_e32 v86, 0xb2a5705f, v84
	v_sub_f32_e32 v85, v85, v87
	v_add_f32_e32 v85, v85, v86
	v_cvt_i32_f32_e32 v86, v87
	v_exp_f32_e32 v85, v85
	v_cmp_nlt_f32_e32 vcc, s39, v84
	v_ldexp_f32 v85, v85, v86
	s_nop 0
	v_cndmask_b32_e32 v85, 0, v85, vcc
	v_cmp_ngt_f32_e32 vcc, s40, v84
	s_nop 1
	v_cndmask_b32_e32 v84, v100, v85, vcc
	v_sub_f32_e32 v84, 1.0, v84
.LBB373_39:                             ;   in Loop: Header=BB373_9 Depth=1
	s_andn2_saveexec_b64 s[14:15], s[14:15]
; %bb.40:                               ;   in Loop: Header=BB373_9 Depth=1
	v_mul_f32_e32 v84, v83, v83
	v_fmamk_f32 v85, v84, 0xba1345e1, v98
	v_fmaak_f32 v85, v84, v85, 0xbcdac9b8
	v_fmaak_f32 v85, v84, v85, 0x3de703be
	;; [unrolled: 1-line block ×4, first 2 shown]
	v_fma_f32 v84, |v83|, v84, |v83|
; %bb.41:                               ;   in Loop: Header=BB373_9 Depth=1
	s_or_b64 exec, exec, s[14:15]
	v_bfi_b32 v80, s41, v81, v80
	v_mul_f32_e32 v74, 0.5, v74
	v_add_f32_e32 v80, 1.0, v80
	v_mul_f32_e32 v74, v74, v80
	v_and_b32_e32 v80, 0xffff0000, v75
	v_add_f32_e32 v79, v79, v80
	v_lshlrev_b32_e32 v75, 16, v75
	v_bfi_b32 v80, s41, v84, v83
	v_add_f32_e32 v78, v78, v75
	v_mul_f32_e32 v75, 0.5, v82
	v_add_f32_e32 v80, 1.0, v80
	v_mul_f32_e32 v75, v75, v80
	;;#ASMSTART
	v_pk_mul_f32 v[74:75], v[74:75], v[78:79]
	;;#ASMEND
	v_lshlrev_b32_e32 v78, 16, v56
	v_add_f32_e32 v68, v68, v78
	v_mul_f32_e32 v78, 0x3f3504f3, v68
	v_cmp_nlt_f32_e64 s[14:15], |v78|, 1.0
                                        ; implicit-def: $vgpr79
	s_and_saveexec_b64 s[44:45], s[14:15]
	s_xor_b64 s[14:15], exec, s[44:45]
	s_cbranch_execz .LBB373_43
; %bb.42:                               ;   in Loop: Header=BB373_9 Depth=1
	v_fma_f32 v79, |v78|, s31, v99
	v_fma_f32 v79, |v78|, v79, s33
	;; [unrolled: 1-line block ×6, first 2 shown]
	v_fma_f32 v79, |v78|, v79, |v78|
	v_mul_f32_e32 v80, 0xbfb8aa3b, v79
	v_fma_f32 v81, v79, s38, -v80
	v_rndne_f32_e32 v82, v80
	v_fmac_f32_e32 v81, 0xb2a5705f, v79
	v_sub_f32_e32 v80, v80, v82
	v_add_f32_e32 v80, v80, v81
	v_cvt_i32_f32_e32 v81, v82
	v_exp_f32_e32 v80, v80
	v_cmp_nlt_f32_e32 vcc, s39, v79
	v_ldexp_f32 v80, v80, v81
	s_nop 0
	v_cndmask_b32_e32 v80, 0, v80, vcc
	v_cmp_ngt_f32_e32 vcc, s40, v79
	s_nop 1
	v_cndmask_b32_e32 v79, v100, v80, vcc
	v_sub_f32_e32 v79, 1.0, v79
.LBB373_43:                             ;   in Loop: Header=BB373_9 Depth=1
	s_andn2_saveexec_b64 s[14:15], s[14:15]
; %bb.44:                               ;   in Loop: Header=BB373_9 Depth=1
	v_mul_f32_e32 v79, v78, v78
	v_fmamk_f32 v80, v79, 0xba1345e1, v98
	v_fmaak_f32 v80, v79, v80, 0xbcdac9b8
	v_fmaak_f32 v80, v79, v80, 0x3de703be
	;; [unrolled: 1-line block ×4, first 2 shown]
	v_fma_f32 v79, |v78|, v79, |v78|
; %bb.45:                               ;   in Loop: Header=BB373_9 Depth=1
	s_or_b64 exec, exec, s[14:15]
	v_and_b32_e32 v56, 0xffff0000, v56
	v_add_f32_e32 v56, v69, v56
	v_mul_f32_e32 v69, 0x3f3504f3, v56
	v_cmp_nlt_f32_e64 s[14:15], |v69|, 1.0
                                        ; implicit-def: $vgpr80
	s_and_saveexec_b64 s[44:45], s[14:15]
	s_xor_b64 s[14:15], exec, s[44:45]
	s_cbranch_execz .LBB373_47
; %bb.46:                               ;   in Loop: Header=BB373_9 Depth=1
	v_fma_f32 v80, |v69|, s31, v99
	v_fma_f32 v80, |v69|, v80, s33
	;; [unrolled: 1-line block ×6, first 2 shown]
	v_fma_f32 v80, |v69|, v80, |v69|
	v_mul_f32_e32 v81, 0xbfb8aa3b, v80
	v_fma_f32 v82, v80, s38, -v81
	v_rndne_f32_e32 v83, v81
	v_fmac_f32_e32 v82, 0xb2a5705f, v80
	v_sub_f32_e32 v81, v81, v83
	v_add_f32_e32 v81, v81, v82
	v_cvt_i32_f32_e32 v82, v83
	v_exp_f32_e32 v81, v81
	v_cmp_nlt_f32_e32 vcc, s39, v80
	v_ldexp_f32 v81, v81, v82
	s_nop 0
	v_cndmask_b32_e32 v81, 0, v81, vcc
	v_cmp_ngt_f32_e32 vcc, s40, v80
	s_nop 1
	v_cndmask_b32_e32 v80, v100, v81, vcc
	v_sub_f32_e32 v80, 1.0, v80
.LBB373_47:                             ;   in Loop: Header=BB373_9 Depth=1
	s_andn2_saveexec_b64 s[14:15], s[14:15]
; %bb.48:                               ;   in Loop: Header=BB373_9 Depth=1
	v_mul_f32_e32 v80, v69, v69
	v_fmamk_f32 v81, v80, 0xba1345e1, v98
	v_fmaak_f32 v81, v80, v81, 0xbcdac9b8
	v_fmaak_f32 v81, v80, v81, 0x3de703be
	;; [unrolled: 1-line block ×4, first 2 shown]
	v_fma_f32 v80, |v69|, v80, |v69|
; %bb.49:                               ;   in Loop: Header=BB373_9 Depth=1
	s_or_b64 exec, exec, s[14:15]
	v_bfi_b32 v78, s41, v79, v78
	v_mul_f32_e32 v68, 0.5, v68
	v_add_f32_e32 v78, 1.0, v78
	v_mul_f32_e32 v68, v68, v78
	v_and_b32_e32 v78, 0xffff0000, v48
	v_lshlrev_b32_e32 v48, 16, v48
	s_waitcnt vmcnt(5)
	v_add_f32_e32 v64, v64, v48
	v_mul_f32_e32 v48, 0.5, v56
	v_bfi_b32 v56, s41, v80, v69
	v_add_f32_e32 v56, 1.0, v56
	v_mul_f32_e32 v69, v48, v56
	v_lshlrev_b32_e32 v48, 16, v57
	v_add_f32_e32 v48, v70, v48
	v_mul_f32_e32 v56, 0x3f3504f3, v48
	v_add_f32_e32 v65, v65, v78
	v_cmp_nlt_f32_e64 s[14:15], |v56|, 1.0
	;;#ASMSTART
	v_pk_mul_f32 v[64:65], v[68:69], v[64:65]
	;;#ASMEND
                                        ; implicit-def: $vgpr68
	s_and_saveexec_b64 s[44:45], s[14:15]
	s_xor_b64 s[14:15], exec, s[44:45]
	s_cbranch_execz .LBB373_51
; %bb.50:                               ;   in Loop: Header=BB373_9 Depth=1
	v_fma_f32 v68, |v56|, s31, v99
	v_fma_f32 v68, |v56|, v68, s33
	;; [unrolled: 1-line block ×6, first 2 shown]
	v_fma_f32 v68, |v56|, v68, |v56|
	v_mul_f32_e32 v69, 0xbfb8aa3b, v68
	v_fma_f32 v70, v68, s38, -v69
	v_rndne_f32_e32 v78, v69
	v_fmac_f32_e32 v70, 0xb2a5705f, v68
	v_sub_f32_e32 v69, v69, v78
	v_add_f32_e32 v69, v69, v70
	v_cvt_i32_f32_e32 v70, v78
	v_exp_f32_e32 v69, v69
	v_cmp_nlt_f32_e32 vcc, s39, v68
	v_ldexp_f32 v69, v69, v70
	s_nop 0
	v_cndmask_b32_e32 v69, 0, v69, vcc
	v_cmp_ngt_f32_e32 vcc, s40, v68
	s_nop 1
	v_cndmask_b32_e32 v68, v100, v69, vcc
	v_sub_f32_e32 v68, 1.0, v68
.LBB373_51:                             ;   in Loop: Header=BB373_9 Depth=1
	s_andn2_saveexec_b64 s[14:15], s[14:15]
; %bb.52:                               ;   in Loop: Header=BB373_9 Depth=1
	v_mul_f32_e32 v68, v56, v56
	v_fmamk_f32 v69, v68, 0xba1345e1, v98
	v_fmaak_f32 v69, v68, v69, 0xbcdac9b8
	v_fmaak_f32 v69, v68, v69, 0x3de703be
	;; [unrolled: 1-line block ×4, first 2 shown]
	v_fma_f32 v68, |v56|, v68, |v56|
; %bb.53:                               ;   in Loop: Header=BB373_9 Depth=1
	s_or_b64 exec, exec, s[14:15]
	v_and_b32_e32 v57, 0xffff0000, v57
	v_add_f32_e32 v57, v71, v57
	v_mul_f32_e32 v69, 0x3f3504f3, v57
	v_cmp_nlt_f32_e64 s[14:15], |v69|, 1.0
                                        ; implicit-def: $vgpr70
	s_and_saveexec_b64 s[44:45], s[14:15]
	s_xor_b64 s[14:15], exec, s[44:45]
	s_cbranch_execz .LBB373_55
; %bb.54:                               ;   in Loop: Header=BB373_9 Depth=1
	v_fma_f32 v70, |v69|, s31, v99
	v_fma_f32 v70, |v69|, v70, s33
	;; [unrolled: 1-line block ×6, first 2 shown]
	v_fma_f32 v70, |v69|, v70, |v69|
	v_mul_f32_e32 v71, 0xbfb8aa3b, v70
	v_fma_f32 v78, v70, s38, -v71
	v_rndne_f32_e32 v79, v71
	v_fmac_f32_e32 v78, 0xb2a5705f, v70
	v_sub_f32_e32 v71, v71, v79
	v_add_f32_e32 v71, v71, v78
	v_cvt_i32_f32_e32 v78, v79
	v_exp_f32_e32 v71, v71
	v_cmp_nlt_f32_e32 vcc, s39, v70
	v_ldexp_f32 v71, v71, v78
	s_nop 0
	v_cndmask_b32_e32 v71, 0, v71, vcc
	v_cmp_ngt_f32_e32 vcc, s40, v70
	s_nop 1
	v_cndmask_b32_e32 v70, v100, v71, vcc
	v_sub_f32_e32 v70, 1.0, v70
.LBB373_55:                             ;   in Loop: Header=BB373_9 Depth=1
	s_andn2_saveexec_b64 s[14:15], s[14:15]
; %bb.56:                               ;   in Loop: Header=BB373_9 Depth=1
	v_mul_f32_e32 v70, v69, v69
	v_fmamk_f32 v71, v70, 0xba1345e1, v98
	v_fmaak_f32 v71, v70, v71, 0xbcdac9b8
	v_fmaak_f32 v71, v70, v71, 0x3de703be
	;; [unrolled: 1-line block ×4, first 2 shown]
	v_fma_f32 v70, |v69|, v70, |v69|
; %bb.57:                               ;   in Loop: Header=BB373_9 Depth=1
	s_or_b64 exec, exec, s[14:15]
	v_bfi_b32 v56, s41, v68, v56
	v_mul_f32_e32 v48, 0.5, v48
	v_add_f32_e32 v56, 1.0, v56
	v_mul_f32_e32 v48, v48, v56
	v_and_b32_e32 v56, 0xffff0000, v49
	v_add_f32_e32 v67, v67, v56
	v_lshlrev_b32_e32 v49, 16, v49
	v_bfi_b32 v56, s41, v70, v69
	v_add_f32_e32 v66, v66, v49
	v_mul_f32_e32 v49, 0.5, v57
	v_add_f32_e32 v56, 1.0, v56
	v_mul_f32_e32 v49, v49, v56
	v_lshlrev_b32_e32 v56, 16, v58
	v_add_f32_e32 v56, v60, v56
	v_mul_f32_e32 v57, 0x3f3504f3, v56
	v_cmp_nlt_f32_e64 s[14:15], |v57|, 1.0
	;;#ASMSTART
	v_pk_mul_f32 v[48:49], v[48:49], v[66:67]
	;;#ASMEND
                                        ; implicit-def: $vgpr60
	s_and_saveexec_b64 s[44:45], s[14:15]
	s_xor_b64 s[14:15], exec, s[44:45]
	s_cbranch_execz .LBB373_59
; %bb.58:                               ;   in Loop: Header=BB373_9 Depth=1
	v_fma_f32 v60, |v57|, s31, v99
	v_fma_f32 v60, |v57|, v60, s33
	;; [unrolled: 1-line block ×6, first 2 shown]
	v_fma_f32 v60, |v57|, v60, |v57|
	v_mul_f32_e32 v66, 0xbfb8aa3b, v60
	v_fma_f32 v67, v60, s38, -v66
	v_rndne_f32_e32 v68, v66
	v_fmac_f32_e32 v67, 0xb2a5705f, v60
	v_sub_f32_e32 v66, v66, v68
	v_add_f32_e32 v66, v66, v67
	v_cvt_i32_f32_e32 v67, v68
	v_exp_f32_e32 v66, v66
	v_cmp_nlt_f32_e32 vcc, s39, v60
	v_ldexp_f32 v66, v66, v67
	s_nop 0
	v_cndmask_b32_e32 v66, 0, v66, vcc
	v_cmp_ngt_f32_e32 vcc, s40, v60
	s_nop 1
	v_cndmask_b32_e32 v60, v100, v66, vcc
	v_sub_f32_e32 v60, 1.0, v60
.LBB373_59:                             ;   in Loop: Header=BB373_9 Depth=1
	s_andn2_saveexec_b64 s[14:15], s[14:15]
; %bb.60:                               ;   in Loop: Header=BB373_9 Depth=1
	v_mul_f32_e32 v60, v57, v57
	v_fmamk_f32 v66, v60, 0xba1345e1, v98
	v_fmaak_f32 v66, v60, v66, 0xbcdac9b8
	v_fmaak_f32 v66, v60, v66, 0x3de703be
	;; [unrolled: 1-line block ×4, first 2 shown]
	v_fma_f32 v60, |v57|, v60, |v57|
; %bb.61:                               ;   in Loop: Header=BB373_9 Depth=1
	s_or_b64 exec, exec, s[14:15]
	v_and_b32_e32 v58, 0xffff0000, v58
	v_add_f32_e32 v58, v61, v58
	v_mul_f32_e32 v61, 0x3f3504f3, v58
	v_cmp_nlt_f32_e64 s[14:15], |v61|, 1.0
                                        ; implicit-def: $vgpr66
	s_and_saveexec_b64 s[44:45], s[14:15]
	s_xor_b64 s[14:15], exec, s[44:45]
	s_cbranch_execz .LBB373_63
; %bb.62:                               ;   in Loop: Header=BB373_9 Depth=1
	v_fma_f32 v66, |v61|, s31, v99
	v_fma_f32 v66, |v61|, v66, s33
	;; [unrolled: 1-line block ×6, first 2 shown]
	v_fma_f32 v66, |v61|, v66, |v61|
	v_mul_f32_e32 v67, 0xbfb8aa3b, v66
	v_fma_f32 v68, v66, s38, -v67
	v_rndne_f32_e32 v69, v67
	v_fmac_f32_e32 v68, 0xb2a5705f, v66
	v_sub_f32_e32 v67, v67, v69
	v_add_f32_e32 v67, v67, v68
	v_cvt_i32_f32_e32 v68, v69
	v_exp_f32_e32 v67, v67
	v_cmp_nlt_f32_e32 vcc, s39, v66
	v_ldexp_f32 v67, v67, v68
	s_nop 0
	v_cndmask_b32_e32 v67, 0, v67, vcc
	v_cmp_ngt_f32_e32 vcc, s40, v66
	s_nop 1
	v_cndmask_b32_e32 v66, v100, v67, vcc
	v_sub_f32_e32 v66, 1.0, v66
.LBB373_63:                             ;   in Loop: Header=BB373_9 Depth=1
	s_andn2_saveexec_b64 s[14:15], s[14:15]
; %bb.64:                               ;   in Loop: Header=BB373_9 Depth=1
	v_mul_f32_e32 v66, v61, v61
	v_fmamk_f32 v67, v66, 0xba1345e1, v98
	v_fmaak_f32 v67, v66, v67, 0xbcdac9b8
	v_fmaak_f32 v67, v66, v67, 0x3de703be
	;; [unrolled: 1-line block ×4, first 2 shown]
	v_fma_f32 v66, |v61|, v66, |v61|
; %bb.65:                               ;   in Loop: Header=BB373_9 Depth=1
	s_or_b64 exec, exec, s[14:15]
	v_bfi_b32 v57, s41, v60, v57
	v_mul_f32_e32 v56, 0.5, v56
	v_add_f32_e32 v57, 1.0, v57
	v_mul_f32_e32 v56, v56, v57
	v_and_b32_e32 v57, 0xffff0000, v50
	s_waitcnt vmcnt(4)
	v_add_f32_e32 v53, v53, v57
	v_lshlrev_b32_e32 v50, 16, v50
	v_bfi_b32 v57, s41, v66, v61
	v_add_f32_e32 v52, v52, v50
	v_mul_f32_e32 v50, 0.5, v58
	v_add_f32_e32 v57, 1.0, v57
	v_mul_f32_e32 v57, v50, v57
	v_lshlrev_b32_e32 v50, 16, v59
	v_add_f32_e32 v50, v62, v50
	;;#ASMSTART
	v_pk_mul_f32 v[52:53], v[56:57], v[52:53]
	;;#ASMEND
	v_mul_f32_e32 v56, 0x3f3504f3, v50
	v_cmp_nlt_f32_e64 s[14:15], |v56|, 1.0
                                        ; implicit-def: $vgpr57
	s_and_saveexec_b64 s[44:45], s[14:15]
	s_xor_b64 s[14:15], exec, s[44:45]
	s_cbranch_execz .LBB373_67
; %bb.66:                               ;   in Loop: Header=BB373_9 Depth=1
	v_fma_f32 v57, |v56|, s31, v99
	v_fma_f32 v57, |v56|, v57, s33
	;; [unrolled: 1-line block ×6, first 2 shown]
	v_fma_f32 v57, |v56|, v57, |v56|
	v_mul_f32_e32 v58, 0xbfb8aa3b, v57
	v_fma_f32 v60, v57, s38, -v58
	v_rndne_f32_e32 v61, v58
	v_fmac_f32_e32 v60, 0xb2a5705f, v57
	v_sub_f32_e32 v58, v58, v61
	v_add_f32_e32 v58, v58, v60
	v_cvt_i32_f32_e32 v60, v61
	v_exp_f32_e32 v58, v58
	v_cmp_nlt_f32_e32 vcc, s39, v57
	v_ldexp_f32 v58, v58, v60
	s_nop 0
	v_cndmask_b32_e32 v58, 0, v58, vcc
	v_cmp_ngt_f32_e32 vcc, s40, v57
	s_nop 1
	v_cndmask_b32_e32 v57, v100, v58, vcc
	v_sub_f32_e32 v57, 1.0, v57
.LBB373_67:                             ;   in Loop: Header=BB373_9 Depth=1
	s_andn2_saveexec_b64 s[14:15], s[14:15]
; %bb.68:                               ;   in Loop: Header=BB373_9 Depth=1
	v_mul_f32_e32 v57, v56, v56
	v_fmamk_f32 v58, v57, 0xba1345e1, v98
	v_fmaak_f32 v58, v57, v58, 0xbcdac9b8
	v_fmaak_f32 v58, v57, v58, 0x3de703be
	v_fmaak_f32 v58, v57, v58, 0xbec09330
	v_fmaak_f32 v57, v57, v58, 0x3e0375d0
	v_fma_f32 v57, |v56|, v57, |v56|
; %bb.69:                               ;   in Loop: Header=BB373_9 Depth=1
	s_or_b64 exec, exec, s[14:15]
	v_and_b32_e32 v58, 0xffff0000, v59
	v_add_f32_e32 v58, v63, v58
	v_mul_f32_e32 v59, 0x3f3504f3, v58
	v_cmp_nlt_f32_e64 s[14:15], |v59|, 1.0
                                        ; implicit-def: $vgpr60
	s_and_saveexec_b64 s[44:45], s[14:15]
	s_xor_b64 s[14:15], exec, s[44:45]
	s_cbranch_execz .LBB373_71
; %bb.70:                               ;   in Loop: Header=BB373_9 Depth=1
	v_fma_f32 v60, |v59|, s31, v99
	v_fma_f32 v60, |v59|, v60, s33
	;; [unrolled: 1-line block ×6, first 2 shown]
	v_fma_f32 v60, |v59|, v60, |v59|
	v_mul_f32_e32 v61, 0xbfb8aa3b, v60
	v_fma_f32 v62, v60, s38, -v61
	v_rndne_f32_e32 v63, v61
	v_fmac_f32_e32 v62, 0xb2a5705f, v60
	v_sub_f32_e32 v61, v61, v63
	v_add_f32_e32 v61, v61, v62
	v_cvt_i32_f32_e32 v62, v63
	v_exp_f32_e32 v61, v61
	v_cmp_nlt_f32_e32 vcc, s39, v60
	v_ldexp_f32 v61, v61, v62
	s_nop 0
	v_cndmask_b32_e32 v61, 0, v61, vcc
	v_cmp_ngt_f32_e32 vcc, s40, v60
	s_nop 1
	v_cndmask_b32_e32 v60, v100, v61, vcc
	v_sub_f32_e32 v60, 1.0, v60
.LBB373_71:                             ;   in Loop: Header=BB373_9 Depth=1
	s_andn2_saveexec_b64 s[14:15], s[14:15]
; %bb.72:                               ;   in Loop: Header=BB373_9 Depth=1
	v_mul_f32_e32 v60, v59, v59
	v_fmamk_f32 v61, v60, 0xba1345e1, v98
	v_fmaak_f32 v61, v60, v61, 0xbcdac9b8
	v_fmaak_f32 v61, v60, v61, 0x3de703be
	;; [unrolled: 1-line block ×4, first 2 shown]
	v_fma_f32 v60, |v59|, v60, |v59|
; %bb.73:                               ;   in Loop: Header=BB373_9 Depth=1
	s_or_b64 exec, exec, s[14:15]
	v_bfi_b32 v56, s41, v57, v56
	v_mul_f32_e32 v50, 0.5, v50
	v_add_f32_e32 v56, 1.0, v56
	v_mul_f32_e32 v50, v50, v56
	v_and_b32_e32 v56, 0xffff0000, v51
	v_add_f32_e32 v55, v55, v56
	v_lshlrev_b32_e32 v51, 16, v51
	v_bfi_b32 v56, s41, v60, v59
	v_add_f32_e32 v54, v54, v51
	v_mul_f32_e32 v51, 0.5, v58
	v_add_f32_e32 v56, 1.0, v56
	v_mul_f32_e32 v51, v51, v56
	;;#ASMSTART
	v_pk_mul_f32 v[50:51], v[50:51], v[54:55]
	;;#ASMEND
	v_lshlrev_b32_e32 v54, 16, v32
	v_add_f32_e32 v44, v44, v54
	v_mul_f32_e32 v54, 0x3f3504f3, v44
	v_cmp_nlt_f32_e64 s[14:15], |v54|, 1.0
                                        ; implicit-def: $vgpr55
	s_and_saveexec_b64 s[44:45], s[14:15]
	s_xor_b64 s[14:15], exec, s[44:45]
	s_cbranch_execz .LBB373_75
; %bb.74:                               ;   in Loop: Header=BB373_9 Depth=1
	v_fma_f32 v55, |v54|, s31, v99
	v_fma_f32 v55, |v54|, v55, s33
	;; [unrolled: 1-line block ×6, first 2 shown]
	v_fma_f32 v55, |v54|, v55, |v54|
	v_mul_f32_e32 v56, 0xbfb8aa3b, v55
	v_fma_f32 v57, v55, s38, -v56
	v_rndne_f32_e32 v58, v56
	v_fmac_f32_e32 v57, 0xb2a5705f, v55
	v_sub_f32_e32 v56, v56, v58
	v_add_f32_e32 v56, v56, v57
	v_cvt_i32_f32_e32 v57, v58
	v_exp_f32_e32 v56, v56
	v_cmp_nlt_f32_e32 vcc, s39, v55
	v_ldexp_f32 v56, v56, v57
	s_nop 0
	v_cndmask_b32_e32 v56, 0, v56, vcc
	v_cmp_ngt_f32_e32 vcc, s40, v55
	s_nop 1
	v_cndmask_b32_e32 v55, v100, v56, vcc
	v_sub_f32_e32 v55, 1.0, v55
.LBB373_75:                             ;   in Loop: Header=BB373_9 Depth=1
	s_andn2_saveexec_b64 s[14:15], s[14:15]
; %bb.76:                               ;   in Loop: Header=BB373_9 Depth=1
	v_mul_f32_e32 v55, v54, v54
	v_fmamk_f32 v56, v55, 0xba1345e1, v98
	v_fmaak_f32 v56, v55, v56, 0xbcdac9b8
	v_fmaak_f32 v56, v55, v56, 0x3de703be
	;; [unrolled: 1-line block ×4, first 2 shown]
	v_fma_f32 v55, |v54|, v55, |v54|
; %bb.77:                               ;   in Loop: Header=BB373_9 Depth=1
	s_or_b64 exec, exec, s[14:15]
	v_and_b32_e32 v32, 0xffff0000, v32
	v_add_f32_e32 v32, v45, v32
	v_mul_f32_e32 v45, 0x3f3504f3, v32
	v_cmp_nlt_f32_e64 s[14:15], |v45|, 1.0
                                        ; implicit-def: $vgpr56
	s_and_saveexec_b64 s[44:45], s[14:15]
	s_xor_b64 s[14:15], exec, s[44:45]
	s_cbranch_execz .LBB373_79
; %bb.78:                               ;   in Loop: Header=BB373_9 Depth=1
	v_fma_f32 v56, |v45|, s31, v99
	v_fma_f32 v56, |v45|, v56, s33
	;; [unrolled: 1-line block ×6, first 2 shown]
	v_fma_f32 v56, |v45|, v56, |v45|
	v_mul_f32_e32 v57, 0xbfb8aa3b, v56
	v_fma_f32 v58, v56, s38, -v57
	v_rndne_f32_e32 v59, v57
	v_fmac_f32_e32 v58, 0xb2a5705f, v56
	v_sub_f32_e32 v57, v57, v59
	v_add_f32_e32 v57, v57, v58
	v_cvt_i32_f32_e32 v58, v59
	v_exp_f32_e32 v57, v57
	v_cmp_nlt_f32_e32 vcc, s39, v56
	v_ldexp_f32 v57, v57, v58
	s_nop 0
	v_cndmask_b32_e32 v57, 0, v57, vcc
	v_cmp_ngt_f32_e32 vcc, s40, v56
	s_nop 1
	v_cndmask_b32_e32 v56, v100, v57, vcc
	v_sub_f32_e32 v56, 1.0, v56
.LBB373_79:                             ;   in Loop: Header=BB373_9 Depth=1
	s_andn2_saveexec_b64 s[14:15], s[14:15]
; %bb.80:                               ;   in Loop: Header=BB373_9 Depth=1
	v_mul_f32_e32 v56, v45, v45
	v_fmamk_f32 v57, v56, 0xba1345e1, v98
	v_fmaak_f32 v57, v56, v57, 0xbcdac9b8
	v_fmaak_f32 v57, v56, v57, 0x3de703be
	;; [unrolled: 1-line block ×4, first 2 shown]
	v_fma_f32 v56, |v45|, v56, |v45|
; %bb.81:                               ;   in Loop: Header=BB373_9 Depth=1
	s_or_b64 exec, exec, s[14:15]
	v_bfi_b32 v54, s41, v55, v54
	v_mul_f32_e32 v44, 0.5, v44
	v_add_f32_e32 v54, 1.0, v54
	v_mul_f32_e32 v44, v44, v54
	v_and_b32_e32 v54, 0xffff0000, v24
	v_lshlrev_b32_e32 v24, 16, v24
	s_waitcnt vmcnt(3)
	v_add_f32_e32 v40, v40, v24
	v_mul_f32_e32 v24, 0.5, v32
	v_bfi_b32 v32, s41, v56, v45
	v_add_f32_e32 v32, 1.0, v32
	v_mul_f32_e32 v45, v24, v32
	v_lshlrev_b32_e32 v24, 16, v33
	v_add_f32_e32 v24, v46, v24
	v_mul_f32_e32 v32, 0x3f3504f3, v24
	v_add_f32_e32 v41, v41, v54
	v_cmp_nlt_f32_e64 s[14:15], |v32|, 1.0
	;;#ASMSTART
	v_pk_mul_f32 v[40:41], v[44:45], v[40:41]
	;;#ASMEND
                                        ; implicit-def: $vgpr44
	s_and_saveexec_b64 s[44:45], s[14:15]
	s_xor_b64 s[14:15], exec, s[44:45]
	s_cbranch_execz .LBB373_83
; %bb.82:                               ;   in Loop: Header=BB373_9 Depth=1
	v_fma_f32 v44, |v32|, s31, v99
	v_fma_f32 v44, |v32|, v44, s33
	;; [unrolled: 1-line block ×6, first 2 shown]
	v_fma_f32 v44, |v32|, v44, |v32|
	v_mul_f32_e32 v45, 0xbfb8aa3b, v44
	v_fma_f32 v46, v44, s38, -v45
	v_rndne_f32_e32 v54, v45
	v_fmac_f32_e32 v46, 0xb2a5705f, v44
	v_sub_f32_e32 v45, v45, v54
	v_add_f32_e32 v45, v45, v46
	v_cvt_i32_f32_e32 v46, v54
	v_exp_f32_e32 v45, v45
	v_cmp_nlt_f32_e32 vcc, s39, v44
	v_ldexp_f32 v45, v45, v46
	s_nop 0
	v_cndmask_b32_e32 v45, 0, v45, vcc
	v_cmp_ngt_f32_e32 vcc, s40, v44
	s_nop 1
	v_cndmask_b32_e32 v44, v100, v45, vcc
	v_sub_f32_e32 v44, 1.0, v44
.LBB373_83:                             ;   in Loop: Header=BB373_9 Depth=1
	s_andn2_saveexec_b64 s[14:15], s[14:15]
; %bb.84:                               ;   in Loop: Header=BB373_9 Depth=1
	v_mul_f32_e32 v44, v32, v32
	v_fmamk_f32 v45, v44, 0xba1345e1, v98
	v_fmaak_f32 v45, v44, v45, 0xbcdac9b8
	v_fmaak_f32 v45, v44, v45, 0x3de703be
	;; [unrolled: 1-line block ×4, first 2 shown]
	v_fma_f32 v44, |v32|, v44, |v32|
; %bb.85:                               ;   in Loop: Header=BB373_9 Depth=1
	s_or_b64 exec, exec, s[14:15]
	v_and_b32_e32 v33, 0xffff0000, v33
	v_add_f32_e32 v33, v47, v33
	v_mul_f32_e32 v45, 0x3f3504f3, v33
	v_cmp_nlt_f32_e64 s[14:15], |v45|, 1.0
                                        ; implicit-def: $vgpr46
	s_and_saveexec_b64 s[44:45], s[14:15]
	s_xor_b64 s[14:15], exec, s[44:45]
	s_cbranch_execz .LBB373_87
; %bb.86:                               ;   in Loop: Header=BB373_9 Depth=1
	v_fma_f32 v46, |v45|, s31, v99
	v_fma_f32 v46, |v45|, v46, s33
	v_fma_f32 v46, |v45|, v46, s34
	v_fma_f32 v46, |v45|, v46, s35
	v_fma_f32 v46, |v45|, v46, s36
	v_fma_f32 v46, |v45|, v46, s37
	v_fma_f32 v46, |v45|, v46, |v45|
	v_mul_f32_e32 v47, 0xbfb8aa3b, v46
	v_fma_f32 v54, v46, s38, -v47
	v_rndne_f32_e32 v55, v47
	v_fmac_f32_e32 v54, 0xb2a5705f, v46
	v_sub_f32_e32 v47, v47, v55
	v_add_f32_e32 v47, v47, v54
	v_cvt_i32_f32_e32 v54, v55
	v_exp_f32_e32 v47, v47
	v_cmp_nlt_f32_e32 vcc, s39, v46
	v_ldexp_f32 v47, v47, v54
	s_nop 0
	v_cndmask_b32_e32 v47, 0, v47, vcc
	v_cmp_ngt_f32_e32 vcc, s40, v46
	s_nop 1
	v_cndmask_b32_e32 v46, v100, v47, vcc
	v_sub_f32_e32 v46, 1.0, v46
.LBB373_87:                             ;   in Loop: Header=BB373_9 Depth=1
	s_andn2_saveexec_b64 s[14:15], s[14:15]
; %bb.88:                               ;   in Loop: Header=BB373_9 Depth=1
	v_mul_f32_e32 v46, v45, v45
	v_fmamk_f32 v47, v46, 0xba1345e1, v98
	v_fmaak_f32 v47, v46, v47, 0xbcdac9b8
	v_fmaak_f32 v47, v46, v47, 0x3de703be
	;; [unrolled: 1-line block ×4, first 2 shown]
	v_fma_f32 v46, |v45|, v46, |v45|
; %bb.89:                               ;   in Loop: Header=BB373_9 Depth=1
	s_or_b64 exec, exec, s[14:15]
	v_bfi_b32 v32, s41, v44, v32
	v_mul_f32_e32 v24, 0.5, v24
	v_add_f32_e32 v32, 1.0, v32
	v_mul_f32_e32 v24, v24, v32
	v_and_b32_e32 v32, 0xffff0000, v25
	v_add_f32_e32 v43, v43, v32
	v_lshlrev_b32_e32 v25, 16, v25
	v_bfi_b32 v32, s41, v46, v45
	v_add_f32_e32 v42, v42, v25
	v_mul_f32_e32 v25, 0.5, v33
	v_add_f32_e32 v32, 1.0, v32
	v_mul_f32_e32 v25, v25, v32
	v_lshlrev_b32_e32 v32, 16, v34
	v_add_f32_e32 v32, v36, v32
	v_mul_f32_e32 v33, 0x3f3504f3, v32
	v_cmp_nlt_f32_e64 s[14:15], |v33|, 1.0
	;;#ASMSTART
	v_pk_mul_f32 v[24:25], v[24:25], v[42:43]
	;;#ASMEND
                                        ; implicit-def: $vgpr36
	s_and_saveexec_b64 s[44:45], s[14:15]
	s_xor_b64 s[14:15], exec, s[44:45]
	s_cbranch_execz .LBB373_91
; %bb.90:                               ;   in Loop: Header=BB373_9 Depth=1
	v_fma_f32 v36, |v33|, s31, v99
	v_fma_f32 v36, |v33|, v36, s33
	;; [unrolled: 1-line block ×6, first 2 shown]
	v_fma_f32 v36, |v33|, v36, |v33|
	v_mul_f32_e32 v42, 0xbfb8aa3b, v36
	v_fma_f32 v43, v36, s38, -v42
	v_rndne_f32_e32 v44, v42
	v_fmac_f32_e32 v43, 0xb2a5705f, v36
	v_sub_f32_e32 v42, v42, v44
	v_add_f32_e32 v42, v42, v43
	v_cvt_i32_f32_e32 v43, v44
	v_exp_f32_e32 v42, v42
	v_cmp_nlt_f32_e32 vcc, s39, v36
	v_ldexp_f32 v42, v42, v43
	s_nop 0
	v_cndmask_b32_e32 v42, 0, v42, vcc
	v_cmp_ngt_f32_e32 vcc, s40, v36
	s_nop 1
	v_cndmask_b32_e32 v36, v100, v42, vcc
	v_sub_f32_e32 v36, 1.0, v36
.LBB373_91:                             ;   in Loop: Header=BB373_9 Depth=1
	s_andn2_saveexec_b64 s[14:15], s[14:15]
; %bb.92:                               ;   in Loop: Header=BB373_9 Depth=1
	v_mul_f32_e32 v36, v33, v33
	v_fmamk_f32 v42, v36, 0xba1345e1, v98
	v_fmaak_f32 v42, v36, v42, 0xbcdac9b8
	v_fmaak_f32 v42, v36, v42, 0x3de703be
	;; [unrolled: 1-line block ×4, first 2 shown]
	v_fma_f32 v36, |v33|, v36, |v33|
; %bb.93:                               ;   in Loop: Header=BB373_9 Depth=1
	s_or_b64 exec, exec, s[14:15]
	v_and_b32_e32 v34, 0xffff0000, v34
	v_add_f32_e32 v34, v37, v34
	v_mul_f32_e32 v37, 0x3f3504f3, v34
	v_cmp_nlt_f32_e64 s[14:15], |v37|, 1.0
                                        ; implicit-def: $vgpr42
	s_and_saveexec_b64 s[44:45], s[14:15]
	s_xor_b64 s[14:15], exec, s[44:45]
	s_cbranch_execz .LBB373_95
; %bb.94:                               ;   in Loop: Header=BB373_9 Depth=1
	v_fma_f32 v42, |v37|, s31, v99
	v_fma_f32 v42, |v37|, v42, s33
	;; [unrolled: 1-line block ×6, first 2 shown]
	v_fma_f32 v42, |v37|, v42, |v37|
	v_mul_f32_e32 v43, 0xbfb8aa3b, v42
	v_fma_f32 v44, v42, s38, -v43
	v_rndne_f32_e32 v45, v43
	v_fmac_f32_e32 v44, 0xb2a5705f, v42
	v_sub_f32_e32 v43, v43, v45
	v_add_f32_e32 v43, v43, v44
	v_cvt_i32_f32_e32 v44, v45
	v_exp_f32_e32 v43, v43
	v_cmp_nlt_f32_e32 vcc, s39, v42
	v_ldexp_f32 v43, v43, v44
	s_nop 0
	v_cndmask_b32_e32 v43, 0, v43, vcc
	v_cmp_ngt_f32_e32 vcc, s40, v42
	s_nop 1
	v_cndmask_b32_e32 v42, v100, v43, vcc
	v_sub_f32_e32 v42, 1.0, v42
.LBB373_95:                             ;   in Loop: Header=BB373_9 Depth=1
	s_andn2_saveexec_b64 s[14:15], s[14:15]
; %bb.96:                               ;   in Loop: Header=BB373_9 Depth=1
	v_mul_f32_e32 v42, v37, v37
	v_fmamk_f32 v43, v42, 0xba1345e1, v98
	v_fmaak_f32 v43, v42, v43, 0xbcdac9b8
	v_fmaak_f32 v43, v42, v43, 0x3de703be
	;; [unrolled: 1-line block ×4, first 2 shown]
	v_fma_f32 v42, |v37|, v42, |v37|
; %bb.97:                               ;   in Loop: Header=BB373_9 Depth=1
	s_or_b64 exec, exec, s[14:15]
	v_bfi_b32 v33, s41, v36, v33
	v_mul_f32_e32 v32, 0.5, v32
	v_add_f32_e32 v33, 1.0, v33
	v_mul_f32_e32 v32, v32, v33
	v_and_b32_e32 v33, 0xffff0000, v26
	s_waitcnt vmcnt(2)
	v_add_f32_e32 v29, v29, v33
	v_lshlrev_b32_e32 v26, 16, v26
	v_bfi_b32 v33, s41, v42, v37
	v_add_f32_e32 v28, v28, v26
	v_mul_f32_e32 v26, 0.5, v34
	v_add_f32_e32 v33, 1.0, v33
	v_mul_f32_e32 v33, v26, v33
	v_lshlrev_b32_e32 v26, 16, v35
	v_add_f32_e32 v26, v38, v26
	;;#ASMSTART
	v_pk_mul_f32 v[28:29], v[32:33], v[28:29]
	;;#ASMEND
	v_mul_f32_e32 v32, 0x3f3504f3, v26
	v_cmp_nlt_f32_e64 s[14:15], |v32|, 1.0
                                        ; implicit-def: $vgpr33
	s_and_saveexec_b64 s[44:45], s[14:15]
	s_xor_b64 s[14:15], exec, s[44:45]
	s_cbranch_execz .LBB373_99
; %bb.98:                               ;   in Loop: Header=BB373_9 Depth=1
	v_fma_f32 v33, |v32|, s31, v99
	v_fma_f32 v33, |v32|, v33, s33
	;; [unrolled: 1-line block ×6, first 2 shown]
	v_fma_f32 v33, |v32|, v33, |v32|
	v_mul_f32_e32 v34, 0xbfb8aa3b, v33
	v_fma_f32 v36, v33, s38, -v34
	v_rndne_f32_e32 v37, v34
	v_fmac_f32_e32 v36, 0xb2a5705f, v33
	v_sub_f32_e32 v34, v34, v37
	v_add_f32_e32 v34, v34, v36
	v_cvt_i32_f32_e32 v36, v37
	v_exp_f32_e32 v34, v34
	v_cmp_nlt_f32_e32 vcc, s39, v33
	v_ldexp_f32 v34, v34, v36
	s_nop 0
	v_cndmask_b32_e32 v34, 0, v34, vcc
	v_cmp_ngt_f32_e32 vcc, s40, v33
	s_nop 1
	v_cndmask_b32_e32 v33, v100, v34, vcc
	v_sub_f32_e32 v33, 1.0, v33
.LBB373_99:                             ;   in Loop: Header=BB373_9 Depth=1
	s_andn2_saveexec_b64 s[14:15], s[14:15]
; %bb.100:                              ;   in Loop: Header=BB373_9 Depth=1
	v_mul_f32_e32 v33, v32, v32
	v_fmamk_f32 v34, v33, 0xba1345e1, v98
	v_fmaak_f32 v34, v33, v34, 0xbcdac9b8
	v_fmaak_f32 v34, v33, v34, 0x3de703be
	;; [unrolled: 1-line block ×4, first 2 shown]
	v_fma_f32 v33, |v32|, v33, |v32|
; %bb.101:                              ;   in Loop: Header=BB373_9 Depth=1
	s_or_b64 exec, exec, s[14:15]
	v_and_b32_e32 v34, 0xffff0000, v35
	v_add_f32_e32 v34, v39, v34
	v_mul_f32_e32 v35, 0x3f3504f3, v34
	v_cmp_nlt_f32_e64 s[14:15], |v35|, 1.0
                                        ; implicit-def: $vgpr36
	s_and_saveexec_b64 s[44:45], s[14:15]
	s_xor_b64 s[14:15], exec, s[44:45]
	s_cbranch_execz .LBB373_103
; %bb.102:                              ;   in Loop: Header=BB373_9 Depth=1
	v_fma_f32 v36, |v35|, s31, v99
	v_fma_f32 v36, |v35|, v36, s33
	;; [unrolled: 1-line block ×6, first 2 shown]
	v_fma_f32 v36, |v35|, v36, |v35|
	v_mul_f32_e32 v37, 0xbfb8aa3b, v36
	v_fma_f32 v38, v36, s38, -v37
	v_rndne_f32_e32 v39, v37
	v_fmac_f32_e32 v38, 0xb2a5705f, v36
	v_sub_f32_e32 v37, v37, v39
	v_add_f32_e32 v37, v37, v38
	v_cvt_i32_f32_e32 v38, v39
	v_exp_f32_e32 v37, v37
	v_cmp_nlt_f32_e32 vcc, s39, v36
	v_ldexp_f32 v37, v37, v38
	s_nop 0
	v_cndmask_b32_e32 v37, 0, v37, vcc
	v_cmp_ngt_f32_e32 vcc, s40, v36
	s_nop 1
	v_cndmask_b32_e32 v36, v100, v37, vcc
	v_sub_f32_e32 v36, 1.0, v36
.LBB373_103:                            ;   in Loop: Header=BB373_9 Depth=1
	s_andn2_saveexec_b64 s[14:15], s[14:15]
; %bb.104:                              ;   in Loop: Header=BB373_9 Depth=1
	v_mul_f32_e32 v36, v35, v35
	v_fmamk_f32 v37, v36, 0xba1345e1, v98
	v_fmaak_f32 v37, v36, v37, 0xbcdac9b8
	v_fmaak_f32 v37, v36, v37, 0x3de703be
	;; [unrolled: 1-line block ×4, first 2 shown]
	v_fma_f32 v36, |v35|, v36, |v35|
; %bb.105:                              ;   in Loop: Header=BB373_9 Depth=1
	s_or_b64 exec, exec, s[14:15]
	v_bfi_b32 v32, s41, v33, v32
	v_mul_f32_e32 v26, 0.5, v26
	v_add_f32_e32 v32, 1.0, v32
	v_mul_f32_e32 v26, v26, v32
	v_and_b32_e32 v32, 0xffff0000, v27
	v_add_f32_e32 v31, v31, v32
	v_lshlrev_b32_e32 v27, 16, v27
	v_bfi_b32 v32, s41, v36, v35
	v_add_f32_e32 v30, v30, v27
	v_mul_f32_e32 v27, 0.5, v34
	v_add_f32_e32 v32, 1.0, v32
	v_mul_f32_e32 v27, v27, v32
	;;#ASMSTART
	v_pk_mul_f32 v[26:27], v[26:27], v[30:31]
	;;#ASMEND
	v_lshlrev_b32_e32 v30, 16, v8
	v_add_f32_e32 v20, v20, v30
	v_mul_f32_e32 v30, 0x3f3504f3, v20
	v_cmp_nlt_f32_e64 s[14:15], |v30|, 1.0
                                        ; implicit-def: $vgpr31
	s_and_saveexec_b64 s[44:45], s[14:15]
	s_xor_b64 s[14:15], exec, s[44:45]
	s_cbranch_execz .LBB373_107
; %bb.106:                              ;   in Loop: Header=BB373_9 Depth=1
	v_fma_f32 v31, |v30|, s31, v99
	v_fma_f32 v31, |v30|, v31, s33
	;; [unrolled: 1-line block ×6, first 2 shown]
	v_fma_f32 v31, |v30|, v31, |v30|
	v_mul_f32_e32 v32, 0xbfb8aa3b, v31
	v_fma_f32 v33, v31, s38, -v32
	v_rndne_f32_e32 v34, v32
	v_fmac_f32_e32 v33, 0xb2a5705f, v31
	v_sub_f32_e32 v32, v32, v34
	v_add_f32_e32 v32, v32, v33
	v_cvt_i32_f32_e32 v33, v34
	v_exp_f32_e32 v32, v32
	v_cmp_nlt_f32_e32 vcc, s39, v31
	v_ldexp_f32 v32, v32, v33
	s_nop 0
	v_cndmask_b32_e32 v32, 0, v32, vcc
	v_cmp_ngt_f32_e32 vcc, s40, v31
	s_nop 1
	v_cndmask_b32_e32 v31, v100, v32, vcc
	v_sub_f32_e32 v31, 1.0, v31
.LBB373_107:                            ;   in Loop: Header=BB373_9 Depth=1
	s_andn2_saveexec_b64 s[14:15], s[14:15]
; %bb.108:                              ;   in Loop: Header=BB373_9 Depth=1
	v_mul_f32_e32 v31, v30, v30
	v_fmamk_f32 v32, v31, 0xba1345e1, v98
	v_fmaak_f32 v32, v31, v32, 0xbcdac9b8
	v_fmaak_f32 v32, v31, v32, 0x3de703be
	;; [unrolled: 1-line block ×4, first 2 shown]
	v_fma_f32 v31, |v30|, v31, |v30|
; %bb.109:                              ;   in Loop: Header=BB373_9 Depth=1
	s_or_b64 exec, exec, s[14:15]
	v_and_b32_e32 v8, 0xffff0000, v8
	v_add_f32_e32 v8, v21, v8
	v_mul_f32_e32 v21, 0x3f3504f3, v8
	v_cmp_nlt_f32_e64 s[14:15], |v21|, 1.0
                                        ; implicit-def: $vgpr32
	s_and_saveexec_b64 s[44:45], s[14:15]
	s_xor_b64 s[14:15], exec, s[44:45]
	s_cbranch_execz .LBB373_111
; %bb.110:                              ;   in Loop: Header=BB373_9 Depth=1
	v_fma_f32 v32, |v21|, s31, v99
	v_fma_f32 v32, |v21|, v32, s33
	;; [unrolled: 1-line block ×6, first 2 shown]
	v_fma_f32 v32, |v21|, v32, |v21|
	v_mul_f32_e32 v33, 0xbfb8aa3b, v32
	v_fma_f32 v34, v32, s38, -v33
	v_rndne_f32_e32 v35, v33
	v_fmac_f32_e32 v34, 0xb2a5705f, v32
	v_sub_f32_e32 v33, v33, v35
	v_add_f32_e32 v33, v33, v34
	v_cvt_i32_f32_e32 v34, v35
	v_exp_f32_e32 v33, v33
	v_cmp_nlt_f32_e32 vcc, s39, v32
	v_ldexp_f32 v33, v33, v34
	s_nop 0
	v_cndmask_b32_e32 v33, 0, v33, vcc
	v_cmp_ngt_f32_e32 vcc, s40, v32
	s_nop 1
	v_cndmask_b32_e32 v32, v100, v33, vcc
	v_sub_f32_e32 v32, 1.0, v32
.LBB373_111:                            ;   in Loop: Header=BB373_9 Depth=1
	s_andn2_saveexec_b64 s[14:15], s[14:15]
; %bb.112:                              ;   in Loop: Header=BB373_9 Depth=1
	v_mul_f32_e32 v32, v21, v21
	v_fmamk_f32 v33, v32, 0xba1345e1, v98
	v_fmaak_f32 v33, v32, v33, 0xbcdac9b8
	v_fmaak_f32 v33, v32, v33, 0x3de703be
	;; [unrolled: 1-line block ×4, first 2 shown]
	v_fma_f32 v32, |v21|, v32, |v21|
; %bb.113:                              ;   in Loop: Header=BB373_9 Depth=1
	s_or_b64 exec, exec, s[14:15]
	v_bfi_b32 v30, s41, v31, v30
	v_mul_f32_e32 v20, 0.5, v20
	v_add_f32_e32 v30, 1.0, v30
	v_mul_f32_e32 v20, v20, v30
	v_and_b32_e32 v30, 0xffff0000, v0
	v_lshlrev_b32_e32 v0, 16, v0
	s_waitcnt vmcnt(1)
	v_add_f32_e32 v16, v16, v0
	v_mul_f32_e32 v0, 0.5, v8
	v_bfi_b32 v8, s41, v32, v21
	v_add_f32_e32 v8, 1.0, v8
	v_mul_f32_e32 v21, v0, v8
	v_lshlrev_b32_e32 v0, 16, v9
	v_add_f32_e32 v0, v22, v0
	v_mul_f32_e32 v8, 0x3f3504f3, v0
	v_add_f32_e32 v17, v17, v30
	v_cmp_nlt_f32_e64 s[14:15], |v8|, 1.0
	;;#ASMSTART
	v_pk_mul_f32 v[16:17], v[20:21], v[16:17]
	;;#ASMEND
                                        ; implicit-def: $vgpr20
	s_and_saveexec_b64 s[44:45], s[14:15]
	s_xor_b64 s[14:15], exec, s[44:45]
	s_cbranch_execz .LBB373_115
; %bb.114:                              ;   in Loop: Header=BB373_9 Depth=1
	v_fma_f32 v20, |v8|, s31, v99
	v_fma_f32 v20, |v8|, v20, s33
	;; [unrolled: 1-line block ×6, first 2 shown]
	v_fma_f32 v20, |v8|, v20, |v8|
	v_mul_f32_e32 v21, 0xbfb8aa3b, v20
	v_fma_f32 v22, v20, s38, -v21
	v_rndne_f32_e32 v30, v21
	v_fmac_f32_e32 v22, 0xb2a5705f, v20
	v_sub_f32_e32 v21, v21, v30
	v_add_f32_e32 v21, v21, v22
	v_cvt_i32_f32_e32 v22, v30
	v_exp_f32_e32 v21, v21
	v_cmp_nlt_f32_e32 vcc, s39, v20
	v_ldexp_f32 v21, v21, v22
	s_nop 0
	v_cndmask_b32_e32 v21, 0, v21, vcc
	v_cmp_ngt_f32_e32 vcc, s40, v20
	s_nop 1
	v_cndmask_b32_e32 v20, v100, v21, vcc
	v_sub_f32_e32 v20, 1.0, v20
.LBB373_115:                            ;   in Loop: Header=BB373_9 Depth=1
	s_andn2_saveexec_b64 s[14:15], s[14:15]
; %bb.116:                              ;   in Loop: Header=BB373_9 Depth=1
	v_mul_f32_e32 v20, v8, v8
	v_fmamk_f32 v21, v20, 0xba1345e1, v98
	v_fmaak_f32 v21, v20, v21, 0xbcdac9b8
	v_fmaak_f32 v21, v20, v21, 0x3de703be
	;; [unrolled: 1-line block ×4, first 2 shown]
	v_fma_f32 v20, |v8|, v20, |v8|
; %bb.117:                              ;   in Loop: Header=BB373_9 Depth=1
	s_or_b64 exec, exec, s[14:15]
	v_and_b32_e32 v9, 0xffff0000, v9
	v_add_f32_e32 v9, v23, v9
	v_mul_f32_e32 v21, 0x3f3504f3, v9
	v_cmp_nlt_f32_e64 s[14:15], |v21|, 1.0
                                        ; implicit-def: $vgpr22
	s_and_saveexec_b64 s[44:45], s[14:15]
	s_xor_b64 s[14:15], exec, s[44:45]
	s_cbranch_execz .LBB373_119
; %bb.118:                              ;   in Loop: Header=BB373_9 Depth=1
	v_fma_f32 v22, |v21|, s31, v99
	v_fma_f32 v22, |v21|, v22, s33
	;; [unrolled: 1-line block ×6, first 2 shown]
	v_fma_f32 v22, |v21|, v22, |v21|
	v_mul_f32_e32 v23, 0xbfb8aa3b, v22
	v_fma_f32 v30, v22, s38, -v23
	v_rndne_f32_e32 v31, v23
	v_fmac_f32_e32 v30, 0xb2a5705f, v22
	v_sub_f32_e32 v23, v23, v31
	v_add_f32_e32 v23, v23, v30
	v_cvt_i32_f32_e32 v30, v31
	v_exp_f32_e32 v23, v23
	v_cmp_nlt_f32_e32 vcc, s39, v22
	v_ldexp_f32 v23, v23, v30
	s_nop 0
	v_cndmask_b32_e32 v23, 0, v23, vcc
	v_cmp_ngt_f32_e32 vcc, s40, v22
	s_nop 1
	v_cndmask_b32_e32 v22, v100, v23, vcc
	v_sub_f32_e32 v22, 1.0, v22
.LBB373_119:                            ;   in Loop: Header=BB373_9 Depth=1
	s_andn2_saveexec_b64 s[14:15], s[14:15]
; %bb.120:                              ;   in Loop: Header=BB373_9 Depth=1
	v_mul_f32_e32 v22, v21, v21
	v_fmamk_f32 v23, v22, 0xba1345e1, v98
	v_fmaak_f32 v23, v22, v23, 0xbcdac9b8
	v_fmaak_f32 v23, v22, v23, 0x3de703be
	;; [unrolled: 1-line block ×4, first 2 shown]
	v_fma_f32 v22, |v21|, v22, |v21|
; %bb.121:                              ;   in Loop: Header=BB373_9 Depth=1
	s_or_b64 exec, exec, s[14:15]
	v_bfi_b32 v8, s41, v20, v8
	v_mul_f32_e32 v0, 0.5, v0
	v_add_f32_e32 v8, 1.0, v8
	v_mul_f32_e32 v0, v0, v8
	v_and_b32_e32 v8, 0xffff0000, v1
	v_add_f32_e32 v19, v19, v8
	v_lshlrev_b32_e32 v1, 16, v1
	v_bfi_b32 v8, s41, v22, v21
	v_add_f32_e32 v18, v18, v1
	v_mul_f32_e32 v1, 0.5, v9
	v_add_f32_e32 v8, 1.0, v8
	v_mul_f32_e32 v1, v1, v8
	v_lshlrev_b32_e32 v8, 16, v10
	v_add_f32_e32 v8, v12, v8
	v_mul_f32_e32 v9, 0x3f3504f3, v8
	v_cmp_nlt_f32_e64 s[14:15], |v9|, 1.0
	;;#ASMSTART
	v_pk_mul_f32 v[0:1], v[0:1], v[18:19]
	;;#ASMEND
                                        ; implicit-def: $vgpr12
	s_and_saveexec_b64 s[44:45], s[14:15]
	s_xor_b64 s[14:15], exec, s[44:45]
	s_cbranch_execz .LBB373_123
; %bb.122:                              ;   in Loop: Header=BB373_9 Depth=1
	v_fma_f32 v12, |v9|, s31, v99
	v_fma_f32 v12, |v9|, v12, s33
	;; [unrolled: 1-line block ×6, first 2 shown]
	v_fma_f32 v12, |v9|, v12, |v9|
	v_mul_f32_e32 v18, 0xbfb8aa3b, v12
	v_fma_f32 v19, v12, s38, -v18
	v_rndne_f32_e32 v20, v18
	v_fmac_f32_e32 v19, 0xb2a5705f, v12
	v_sub_f32_e32 v18, v18, v20
	v_add_f32_e32 v18, v18, v19
	v_cvt_i32_f32_e32 v19, v20
	v_exp_f32_e32 v18, v18
	v_cmp_nlt_f32_e32 vcc, s39, v12
	v_ldexp_f32 v18, v18, v19
	s_nop 0
	v_cndmask_b32_e32 v18, 0, v18, vcc
	v_cmp_ngt_f32_e32 vcc, s40, v12
	s_nop 1
	v_cndmask_b32_e32 v12, v100, v18, vcc
	v_sub_f32_e32 v12, 1.0, v12
.LBB373_123:                            ;   in Loop: Header=BB373_9 Depth=1
	s_andn2_saveexec_b64 s[14:15], s[14:15]
; %bb.124:                              ;   in Loop: Header=BB373_9 Depth=1
	v_mul_f32_e32 v12, v9, v9
	v_fmamk_f32 v18, v12, 0xba1345e1, v98
	v_fmaak_f32 v18, v12, v18, 0xbcdac9b8
	v_fmaak_f32 v18, v12, v18, 0x3de703be
	;; [unrolled: 1-line block ×4, first 2 shown]
	v_fma_f32 v12, |v9|, v12, |v9|
; %bb.125:                              ;   in Loop: Header=BB373_9 Depth=1
	s_or_b64 exec, exec, s[14:15]
	v_and_b32_e32 v10, 0xffff0000, v10
	v_add_f32_e32 v10, v13, v10
	v_mul_f32_e32 v13, 0x3f3504f3, v10
	v_cmp_nlt_f32_e64 s[14:15], |v13|, 1.0
                                        ; implicit-def: $vgpr18
	s_and_saveexec_b64 s[44:45], s[14:15]
	s_xor_b64 s[14:15], exec, s[44:45]
	s_cbranch_execz .LBB373_127
; %bb.126:                              ;   in Loop: Header=BB373_9 Depth=1
	v_fma_f32 v18, |v13|, s31, v99
	v_fma_f32 v18, |v13|, v18, s33
	;; [unrolled: 1-line block ×6, first 2 shown]
	v_fma_f32 v18, |v13|, v18, |v13|
	v_mul_f32_e32 v19, 0xbfb8aa3b, v18
	v_fma_f32 v20, v18, s38, -v19
	v_rndne_f32_e32 v21, v19
	v_fmac_f32_e32 v20, 0xb2a5705f, v18
	v_sub_f32_e32 v19, v19, v21
	v_add_f32_e32 v19, v19, v20
	v_cvt_i32_f32_e32 v20, v21
	v_exp_f32_e32 v19, v19
	v_cmp_nlt_f32_e32 vcc, s39, v18
	v_ldexp_f32 v19, v19, v20
	s_nop 0
	v_cndmask_b32_e32 v19, 0, v19, vcc
	v_cmp_ngt_f32_e32 vcc, s40, v18
	s_nop 1
	v_cndmask_b32_e32 v18, v100, v19, vcc
	v_sub_f32_e32 v18, 1.0, v18
.LBB373_127:                            ;   in Loop: Header=BB373_9 Depth=1
	s_andn2_saveexec_b64 s[14:15], s[14:15]
; %bb.128:                              ;   in Loop: Header=BB373_9 Depth=1
	v_mul_f32_e32 v18, v13, v13
	v_fmamk_f32 v19, v18, 0xba1345e1, v98
	v_fmaak_f32 v19, v18, v19, 0xbcdac9b8
	v_fmaak_f32 v19, v18, v19, 0x3de703be
	v_fmaak_f32 v19, v18, v19, 0xbec09330
	v_fmaak_f32 v18, v18, v19, 0x3e0375d0
	v_fma_f32 v18, |v13|, v18, |v13|
; %bb.129:                              ;   in Loop: Header=BB373_9 Depth=1
	s_or_b64 exec, exec, s[14:15]
	v_bfi_b32 v9, s41, v12, v9
	v_mul_f32_e32 v8, 0.5, v8
	v_add_f32_e32 v9, 1.0, v9
	v_mul_f32_e32 v8, v8, v9
	v_and_b32_e32 v9, 0xffff0000, v2
	s_waitcnt vmcnt(0)
	v_add_f32_e32 v5, v5, v9
	v_lshlrev_b32_e32 v2, 16, v2
	v_bfi_b32 v9, s41, v18, v13
	v_add_f32_e32 v4, v4, v2
	v_mul_f32_e32 v2, 0.5, v10
	v_add_f32_e32 v9, 1.0, v9
	v_mul_f32_e32 v9, v2, v9
	v_lshlrev_b32_e32 v2, 16, v11
	v_add_f32_e32 v2, v14, v2
	;;#ASMSTART
	v_pk_mul_f32 v[4:5], v[8:9], v[4:5]
	;;#ASMEND
	v_mul_f32_e32 v8, 0x3f3504f3, v2
	v_cmp_nlt_f32_e64 s[14:15], |v8|, 1.0
                                        ; implicit-def: $vgpr9
	s_and_saveexec_b64 s[44:45], s[14:15]
	s_xor_b64 s[14:15], exec, s[44:45]
	s_cbranch_execz .LBB373_131
; %bb.130:                              ;   in Loop: Header=BB373_9 Depth=1
	v_fma_f32 v9, |v8|, s31, v99
	v_fma_f32 v9, |v8|, v9, s33
	;; [unrolled: 1-line block ×6, first 2 shown]
	v_fma_f32 v9, |v8|, v9, |v8|
	v_mul_f32_e32 v10, 0xbfb8aa3b, v9
	v_fma_f32 v12, v9, s38, -v10
	v_rndne_f32_e32 v13, v10
	v_fmac_f32_e32 v12, 0xb2a5705f, v9
	v_sub_f32_e32 v10, v10, v13
	v_add_f32_e32 v10, v10, v12
	v_cvt_i32_f32_e32 v12, v13
	v_exp_f32_e32 v10, v10
	v_cmp_nlt_f32_e32 vcc, s39, v9
	v_ldexp_f32 v10, v10, v12
	s_nop 0
	v_cndmask_b32_e32 v10, 0, v10, vcc
	v_cmp_ngt_f32_e32 vcc, s40, v9
	s_nop 1
	v_cndmask_b32_e32 v9, v100, v10, vcc
	v_sub_f32_e32 v9, 1.0, v9
.LBB373_131:                            ;   in Loop: Header=BB373_9 Depth=1
	s_andn2_saveexec_b64 s[14:15], s[14:15]
; %bb.132:                              ;   in Loop: Header=BB373_9 Depth=1
	v_mul_f32_e32 v9, v8, v8
	v_fmamk_f32 v10, v9, 0xba1345e1, v98
	v_fmaak_f32 v10, v9, v10, 0xbcdac9b8
	v_fmaak_f32 v10, v9, v10, 0x3de703be
	;; [unrolled: 1-line block ×4, first 2 shown]
	v_fma_f32 v9, |v8|, v9, |v8|
; %bb.133:                              ;   in Loop: Header=BB373_9 Depth=1
	s_or_b64 exec, exec, s[14:15]
	v_and_b32_e32 v10, 0xffff0000, v11
	v_add_f32_e32 v10, v15, v10
	v_mul_f32_e32 v11, 0x3f3504f3, v10
	v_cmp_nlt_f32_e64 s[14:15], |v11|, 1.0
                                        ; implicit-def: $vgpr12
	s_and_saveexec_b64 s[44:45], s[14:15]
	s_xor_b64 s[14:15], exec, s[44:45]
	s_cbranch_execz .LBB373_135
; %bb.134:                              ;   in Loop: Header=BB373_9 Depth=1
	v_fma_f32 v12, |v11|, s31, v99
	v_fma_f32 v12, |v11|, v12, s33
	;; [unrolled: 1-line block ×6, first 2 shown]
	v_fma_f32 v12, |v11|, v12, |v11|
	v_mul_f32_e32 v13, 0xbfb8aa3b, v12
	v_fma_f32 v14, v12, s38, -v13
	v_rndne_f32_e32 v15, v13
	v_fmac_f32_e32 v14, 0xb2a5705f, v12
	v_sub_f32_e32 v13, v13, v15
	v_add_f32_e32 v13, v13, v14
	v_cvt_i32_f32_e32 v14, v15
	v_exp_f32_e32 v13, v13
	v_cmp_nlt_f32_e32 vcc, s39, v12
	v_ldexp_f32 v13, v13, v14
	s_nop 0
	v_cndmask_b32_e32 v13, 0, v13, vcc
	v_cmp_ngt_f32_e32 vcc, s40, v12
	s_nop 1
	v_cndmask_b32_e32 v12, v100, v13, vcc
	v_sub_f32_e32 v12, 1.0, v12
.LBB373_135:                            ;   in Loop: Header=BB373_9 Depth=1
	s_andn2_saveexec_b64 s[14:15], s[14:15]
	s_cbranch_execz .LBB373_8
; %bb.136:                              ;   in Loop: Header=BB373_9 Depth=1
	v_mul_f32_e32 v12, v11, v11
	v_fmamk_f32 v13, v12, 0xba1345e1, v98
	v_fmaak_f32 v13, v12, v13, 0xbcdac9b8
	v_fmaak_f32 v13, v12, v13, 0x3de703be
	;; [unrolled: 1-line block ×4, first 2 shown]
	v_fma_f32 v12, |v11|, v12, |v11|
	s_branch .LBB373_8
.LBB373_137:
	s_endpgm
	.section	.rodata,"a",@progbits
	.p2align	6, 0x0
	.amdhsa_kernel _ZN5aiter23act_and_mul_bias_kernelItthfTnPFfRKT2_EXadL_ZNS_11gelu_kernelIfEEfRKT_EELi32EEEvPT0_PS8_PKT1_PS2_il
		.amdhsa_group_segment_fixed_size 0
		.amdhsa_private_segment_fixed_size 0
		.amdhsa_kernarg_size 304
		.amdhsa_user_sgpr_count 2
		.amdhsa_user_sgpr_dispatch_ptr 0
		.amdhsa_user_sgpr_queue_ptr 0
		.amdhsa_user_sgpr_kernarg_segment_ptr 1
		.amdhsa_user_sgpr_dispatch_id 0
		.amdhsa_user_sgpr_kernarg_preload_length 0
		.amdhsa_user_sgpr_kernarg_preload_offset 0
		.amdhsa_user_sgpr_private_segment_size 0
		.amdhsa_uses_dynamic_stack 0
		.amdhsa_enable_private_segment 0
		.amdhsa_system_sgpr_workgroup_id_x 1
		.amdhsa_system_sgpr_workgroup_id_y 0
		.amdhsa_system_sgpr_workgroup_id_z 0
		.amdhsa_system_sgpr_workgroup_info 0
		.amdhsa_system_vgpr_workitem_id 0
		.amdhsa_next_free_vgpr 108
		.amdhsa_next_free_sgpr 46
		.amdhsa_accum_offset 108
		.amdhsa_reserve_vcc 1
		.amdhsa_float_round_mode_32 0
		.amdhsa_float_round_mode_16_64 0
		.amdhsa_float_denorm_mode_32 3
		.amdhsa_float_denorm_mode_16_64 3
		.amdhsa_dx10_clamp 1
		.amdhsa_ieee_mode 1
		.amdhsa_fp16_overflow 0
		.amdhsa_tg_split 0
		.amdhsa_exception_fp_ieee_invalid_op 0
		.amdhsa_exception_fp_denorm_src 0
		.amdhsa_exception_fp_ieee_div_zero 0
		.amdhsa_exception_fp_ieee_overflow 0
		.amdhsa_exception_fp_ieee_underflow 0
		.amdhsa_exception_fp_ieee_inexact 0
		.amdhsa_exception_int_div_zero 0
	.end_amdhsa_kernel
	.section	.text._ZN5aiter23act_and_mul_bias_kernelItthfTnPFfRKT2_EXadL_ZNS_11gelu_kernelIfEEfRKT_EELi32EEEvPT0_PS8_PKT1_PS2_il,"axG",@progbits,_ZN5aiter23act_and_mul_bias_kernelItthfTnPFfRKT2_EXadL_ZNS_11gelu_kernelIfEEfRKT_EELi32EEEvPT0_PS8_PKT1_PS2_il,comdat
.Lfunc_end373:
	.size	_ZN5aiter23act_and_mul_bias_kernelItthfTnPFfRKT2_EXadL_ZNS_11gelu_kernelIfEEfRKT_EELi32EEEvPT0_PS8_PKT1_PS2_il, .Lfunc_end373-_ZN5aiter23act_and_mul_bias_kernelItthfTnPFfRKT2_EXadL_ZNS_11gelu_kernelIfEEfRKT_EELi32EEEvPT0_PS8_PKT1_PS2_il
                                        ; -- End function
	.section	.AMDGPU.csdata,"",@progbits
; Kernel info:
; codeLenInByte = 9676
; NumSgprs: 52
; NumVgprs: 108
; NumAgprs: 0
; TotalNumVgprs: 108
; ScratchSize: 0
; MemoryBound: 0
; FloatMode: 240
; IeeeMode: 1
; LDSByteSize: 0 bytes/workgroup (compile time only)
; SGPRBlocks: 6
; VGPRBlocks: 13
; NumSGPRsForWavesPerEU: 52
; NumVGPRsForWavesPerEU: 108
; AccumOffset: 108
; Occupancy: 4
; WaveLimiterHint : 0
; COMPUTE_PGM_RSRC2:SCRATCH_EN: 0
; COMPUTE_PGM_RSRC2:USER_SGPR: 2
; COMPUTE_PGM_RSRC2:TRAP_HANDLER: 0
; COMPUTE_PGM_RSRC2:TGID_X_EN: 1
; COMPUTE_PGM_RSRC2:TGID_Y_EN: 0
; COMPUTE_PGM_RSRC2:TGID_Z_EN: 0
; COMPUTE_PGM_RSRC2:TIDIG_COMP_CNT: 0
; COMPUTE_PGM_RSRC3_GFX90A:ACCUM_OFFSET: 26
; COMPUTE_PGM_RSRC3_GFX90A:TG_SPLIT: 0
	.section	.text._ZN5aiter23act_and_mul_bias_kernelItthfTnPFfRKT2_EXadL_ZNS_11gelu_kernelIfEEfRKT_EELi16EEEvPT0_PS8_PKT1_PS2_il,"axG",@progbits,_ZN5aiter23act_and_mul_bias_kernelItthfTnPFfRKT2_EXadL_ZNS_11gelu_kernelIfEEfRKT_EELi16EEEvPT0_PS8_PKT1_PS2_il,comdat
	.protected	_ZN5aiter23act_and_mul_bias_kernelItthfTnPFfRKT2_EXadL_ZNS_11gelu_kernelIfEEfRKT_EELi16EEEvPT0_PS8_PKT1_PS2_il ; -- Begin function _ZN5aiter23act_and_mul_bias_kernelItthfTnPFfRKT2_EXadL_ZNS_11gelu_kernelIfEEfRKT_EELi16EEEvPT0_PS8_PKT1_PS2_il
	.globl	_ZN5aiter23act_and_mul_bias_kernelItthfTnPFfRKT2_EXadL_ZNS_11gelu_kernelIfEEfRKT_EELi16EEEvPT0_PS8_PKT1_PS2_il
	.p2align	8
	.type	_ZN5aiter23act_and_mul_bias_kernelItthfTnPFfRKT2_EXadL_ZNS_11gelu_kernelIfEEfRKT_EELi16EEEvPT0_PS8_PKT1_PS2_il,@function
_ZN5aiter23act_and_mul_bias_kernelItthfTnPFfRKT2_EXadL_ZNS_11gelu_kernelIfEEfRKT_EELi16EEEvPT0_PS8_PKT1_PS2_il: ; @_ZN5aiter23act_and_mul_bias_kernelItthfTnPFfRKT2_EXadL_ZNS_11gelu_kernelIfEEfRKT_EELi16EEEvPT0_PS8_PKT1_PS2_il
; %bb.0:
	s_load_dwordx2 s[4:5], s[0:1], 0x10
	s_load_dword s24, s[0:1], 0x20
	s_load_dwordx2 s[6:7], s[0:1], 0x28
	v_mov_b32_e32 v1, s2
	s_mov_b32 s9, 0
	s_waitcnt lgkmcnt(0)
	global_load_ubyte v1, v1, s[4:5]
	s_add_i32 s3, s24, 1
	s_load_dwordx2 s[4:5], s[0:1], 0x0
	v_mov_b64_e32 v[2:3], s[6:7]
	s_lshr_b32 s6, s3, 31
	s_ashr_i32 s25, s24, 31
	s_add_i32 s3, s3, s6
	s_mul_hi_u32 s8, s24, s2
	s_mul_i32 s7, s25, s2
	s_lshl_b32 s3, s3, 1
	s_mul_i32 s12, s24, s2
	s_add_i32 s13, s8, s7
	s_and_b32 s6, s3, -4
	s_lshl_b64 s[12:13], s[12:13], 1
	s_mov_b64 s[10:11], -1
	v_lshlrev_b32_e32 v48, 4, v0
	s_waitcnt vmcnt(0)
	v_readfirstlane_b32 s3, v1
	s_and_b32 s8, s3, 0xffff
	s_waitcnt lgkmcnt(0)
	s_add_u32 s4, s4, s12
	v_cmp_lt_i64_e32 vcc, s[8:9], v[2:3]
	s_addc_u32 s3, s5, s13
	s_and_b32 s5, s3, 0xffff
	s_cbranch_vccnz .LBB374_5
; %bb.1:
	v_cmp_gt_i32_e32 vcc, s24, v48
	s_and_saveexec_b64 s[10:11], vcc
	s_cbranch_execz .LBB374_4
; %bb.2:
	s_load_dword s3, s[0:1], 0x3c
	s_mov_b32 s13, 0
	s_mov_b32 s16, s13
	;; [unrolled: 1-line block ×3, first 2 shown]
	v_mov_b32_e32 v49, 0
	v_lshlrev_b32_e32 v6, 5, v0
	s_waitcnt lgkmcnt(0)
	s_and_b32 s3, s3, 0xffff
	s_mov_b32 s18, s13
	s_mov_b32 s19, s13
	v_mov_b64_e32 v[0:1], s[16:17]
	s_lshl_b32 s12, s3, 4
	s_lshl_b32 s3, s3, 5
	s_mov_b64 s[14:15], 0
	s_mov_b32 s7, 0x20000
	v_mov_b64_e32 v[2:3], s[18:19]
	v_mov_b64_e32 v[4:5], v[48:49]
.LBB374_3:                              ; =>This Inner Loop Header: Depth=1
	v_lshl_add_u64 v[4:5], s[12:13], 0, v[4:5]
	v_cmp_le_i64_e32 vcc, s[24:25], v[4:5]
	buffer_store_dwordx4 v[0:3], v6, s[4:7], 0 offen
	buffer_store_dwordx4 v[0:3], v6, s[4:7], 16 offen
	s_or_b64 s[14:15], vcc, s[14:15]
	v_add_u32_e32 v6, s3, v6
	s_andn2_b64 exec, exec, s[14:15]
	s_cbranch_execnz .LBB374_3
.LBB374_4:
	s_or_b64 exec, exec, s[10:11]
	s_mov_b64 s[10:11], 0
.LBB374_5:
	s_andn2_b64 vcc, exec, s[10:11]
	s_cbranch_vccnz .LBB374_73
; %bb.6:
	v_cmp_gt_i32_e32 vcc, s24, v48
	s_and_saveexec_b64 s[10:11], vcc
	s_cbranch_execz .LBB374_73
; %bb.7:
	s_load_dwordx2 s[10:11], s[0:1], 0x18
	s_load_dwordx2 s[14:15], s[0:1], 0x8
	s_mul_hi_i32 s9, s24, s8
	s_mul_i32 s8, s24, s8
	s_lshl_b64 s[8:9], s[8:9], 3
	s_waitcnt lgkmcnt(0)
	s_add_u32 s8, s10, s8
	s_addc_u32 s3, s11, s9
	s_lshl_b64 s[10:11], s[24:25], 2
	s_add_u32 s12, s8, s10
	s_addc_u32 s13, s3, s11
	s_and_b32 s9, s3, 0xffff
	s_mul_i32 s3, s2, s25
	s_mul_hi_u32 s16, s2, s24
	s_add_i32 s3, s16, s3
	s_mul_i32 s2, s2, s24
	s_lshl_b32 s10, s24, 2
	s_and_b32 s13, s13, 0xffff
	s_lshl_b64 s[2:3], s[2:3], 2
	s_add_u32 s16, s14, s2
	s_addc_u32 s14, s15, s3
	s_lshl_b64 s[2:3], s[24:25], 1
	s_add_u32 s20, s16, s2
	s_addc_u32 s2, s14, s3
	s_and_b32 s17, s14, 0xffff
	s_and_b32 s21, s2, 0xffff
	s_mov_b32 s7, 0x20000
	s_add_u32 s0, s0, 48
	s_mov_b32 s11, s7
	s_mov_b64 s[22:23], s[6:7]
	v_mov_b32_e32 v49, 0
	s_addc_u32 s1, s1, 0
	s_mov_b64 s[2:3], 0
	s_mov_b32 s18, s6
	s_mov_b32 s19, s7
	;; [unrolled: 1-line block ×12, first 2 shown]
	v_mov_b32_e32 v50, 0x3ba10414
	s_brev_b32 s38, -2
	s_mov_b32 s39, 0x7060302
	v_mov_b32_e32 v51, 0xb9c68948
	v_mov_b32_e32 v52, 0x7f800000
                                        ; implicit-def: $vgpr0
                                        ; implicit-def: $vgpr0
                                        ; implicit-def: $vgpr0
                                        ; implicit-def: $vgpr0
	s_branch .LBB374_9
.LBB374_8:                              ;   in Loop: Header=BB374_9 Depth=1
	s_or_b64 exec, exec, s[14:15]
	v_bfi_b32 v8, s38, v9, v8
	v_mul_f32_e32 v2, 0.5, v2
	v_add_f32_e32 v8, 1.0, v8
	v_mul_f32_e32 v2, v2, v8
	v_and_b32_e32 v8, 0xffff0000, v3
	v_add_f32_e32 v7, v7, v8
	v_lshlrev_b32_e32 v3, 16, v3
	v_bfi_b32 v8, s38, v12, v11
	v_add_f32_e32 v6, v6, v3
	v_mul_f32_e32 v3, 0.5, v10
	v_add_f32_e32 v8, 1.0, v8
	v_mul_f32_e32 v3, v3, v8
	;;#ASMSTART
	v_pk_mul_f32 v[2:3], v[2:3], v[6:7]
	;;#ASMEND
	s_load_dword s14, s[0:1], 0xc
	v_perm_b32 v9, v27, v26, s39
	v_perm_b32 v8, v29, v28, s39
	;; [unrolled: 1-line block ×4, first 2 shown]
	s_waitcnt lgkmcnt(0)
	s_and_b32 s14, s14, 0xffff
	s_lshl_b32 s26, s14, 4
	v_lshl_add_u64 v[48:49], s[26:27], 0, v[48:49]
	v_cmp_le_i64_e32 vcc, s[24:25], v[48:49]
	v_perm_b32 v3, v3, v2, s39
	v_perm_b32 v2, v5, v4, s39
	;; [unrolled: 1-line block ×4, first 2 shown]
	s_or_b64 s[2:3], vcc, s[2:3]
	buffer_store_dwordx4 v[6:9], v53, s[4:7], 0 offen
	buffer_store_dwordx4 v[0:3], v53, s[4:7], 16 offen
	s_andn2_b64 exec, exec, s[2:3]
	s_cbranch_execz .LBB374_73
.LBB374_9:                              ; =>This Inner Loop Header: Depth=1
	v_lshlrev_b32_e32 v53, 1, v48
	v_lshlrev_b32_e32 v54, 2, v48
	s_mov_b32 s14, s10
	s_mov_b32 s15, s11
	buffer_load_dwordx4 v[32:35], v53, s[16:19], 0 offen
	buffer_load_dwordx4 v[8:11], v53, s[16:19], 16 offen
	;; [unrolled: 1-line block ×12, first 2 shown]
                                        ; implicit-def: $vgpr55
	s_waitcnt vmcnt(11)
	v_lshlrev_b32_e32 v54, 16, v32
	s_waitcnt vmcnt(7)
	v_add_f32_e32 v44, v44, v54
	v_mul_f32_e32 v54, 0x3f3504f3, v44
	v_cmp_nlt_f32_e64 s[14:15], |v54|, 1.0
	s_and_saveexec_b64 s[40:41], s[14:15]
	s_xor_b64 s[14:15], exec, s[40:41]
	s_cbranch_execz .LBB374_11
; %bb.10:                               ;   in Loop: Header=BB374_9 Depth=1
	v_fma_f32 v55, |v54|, s28, v51
	v_fma_f32 v55, |v54|, v55, s29
	;; [unrolled: 1-line block ×6, first 2 shown]
	v_fma_f32 v55, |v54|, v55, |v54|
	v_mul_f32_e32 v56, 0xbfb8aa3b, v55
	v_fma_f32 v57, v55, s35, -v56
	v_rndne_f32_e32 v58, v56
	v_fmac_f32_e32 v57, 0xb2a5705f, v55
	v_sub_f32_e32 v56, v56, v58
	v_add_f32_e32 v56, v56, v57
	v_cvt_i32_f32_e32 v57, v58
	v_exp_f32_e32 v56, v56
	v_cmp_nlt_f32_e32 vcc, s36, v55
	v_ldexp_f32 v56, v56, v57
	s_nop 0
	v_cndmask_b32_e32 v56, 0, v56, vcc
	v_cmp_ngt_f32_e32 vcc, s37, v55
	s_nop 1
	v_cndmask_b32_e32 v55, v52, v56, vcc
	v_sub_f32_e32 v55, 1.0, v55
.LBB374_11:                             ;   in Loop: Header=BB374_9 Depth=1
	s_andn2_saveexec_b64 s[14:15], s[14:15]
; %bb.12:                               ;   in Loop: Header=BB374_9 Depth=1
	v_mul_f32_e32 v55, v54, v54
	v_fmamk_f32 v56, v55, 0xba1345e1, v50
	v_fmaak_f32 v56, v55, v56, 0xbcdac9b8
	v_fmaak_f32 v56, v55, v56, 0x3de703be
	v_fmaak_f32 v56, v55, v56, 0xbec09330
	v_fmaak_f32 v55, v55, v56, 0x3e0375d0
	v_fma_f32 v55, |v54|, v55, |v54|
; %bb.13:                               ;   in Loop: Header=BB374_9 Depth=1
	s_or_b64 exec, exec, s[14:15]
	v_and_b32_e32 v32, 0xffff0000, v32
	v_add_f32_e32 v32, v45, v32
	v_mul_f32_e32 v45, 0x3f3504f3, v32
	v_cmp_nlt_f32_e64 s[14:15], |v45|, 1.0
                                        ; implicit-def: $vgpr56
	s_and_saveexec_b64 s[40:41], s[14:15]
	s_xor_b64 s[14:15], exec, s[40:41]
	s_cbranch_execz .LBB374_15
; %bb.14:                               ;   in Loop: Header=BB374_9 Depth=1
	v_fma_f32 v56, |v45|, s28, v51
	v_fma_f32 v56, |v45|, v56, s29
	;; [unrolled: 1-line block ×6, first 2 shown]
	v_fma_f32 v56, |v45|, v56, |v45|
	v_mul_f32_e32 v57, 0xbfb8aa3b, v56
	v_fma_f32 v58, v56, s35, -v57
	v_rndne_f32_e32 v59, v57
	v_fmac_f32_e32 v58, 0xb2a5705f, v56
	v_sub_f32_e32 v57, v57, v59
	v_add_f32_e32 v57, v57, v58
	v_cvt_i32_f32_e32 v58, v59
	v_exp_f32_e32 v57, v57
	v_cmp_nlt_f32_e32 vcc, s36, v56
	v_ldexp_f32 v57, v57, v58
	s_nop 0
	v_cndmask_b32_e32 v57, 0, v57, vcc
	v_cmp_ngt_f32_e32 vcc, s37, v56
	s_nop 1
	v_cndmask_b32_e32 v56, v52, v57, vcc
	v_sub_f32_e32 v56, 1.0, v56
.LBB374_15:                             ;   in Loop: Header=BB374_9 Depth=1
	s_andn2_saveexec_b64 s[14:15], s[14:15]
; %bb.16:                               ;   in Loop: Header=BB374_9 Depth=1
	v_mul_f32_e32 v56, v45, v45
	v_fmamk_f32 v57, v56, 0xba1345e1, v50
	v_fmaak_f32 v57, v56, v57, 0xbcdac9b8
	v_fmaak_f32 v57, v56, v57, 0x3de703be
	;; [unrolled: 1-line block ×4, first 2 shown]
	v_fma_f32 v56, |v45|, v56, |v45|
; %bb.17:                               ;   in Loop: Header=BB374_9 Depth=1
	s_or_b64 exec, exec, s[14:15]
	v_bfi_b32 v54, s38, v55, v54
	v_mul_f32_e32 v44, 0.5, v44
	v_add_f32_e32 v54, 1.0, v54
	v_mul_f32_e32 v44, v44, v54
	v_and_b32_e32 v54, 0xffff0000, v24
	v_lshlrev_b32_e32 v24, 16, v24
	s_waitcnt vmcnt(3)
	v_add_f32_e32 v40, v40, v24
	v_mul_f32_e32 v24, 0.5, v32
	v_bfi_b32 v32, s38, v56, v45
	v_add_f32_e32 v32, 1.0, v32
	v_mul_f32_e32 v45, v24, v32
	v_lshlrev_b32_e32 v24, 16, v33
	v_add_f32_e32 v24, v46, v24
	v_mul_f32_e32 v32, 0x3f3504f3, v24
	v_add_f32_e32 v41, v41, v54
	v_cmp_nlt_f32_e64 s[14:15], |v32|, 1.0
	;;#ASMSTART
	v_pk_mul_f32 v[40:41], v[44:45], v[40:41]
	;;#ASMEND
                                        ; implicit-def: $vgpr44
	s_and_saveexec_b64 s[40:41], s[14:15]
	s_xor_b64 s[14:15], exec, s[40:41]
	s_cbranch_execz .LBB374_19
; %bb.18:                               ;   in Loop: Header=BB374_9 Depth=1
	v_fma_f32 v44, |v32|, s28, v51
	v_fma_f32 v44, |v32|, v44, s29
	;; [unrolled: 1-line block ×6, first 2 shown]
	v_fma_f32 v44, |v32|, v44, |v32|
	v_mul_f32_e32 v45, 0xbfb8aa3b, v44
	v_fma_f32 v46, v44, s35, -v45
	v_rndne_f32_e32 v54, v45
	v_fmac_f32_e32 v46, 0xb2a5705f, v44
	v_sub_f32_e32 v45, v45, v54
	v_add_f32_e32 v45, v45, v46
	v_cvt_i32_f32_e32 v46, v54
	v_exp_f32_e32 v45, v45
	v_cmp_nlt_f32_e32 vcc, s36, v44
	v_ldexp_f32 v45, v45, v46
	s_nop 0
	v_cndmask_b32_e32 v45, 0, v45, vcc
	v_cmp_ngt_f32_e32 vcc, s37, v44
	s_nop 1
	v_cndmask_b32_e32 v44, v52, v45, vcc
	v_sub_f32_e32 v44, 1.0, v44
.LBB374_19:                             ;   in Loop: Header=BB374_9 Depth=1
	s_andn2_saveexec_b64 s[14:15], s[14:15]
; %bb.20:                               ;   in Loop: Header=BB374_9 Depth=1
	v_mul_f32_e32 v44, v32, v32
	v_fmamk_f32 v45, v44, 0xba1345e1, v50
	v_fmaak_f32 v45, v44, v45, 0xbcdac9b8
	v_fmaak_f32 v45, v44, v45, 0x3de703be
	;; [unrolled: 1-line block ×4, first 2 shown]
	v_fma_f32 v44, |v32|, v44, |v32|
; %bb.21:                               ;   in Loop: Header=BB374_9 Depth=1
	s_or_b64 exec, exec, s[14:15]
	v_and_b32_e32 v33, 0xffff0000, v33
	v_add_f32_e32 v33, v47, v33
	v_mul_f32_e32 v45, 0x3f3504f3, v33
	v_cmp_nlt_f32_e64 s[14:15], |v45|, 1.0
                                        ; implicit-def: $vgpr46
	s_and_saveexec_b64 s[40:41], s[14:15]
	s_xor_b64 s[14:15], exec, s[40:41]
	s_cbranch_execz .LBB374_23
; %bb.22:                               ;   in Loop: Header=BB374_9 Depth=1
	v_fma_f32 v46, |v45|, s28, v51
	v_fma_f32 v46, |v45|, v46, s29
	;; [unrolled: 1-line block ×6, first 2 shown]
	v_fma_f32 v46, |v45|, v46, |v45|
	v_mul_f32_e32 v47, 0xbfb8aa3b, v46
	v_fma_f32 v54, v46, s35, -v47
	v_rndne_f32_e32 v55, v47
	v_fmac_f32_e32 v54, 0xb2a5705f, v46
	v_sub_f32_e32 v47, v47, v55
	v_add_f32_e32 v47, v47, v54
	v_cvt_i32_f32_e32 v54, v55
	v_exp_f32_e32 v47, v47
	v_cmp_nlt_f32_e32 vcc, s36, v46
	v_ldexp_f32 v47, v47, v54
	s_nop 0
	v_cndmask_b32_e32 v47, 0, v47, vcc
	v_cmp_ngt_f32_e32 vcc, s37, v46
	s_nop 1
	v_cndmask_b32_e32 v46, v52, v47, vcc
	v_sub_f32_e32 v46, 1.0, v46
.LBB374_23:                             ;   in Loop: Header=BB374_9 Depth=1
	s_andn2_saveexec_b64 s[14:15], s[14:15]
; %bb.24:                               ;   in Loop: Header=BB374_9 Depth=1
	v_mul_f32_e32 v46, v45, v45
	v_fmamk_f32 v47, v46, 0xba1345e1, v50
	v_fmaak_f32 v47, v46, v47, 0xbcdac9b8
	v_fmaak_f32 v47, v46, v47, 0x3de703be
	;; [unrolled: 1-line block ×4, first 2 shown]
	v_fma_f32 v46, |v45|, v46, |v45|
; %bb.25:                               ;   in Loop: Header=BB374_9 Depth=1
	s_or_b64 exec, exec, s[14:15]
	v_bfi_b32 v32, s38, v44, v32
	v_mul_f32_e32 v24, 0.5, v24
	v_add_f32_e32 v32, 1.0, v32
	v_mul_f32_e32 v24, v24, v32
	v_and_b32_e32 v32, 0xffff0000, v25
	v_add_f32_e32 v43, v43, v32
	v_lshlrev_b32_e32 v25, 16, v25
	v_bfi_b32 v32, s38, v46, v45
	v_add_f32_e32 v42, v42, v25
	v_mul_f32_e32 v25, 0.5, v33
	v_add_f32_e32 v32, 1.0, v32
	v_mul_f32_e32 v25, v25, v32
	v_lshlrev_b32_e32 v32, 16, v34
	v_add_f32_e32 v32, v36, v32
	v_mul_f32_e32 v33, 0x3f3504f3, v32
	v_cmp_nlt_f32_e64 s[14:15], |v33|, 1.0
	;;#ASMSTART
	v_pk_mul_f32 v[24:25], v[24:25], v[42:43]
	;;#ASMEND
                                        ; implicit-def: $vgpr36
	s_and_saveexec_b64 s[40:41], s[14:15]
	s_xor_b64 s[14:15], exec, s[40:41]
	s_cbranch_execz .LBB374_27
; %bb.26:                               ;   in Loop: Header=BB374_9 Depth=1
	v_fma_f32 v36, |v33|, s28, v51
	v_fma_f32 v36, |v33|, v36, s29
	;; [unrolled: 1-line block ×6, first 2 shown]
	v_fma_f32 v36, |v33|, v36, |v33|
	v_mul_f32_e32 v42, 0xbfb8aa3b, v36
	v_fma_f32 v43, v36, s35, -v42
	v_rndne_f32_e32 v44, v42
	v_fmac_f32_e32 v43, 0xb2a5705f, v36
	v_sub_f32_e32 v42, v42, v44
	v_add_f32_e32 v42, v42, v43
	v_cvt_i32_f32_e32 v43, v44
	v_exp_f32_e32 v42, v42
	v_cmp_nlt_f32_e32 vcc, s36, v36
	v_ldexp_f32 v42, v42, v43
	s_nop 0
	v_cndmask_b32_e32 v42, 0, v42, vcc
	v_cmp_ngt_f32_e32 vcc, s37, v36
	s_nop 1
	v_cndmask_b32_e32 v36, v52, v42, vcc
	v_sub_f32_e32 v36, 1.0, v36
.LBB374_27:                             ;   in Loop: Header=BB374_9 Depth=1
	s_andn2_saveexec_b64 s[14:15], s[14:15]
; %bb.28:                               ;   in Loop: Header=BB374_9 Depth=1
	v_mul_f32_e32 v36, v33, v33
	v_fmamk_f32 v42, v36, 0xba1345e1, v50
	v_fmaak_f32 v42, v36, v42, 0xbcdac9b8
	v_fmaak_f32 v42, v36, v42, 0x3de703be
	v_fmaak_f32 v42, v36, v42, 0xbec09330
	v_fmaak_f32 v36, v36, v42, 0x3e0375d0
	v_fma_f32 v36, |v33|, v36, |v33|
; %bb.29:                               ;   in Loop: Header=BB374_9 Depth=1
	s_or_b64 exec, exec, s[14:15]
	v_and_b32_e32 v34, 0xffff0000, v34
	v_add_f32_e32 v34, v37, v34
	v_mul_f32_e32 v37, 0x3f3504f3, v34
	v_cmp_nlt_f32_e64 s[14:15], |v37|, 1.0
                                        ; implicit-def: $vgpr42
	s_and_saveexec_b64 s[40:41], s[14:15]
	s_xor_b64 s[14:15], exec, s[40:41]
	s_cbranch_execz .LBB374_31
; %bb.30:                               ;   in Loop: Header=BB374_9 Depth=1
	v_fma_f32 v42, |v37|, s28, v51
	v_fma_f32 v42, |v37|, v42, s29
	;; [unrolled: 1-line block ×6, first 2 shown]
	v_fma_f32 v42, |v37|, v42, |v37|
	v_mul_f32_e32 v43, 0xbfb8aa3b, v42
	v_fma_f32 v44, v42, s35, -v43
	v_rndne_f32_e32 v45, v43
	v_fmac_f32_e32 v44, 0xb2a5705f, v42
	v_sub_f32_e32 v43, v43, v45
	v_add_f32_e32 v43, v43, v44
	v_cvt_i32_f32_e32 v44, v45
	v_exp_f32_e32 v43, v43
	v_cmp_nlt_f32_e32 vcc, s36, v42
	v_ldexp_f32 v43, v43, v44
	s_nop 0
	v_cndmask_b32_e32 v43, 0, v43, vcc
	v_cmp_ngt_f32_e32 vcc, s37, v42
	s_nop 1
	v_cndmask_b32_e32 v42, v52, v43, vcc
	v_sub_f32_e32 v42, 1.0, v42
.LBB374_31:                             ;   in Loop: Header=BB374_9 Depth=1
	s_andn2_saveexec_b64 s[14:15], s[14:15]
; %bb.32:                               ;   in Loop: Header=BB374_9 Depth=1
	v_mul_f32_e32 v42, v37, v37
	v_fmamk_f32 v43, v42, 0xba1345e1, v50
	v_fmaak_f32 v43, v42, v43, 0xbcdac9b8
	v_fmaak_f32 v43, v42, v43, 0x3de703be
	;; [unrolled: 1-line block ×4, first 2 shown]
	v_fma_f32 v42, |v37|, v42, |v37|
; %bb.33:                               ;   in Loop: Header=BB374_9 Depth=1
	s_or_b64 exec, exec, s[14:15]
	v_bfi_b32 v33, s38, v36, v33
	v_mul_f32_e32 v32, 0.5, v32
	v_add_f32_e32 v33, 1.0, v33
	v_mul_f32_e32 v32, v32, v33
	v_and_b32_e32 v33, 0xffff0000, v26
	s_waitcnt vmcnt(2)
	v_add_f32_e32 v29, v29, v33
	v_lshlrev_b32_e32 v26, 16, v26
	v_bfi_b32 v33, s38, v42, v37
	v_add_f32_e32 v28, v28, v26
	v_mul_f32_e32 v26, 0.5, v34
	v_add_f32_e32 v33, 1.0, v33
	v_mul_f32_e32 v33, v26, v33
	v_lshlrev_b32_e32 v26, 16, v35
	v_add_f32_e32 v26, v38, v26
	;;#ASMSTART
	v_pk_mul_f32 v[28:29], v[32:33], v[28:29]
	;;#ASMEND
	v_mul_f32_e32 v32, 0x3f3504f3, v26
	v_cmp_nlt_f32_e64 s[14:15], |v32|, 1.0
                                        ; implicit-def: $vgpr33
	s_and_saveexec_b64 s[40:41], s[14:15]
	s_xor_b64 s[14:15], exec, s[40:41]
	s_cbranch_execz .LBB374_35
; %bb.34:                               ;   in Loop: Header=BB374_9 Depth=1
	v_fma_f32 v33, |v32|, s28, v51
	v_fma_f32 v33, |v32|, v33, s29
	;; [unrolled: 1-line block ×6, first 2 shown]
	v_fma_f32 v33, |v32|, v33, |v32|
	v_mul_f32_e32 v34, 0xbfb8aa3b, v33
	v_fma_f32 v36, v33, s35, -v34
	v_rndne_f32_e32 v37, v34
	v_fmac_f32_e32 v36, 0xb2a5705f, v33
	v_sub_f32_e32 v34, v34, v37
	v_add_f32_e32 v34, v34, v36
	v_cvt_i32_f32_e32 v36, v37
	v_exp_f32_e32 v34, v34
	v_cmp_nlt_f32_e32 vcc, s36, v33
	v_ldexp_f32 v34, v34, v36
	s_nop 0
	v_cndmask_b32_e32 v34, 0, v34, vcc
	v_cmp_ngt_f32_e32 vcc, s37, v33
	s_nop 1
	v_cndmask_b32_e32 v33, v52, v34, vcc
	v_sub_f32_e32 v33, 1.0, v33
.LBB374_35:                             ;   in Loop: Header=BB374_9 Depth=1
	s_andn2_saveexec_b64 s[14:15], s[14:15]
; %bb.36:                               ;   in Loop: Header=BB374_9 Depth=1
	v_mul_f32_e32 v33, v32, v32
	v_fmamk_f32 v34, v33, 0xba1345e1, v50
	v_fmaak_f32 v34, v33, v34, 0xbcdac9b8
	v_fmaak_f32 v34, v33, v34, 0x3de703be
	;; [unrolled: 1-line block ×4, first 2 shown]
	v_fma_f32 v33, |v32|, v33, |v32|
; %bb.37:                               ;   in Loop: Header=BB374_9 Depth=1
	s_or_b64 exec, exec, s[14:15]
	v_and_b32_e32 v34, 0xffff0000, v35
	v_add_f32_e32 v34, v39, v34
	v_mul_f32_e32 v35, 0x3f3504f3, v34
	v_cmp_nlt_f32_e64 s[14:15], |v35|, 1.0
                                        ; implicit-def: $vgpr36
	s_and_saveexec_b64 s[40:41], s[14:15]
	s_xor_b64 s[14:15], exec, s[40:41]
	s_cbranch_execz .LBB374_39
; %bb.38:                               ;   in Loop: Header=BB374_9 Depth=1
	v_fma_f32 v36, |v35|, s28, v51
	v_fma_f32 v36, |v35|, v36, s29
	;; [unrolled: 1-line block ×6, first 2 shown]
	v_fma_f32 v36, |v35|, v36, |v35|
	v_mul_f32_e32 v37, 0xbfb8aa3b, v36
	v_fma_f32 v38, v36, s35, -v37
	v_rndne_f32_e32 v39, v37
	v_fmac_f32_e32 v38, 0xb2a5705f, v36
	v_sub_f32_e32 v37, v37, v39
	v_add_f32_e32 v37, v37, v38
	v_cvt_i32_f32_e32 v38, v39
	v_exp_f32_e32 v37, v37
	v_cmp_nlt_f32_e32 vcc, s36, v36
	v_ldexp_f32 v37, v37, v38
	s_nop 0
	v_cndmask_b32_e32 v37, 0, v37, vcc
	v_cmp_ngt_f32_e32 vcc, s37, v36
	s_nop 1
	v_cndmask_b32_e32 v36, v52, v37, vcc
	v_sub_f32_e32 v36, 1.0, v36
.LBB374_39:                             ;   in Loop: Header=BB374_9 Depth=1
	s_andn2_saveexec_b64 s[14:15], s[14:15]
; %bb.40:                               ;   in Loop: Header=BB374_9 Depth=1
	v_mul_f32_e32 v36, v35, v35
	v_fmamk_f32 v37, v36, 0xba1345e1, v50
	v_fmaak_f32 v37, v36, v37, 0xbcdac9b8
	v_fmaak_f32 v37, v36, v37, 0x3de703be
	;; [unrolled: 1-line block ×4, first 2 shown]
	v_fma_f32 v36, |v35|, v36, |v35|
; %bb.41:                               ;   in Loop: Header=BB374_9 Depth=1
	s_or_b64 exec, exec, s[14:15]
	v_bfi_b32 v32, s38, v33, v32
	v_mul_f32_e32 v26, 0.5, v26
	v_add_f32_e32 v32, 1.0, v32
	v_mul_f32_e32 v26, v26, v32
	v_and_b32_e32 v32, 0xffff0000, v27
	v_add_f32_e32 v31, v31, v32
	v_lshlrev_b32_e32 v27, 16, v27
	v_bfi_b32 v32, s38, v36, v35
	v_add_f32_e32 v30, v30, v27
	v_mul_f32_e32 v27, 0.5, v34
	v_add_f32_e32 v32, 1.0, v32
	v_mul_f32_e32 v27, v27, v32
	;;#ASMSTART
	v_pk_mul_f32 v[26:27], v[26:27], v[30:31]
	;;#ASMEND
	v_lshlrev_b32_e32 v30, 16, v8
	v_add_f32_e32 v20, v20, v30
	v_mul_f32_e32 v30, 0x3f3504f3, v20
	v_cmp_nlt_f32_e64 s[14:15], |v30|, 1.0
                                        ; implicit-def: $vgpr31
	s_and_saveexec_b64 s[40:41], s[14:15]
	s_xor_b64 s[14:15], exec, s[40:41]
	s_cbranch_execz .LBB374_43
; %bb.42:                               ;   in Loop: Header=BB374_9 Depth=1
	v_fma_f32 v31, |v30|, s28, v51
	v_fma_f32 v31, |v30|, v31, s29
	;; [unrolled: 1-line block ×6, first 2 shown]
	v_fma_f32 v31, |v30|, v31, |v30|
	v_mul_f32_e32 v32, 0xbfb8aa3b, v31
	v_fma_f32 v33, v31, s35, -v32
	v_rndne_f32_e32 v34, v32
	v_fmac_f32_e32 v33, 0xb2a5705f, v31
	v_sub_f32_e32 v32, v32, v34
	v_add_f32_e32 v32, v32, v33
	v_cvt_i32_f32_e32 v33, v34
	v_exp_f32_e32 v32, v32
	v_cmp_nlt_f32_e32 vcc, s36, v31
	v_ldexp_f32 v32, v32, v33
	s_nop 0
	v_cndmask_b32_e32 v32, 0, v32, vcc
	v_cmp_ngt_f32_e32 vcc, s37, v31
	s_nop 1
	v_cndmask_b32_e32 v31, v52, v32, vcc
	v_sub_f32_e32 v31, 1.0, v31
.LBB374_43:                             ;   in Loop: Header=BB374_9 Depth=1
	s_andn2_saveexec_b64 s[14:15], s[14:15]
; %bb.44:                               ;   in Loop: Header=BB374_9 Depth=1
	v_mul_f32_e32 v31, v30, v30
	v_fmamk_f32 v32, v31, 0xba1345e1, v50
	v_fmaak_f32 v32, v31, v32, 0xbcdac9b8
	v_fmaak_f32 v32, v31, v32, 0x3de703be
	;; [unrolled: 1-line block ×4, first 2 shown]
	v_fma_f32 v31, |v30|, v31, |v30|
; %bb.45:                               ;   in Loop: Header=BB374_9 Depth=1
	s_or_b64 exec, exec, s[14:15]
	v_and_b32_e32 v8, 0xffff0000, v8
	v_add_f32_e32 v8, v21, v8
	v_mul_f32_e32 v21, 0x3f3504f3, v8
	v_cmp_nlt_f32_e64 s[14:15], |v21|, 1.0
                                        ; implicit-def: $vgpr32
	s_and_saveexec_b64 s[40:41], s[14:15]
	s_xor_b64 s[14:15], exec, s[40:41]
	s_cbranch_execz .LBB374_47
; %bb.46:                               ;   in Loop: Header=BB374_9 Depth=1
	v_fma_f32 v32, |v21|, s28, v51
	v_fma_f32 v32, |v21|, v32, s29
	;; [unrolled: 1-line block ×6, first 2 shown]
	v_fma_f32 v32, |v21|, v32, |v21|
	v_mul_f32_e32 v33, 0xbfb8aa3b, v32
	v_fma_f32 v34, v32, s35, -v33
	v_rndne_f32_e32 v35, v33
	v_fmac_f32_e32 v34, 0xb2a5705f, v32
	v_sub_f32_e32 v33, v33, v35
	v_add_f32_e32 v33, v33, v34
	v_cvt_i32_f32_e32 v34, v35
	v_exp_f32_e32 v33, v33
	v_cmp_nlt_f32_e32 vcc, s36, v32
	v_ldexp_f32 v33, v33, v34
	s_nop 0
	v_cndmask_b32_e32 v33, 0, v33, vcc
	v_cmp_ngt_f32_e32 vcc, s37, v32
	s_nop 1
	v_cndmask_b32_e32 v32, v52, v33, vcc
	v_sub_f32_e32 v32, 1.0, v32
.LBB374_47:                             ;   in Loop: Header=BB374_9 Depth=1
	s_andn2_saveexec_b64 s[14:15], s[14:15]
; %bb.48:                               ;   in Loop: Header=BB374_9 Depth=1
	v_mul_f32_e32 v32, v21, v21
	v_fmamk_f32 v33, v32, 0xba1345e1, v50
	v_fmaak_f32 v33, v32, v33, 0xbcdac9b8
	v_fmaak_f32 v33, v32, v33, 0x3de703be
	;; [unrolled: 1-line block ×4, first 2 shown]
	v_fma_f32 v32, |v21|, v32, |v21|
; %bb.49:                               ;   in Loop: Header=BB374_9 Depth=1
	s_or_b64 exec, exec, s[14:15]
	v_bfi_b32 v30, s38, v31, v30
	v_mul_f32_e32 v20, 0.5, v20
	v_add_f32_e32 v30, 1.0, v30
	v_mul_f32_e32 v20, v20, v30
	v_and_b32_e32 v30, 0xffff0000, v0
	v_lshlrev_b32_e32 v0, 16, v0
	s_waitcnt vmcnt(1)
	v_add_f32_e32 v16, v16, v0
	v_mul_f32_e32 v0, 0.5, v8
	v_bfi_b32 v8, s38, v32, v21
	v_add_f32_e32 v8, 1.0, v8
	v_mul_f32_e32 v21, v0, v8
	v_lshlrev_b32_e32 v0, 16, v9
	v_add_f32_e32 v0, v22, v0
	v_mul_f32_e32 v8, 0x3f3504f3, v0
	v_add_f32_e32 v17, v17, v30
	v_cmp_nlt_f32_e64 s[14:15], |v8|, 1.0
	;;#ASMSTART
	v_pk_mul_f32 v[16:17], v[20:21], v[16:17]
	;;#ASMEND
                                        ; implicit-def: $vgpr20
	s_and_saveexec_b64 s[40:41], s[14:15]
	s_xor_b64 s[14:15], exec, s[40:41]
	s_cbranch_execz .LBB374_51
; %bb.50:                               ;   in Loop: Header=BB374_9 Depth=1
	v_fma_f32 v20, |v8|, s28, v51
	v_fma_f32 v20, |v8|, v20, s29
	;; [unrolled: 1-line block ×6, first 2 shown]
	v_fma_f32 v20, |v8|, v20, |v8|
	v_mul_f32_e32 v21, 0xbfb8aa3b, v20
	v_fma_f32 v22, v20, s35, -v21
	v_rndne_f32_e32 v30, v21
	v_fmac_f32_e32 v22, 0xb2a5705f, v20
	v_sub_f32_e32 v21, v21, v30
	v_add_f32_e32 v21, v21, v22
	v_cvt_i32_f32_e32 v22, v30
	v_exp_f32_e32 v21, v21
	v_cmp_nlt_f32_e32 vcc, s36, v20
	v_ldexp_f32 v21, v21, v22
	s_nop 0
	v_cndmask_b32_e32 v21, 0, v21, vcc
	v_cmp_ngt_f32_e32 vcc, s37, v20
	s_nop 1
	v_cndmask_b32_e32 v20, v52, v21, vcc
	v_sub_f32_e32 v20, 1.0, v20
.LBB374_51:                             ;   in Loop: Header=BB374_9 Depth=1
	s_andn2_saveexec_b64 s[14:15], s[14:15]
; %bb.52:                               ;   in Loop: Header=BB374_9 Depth=1
	v_mul_f32_e32 v20, v8, v8
	v_fmamk_f32 v21, v20, 0xba1345e1, v50
	v_fmaak_f32 v21, v20, v21, 0xbcdac9b8
	v_fmaak_f32 v21, v20, v21, 0x3de703be
	v_fmaak_f32 v21, v20, v21, 0xbec09330
	v_fmaak_f32 v20, v20, v21, 0x3e0375d0
	v_fma_f32 v20, |v8|, v20, |v8|
; %bb.53:                               ;   in Loop: Header=BB374_9 Depth=1
	s_or_b64 exec, exec, s[14:15]
	v_and_b32_e32 v9, 0xffff0000, v9
	v_add_f32_e32 v9, v23, v9
	v_mul_f32_e32 v21, 0x3f3504f3, v9
	v_cmp_nlt_f32_e64 s[14:15], |v21|, 1.0
                                        ; implicit-def: $vgpr22
	s_and_saveexec_b64 s[40:41], s[14:15]
	s_xor_b64 s[14:15], exec, s[40:41]
	s_cbranch_execz .LBB374_55
; %bb.54:                               ;   in Loop: Header=BB374_9 Depth=1
	v_fma_f32 v22, |v21|, s28, v51
	v_fma_f32 v22, |v21|, v22, s29
	;; [unrolled: 1-line block ×6, first 2 shown]
	v_fma_f32 v22, |v21|, v22, |v21|
	v_mul_f32_e32 v23, 0xbfb8aa3b, v22
	v_fma_f32 v30, v22, s35, -v23
	v_rndne_f32_e32 v31, v23
	v_fmac_f32_e32 v30, 0xb2a5705f, v22
	v_sub_f32_e32 v23, v23, v31
	v_add_f32_e32 v23, v23, v30
	v_cvt_i32_f32_e32 v30, v31
	v_exp_f32_e32 v23, v23
	v_cmp_nlt_f32_e32 vcc, s36, v22
	v_ldexp_f32 v23, v23, v30
	s_nop 0
	v_cndmask_b32_e32 v23, 0, v23, vcc
	v_cmp_ngt_f32_e32 vcc, s37, v22
	s_nop 1
	v_cndmask_b32_e32 v22, v52, v23, vcc
	v_sub_f32_e32 v22, 1.0, v22
.LBB374_55:                             ;   in Loop: Header=BB374_9 Depth=1
	s_andn2_saveexec_b64 s[14:15], s[14:15]
; %bb.56:                               ;   in Loop: Header=BB374_9 Depth=1
	v_mul_f32_e32 v22, v21, v21
	v_fmamk_f32 v23, v22, 0xba1345e1, v50
	v_fmaak_f32 v23, v22, v23, 0xbcdac9b8
	v_fmaak_f32 v23, v22, v23, 0x3de703be
	;; [unrolled: 1-line block ×4, first 2 shown]
	v_fma_f32 v22, |v21|, v22, |v21|
; %bb.57:                               ;   in Loop: Header=BB374_9 Depth=1
	s_or_b64 exec, exec, s[14:15]
	v_bfi_b32 v8, s38, v20, v8
	v_mul_f32_e32 v0, 0.5, v0
	v_add_f32_e32 v8, 1.0, v8
	v_mul_f32_e32 v0, v0, v8
	v_and_b32_e32 v8, 0xffff0000, v1
	v_add_f32_e32 v19, v19, v8
	v_lshlrev_b32_e32 v1, 16, v1
	v_bfi_b32 v8, s38, v22, v21
	v_add_f32_e32 v18, v18, v1
	v_mul_f32_e32 v1, 0.5, v9
	v_add_f32_e32 v8, 1.0, v8
	v_mul_f32_e32 v1, v1, v8
	v_lshlrev_b32_e32 v8, 16, v10
	v_add_f32_e32 v8, v12, v8
	v_mul_f32_e32 v9, 0x3f3504f3, v8
	v_cmp_nlt_f32_e64 s[14:15], |v9|, 1.0
	;;#ASMSTART
	v_pk_mul_f32 v[0:1], v[0:1], v[18:19]
	;;#ASMEND
                                        ; implicit-def: $vgpr12
	s_and_saveexec_b64 s[40:41], s[14:15]
	s_xor_b64 s[14:15], exec, s[40:41]
	s_cbranch_execz .LBB374_59
; %bb.58:                               ;   in Loop: Header=BB374_9 Depth=1
	v_fma_f32 v12, |v9|, s28, v51
	v_fma_f32 v12, |v9|, v12, s29
	;; [unrolled: 1-line block ×6, first 2 shown]
	v_fma_f32 v12, |v9|, v12, |v9|
	v_mul_f32_e32 v18, 0xbfb8aa3b, v12
	v_fma_f32 v19, v12, s35, -v18
	v_rndne_f32_e32 v20, v18
	v_fmac_f32_e32 v19, 0xb2a5705f, v12
	v_sub_f32_e32 v18, v18, v20
	v_add_f32_e32 v18, v18, v19
	v_cvt_i32_f32_e32 v19, v20
	v_exp_f32_e32 v18, v18
	v_cmp_nlt_f32_e32 vcc, s36, v12
	v_ldexp_f32 v18, v18, v19
	s_nop 0
	v_cndmask_b32_e32 v18, 0, v18, vcc
	v_cmp_ngt_f32_e32 vcc, s37, v12
	s_nop 1
	v_cndmask_b32_e32 v12, v52, v18, vcc
	v_sub_f32_e32 v12, 1.0, v12
.LBB374_59:                             ;   in Loop: Header=BB374_9 Depth=1
	s_andn2_saveexec_b64 s[14:15], s[14:15]
; %bb.60:                               ;   in Loop: Header=BB374_9 Depth=1
	v_mul_f32_e32 v12, v9, v9
	v_fmamk_f32 v18, v12, 0xba1345e1, v50
	v_fmaak_f32 v18, v12, v18, 0xbcdac9b8
	v_fmaak_f32 v18, v12, v18, 0x3de703be
	;; [unrolled: 1-line block ×4, first 2 shown]
	v_fma_f32 v12, |v9|, v12, |v9|
; %bb.61:                               ;   in Loop: Header=BB374_9 Depth=1
	s_or_b64 exec, exec, s[14:15]
	v_and_b32_e32 v10, 0xffff0000, v10
	v_add_f32_e32 v10, v13, v10
	v_mul_f32_e32 v13, 0x3f3504f3, v10
	v_cmp_nlt_f32_e64 s[14:15], |v13|, 1.0
                                        ; implicit-def: $vgpr18
	s_and_saveexec_b64 s[40:41], s[14:15]
	s_xor_b64 s[14:15], exec, s[40:41]
	s_cbranch_execz .LBB374_63
; %bb.62:                               ;   in Loop: Header=BB374_9 Depth=1
	v_fma_f32 v18, |v13|, s28, v51
	v_fma_f32 v18, |v13|, v18, s29
	;; [unrolled: 1-line block ×6, first 2 shown]
	v_fma_f32 v18, |v13|, v18, |v13|
	v_mul_f32_e32 v19, 0xbfb8aa3b, v18
	v_fma_f32 v20, v18, s35, -v19
	v_rndne_f32_e32 v21, v19
	v_fmac_f32_e32 v20, 0xb2a5705f, v18
	v_sub_f32_e32 v19, v19, v21
	v_add_f32_e32 v19, v19, v20
	v_cvt_i32_f32_e32 v20, v21
	v_exp_f32_e32 v19, v19
	v_cmp_nlt_f32_e32 vcc, s36, v18
	v_ldexp_f32 v19, v19, v20
	s_nop 0
	v_cndmask_b32_e32 v19, 0, v19, vcc
	v_cmp_ngt_f32_e32 vcc, s37, v18
	s_nop 1
	v_cndmask_b32_e32 v18, v52, v19, vcc
	v_sub_f32_e32 v18, 1.0, v18
.LBB374_63:                             ;   in Loop: Header=BB374_9 Depth=1
	s_andn2_saveexec_b64 s[14:15], s[14:15]
; %bb.64:                               ;   in Loop: Header=BB374_9 Depth=1
	v_mul_f32_e32 v18, v13, v13
	v_fmamk_f32 v19, v18, 0xba1345e1, v50
	v_fmaak_f32 v19, v18, v19, 0xbcdac9b8
	v_fmaak_f32 v19, v18, v19, 0x3de703be
	;; [unrolled: 1-line block ×4, first 2 shown]
	v_fma_f32 v18, |v13|, v18, |v13|
; %bb.65:                               ;   in Loop: Header=BB374_9 Depth=1
	s_or_b64 exec, exec, s[14:15]
	v_bfi_b32 v9, s38, v12, v9
	v_mul_f32_e32 v8, 0.5, v8
	v_add_f32_e32 v9, 1.0, v9
	v_mul_f32_e32 v8, v8, v9
	v_and_b32_e32 v9, 0xffff0000, v2
	s_waitcnt vmcnt(0)
	v_add_f32_e32 v5, v5, v9
	v_lshlrev_b32_e32 v2, 16, v2
	v_bfi_b32 v9, s38, v18, v13
	v_add_f32_e32 v4, v4, v2
	v_mul_f32_e32 v2, 0.5, v10
	v_add_f32_e32 v9, 1.0, v9
	v_mul_f32_e32 v9, v2, v9
	v_lshlrev_b32_e32 v2, 16, v11
	v_add_f32_e32 v2, v14, v2
	;;#ASMSTART
	v_pk_mul_f32 v[4:5], v[8:9], v[4:5]
	;;#ASMEND
	v_mul_f32_e32 v8, 0x3f3504f3, v2
	v_cmp_nlt_f32_e64 s[14:15], |v8|, 1.0
                                        ; implicit-def: $vgpr9
	s_and_saveexec_b64 s[40:41], s[14:15]
	s_xor_b64 s[14:15], exec, s[40:41]
	s_cbranch_execz .LBB374_67
; %bb.66:                               ;   in Loop: Header=BB374_9 Depth=1
	v_fma_f32 v9, |v8|, s28, v51
	v_fma_f32 v9, |v8|, v9, s29
	;; [unrolled: 1-line block ×6, first 2 shown]
	v_fma_f32 v9, |v8|, v9, |v8|
	v_mul_f32_e32 v10, 0xbfb8aa3b, v9
	v_fma_f32 v12, v9, s35, -v10
	v_rndne_f32_e32 v13, v10
	v_fmac_f32_e32 v12, 0xb2a5705f, v9
	v_sub_f32_e32 v10, v10, v13
	v_add_f32_e32 v10, v10, v12
	v_cvt_i32_f32_e32 v12, v13
	v_exp_f32_e32 v10, v10
	v_cmp_nlt_f32_e32 vcc, s36, v9
	v_ldexp_f32 v10, v10, v12
	s_nop 0
	v_cndmask_b32_e32 v10, 0, v10, vcc
	v_cmp_ngt_f32_e32 vcc, s37, v9
	s_nop 1
	v_cndmask_b32_e32 v9, v52, v10, vcc
	v_sub_f32_e32 v9, 1.0, v9
.LBB374_67:                             ;   in Loop: Header=BB374_9 Depth=1
	s_andn2_saveexec_b64 s[14:15], s[14:15]
; %bb.68:                               ;   in Loop: Header=BB374_9 Depth=1
	v_mul_f32_e32 v9, v8, v8
	v_fmamk_f32 v10, v9, 0xba1345e1, v50
	v_fmaak_f32 v10, v9, v10, 0xbcdac9b8
	v_fmaak_f32 v10, v9, v10, 0x3de703be
	;; [unrolled: 1-line block ×4, first 2 shown]
	v_fma_f32 v9, |v8|, v9, |v8|
; %bb.69:                               ;   in Loop: Header=BB374_9 Depth=1
	s_or_b64 exec, exec, s[14:15]
	v_and_b32_e32 v10, 0xffff0000, v11
	v_add_f32_e32 v10, v15, v10
	v_mul_f32_e32 v11, 0x3f3504f3, v10
	v_cmp_nlt_f32_e64 s[14:15], |v11|, 1.0
                                        ; implicit-def: $vgpr12
	s_and_saveexec_b64 s[40:41], s[14:15]
	s_xor_b64 s[14:15], exec, s[40:41]
	s_cbranch_execz .LBB374_71
; %bb.70:                               ;   in Loop: Header=BB374_9 Depth=1
	v_fma_f32 v12, |v11|, s28, v51
	v_fma_f32 v12, |v11|, v12, s29
	;; [unrolled: 1-line block ×6, first 2 shown]
	v_fma_f32 v12, |v11|, v12, |v11|
	v_mul_f32_e32 v13, 0xbfb8aa3b, v12
	v_fma_f32 v14, v12, s35, -v13
	v_rndne_f32_e32 v15, v13
	v_fmac_f32_e32 v14, 0xb2a5705f, v12
	v_sub_f32_e32 v13, v13, v15
	v_add_f32_e32 v13, v13, v14
	v_cvt_i32_f32_e32 v14, v15
	v_exp_f32_e32 v13, v13
	v_cmp_nlt_f32_e32 vcc, s36, v12
	v_ldexp_f32 v13, v13, v14
	s_nop 0
	v_cndmask_b32_e32 v13, 0, v13, vcc
	v_cmp_ngt_f32_e32 vcc, s37, v12
	s_nop 1
	v_cndmask_b32_e32 v12, v52, v13, vcc
	v_sub_f32_e32 v12, 1.0, v12
.LBB374_71:                             ;   in Loop: Header=BB374_9 Depth=1
	s_andn2_saveexec_b64 s[14:15], s[14:15]
	s_cbranch_execz .LBB374_8
; %bb.72:                               ;   in Loop: Header=BB374_9 Depth=1
	v_mul_f32_e32 v12, v11, v11
	v_fmamk_f32 v13, v12, 0xba1345e1, v50
	v_fmaak_f32 v13, v12, v13, 0xbcdac9b8
	v_fmaak_f32 v13, v12, v13, 0x3de703be
	;; [unrolled: 1-line block ×4, first 2 shown]
	v_fma_f32 v12, |v11|, v12, |v11|
	s_branch .LBB374_8
.LBB374_73:
	s_endpgm
	.section	.rodata,"a",@progbits
	.p2align	6, 0x0
	.amdhsa_kernel _ZN5aiter23act_and_mul_bias_kernelItthfTnPFfRKT2_EXadL_ZNS_11gelu_kernelIfEEfRKT_EELi16EEEvPT0_PS8_PKT1_PS2_il
		.amdhsa_group_segment_fixed_size 0
		.amdhsa_private_segment_fixed_size 0
		.amdhsa_kernarg_size 304
		.amdhsa_user_sgpr_count 2
		.amdhsa_user_sgpr_dispatch_ptr 0
		.amdhsa_user_sgpr_queue_ptr 0
		.amdhsa_user_sgpr_kernarg_segment_ptr 1
		.amdhsa_user_sgpr_dispatch_id 0
		.amdhsa_user_sgpr_kernarg_preload_length 0
		.amdhsa_user_sgpr_kernarg_preload_offset 0
		.amdhsa_user_sgpr_private_segment_size 0
		.amdhsa_uses_dynamic_stack 0
		.amdhsa_enable_private_segment 0
		.amdhsa_system_sgpr_workgroup_id_x 1
		.amdhsa_system_sgpr_workgroup_id_y 0
		.amdhsa_system_sgpr_workgroup_id_z 0
		.amdhsa_system_sgpr_workgroup_info 0
		.amdhsa_system_vgpr_workitem_id 0
		.amdhsa_next_free_vgpr 60
		.amdhsa_next_free_sgpr 42
		.amdhsa_accum_offset 60
		.amdhsa_reserve_vcc 1
		.amdhsa_float_round_mode_32 0
		.amdhsa_float_round_mode_16_64 0
		.amdhsa_float_denorm_mode_32 3
		.amdhsa_float_denorm_mode_16_64 3
		.amdhsa_dx10_clamp 1
		.amdhsa_ieee_mode 1
		.amdhsa_fp16_overflow 0
		.amdhsa_tg_split 0
		.amdhsa_exception_fp_ieee_invalid_op 0
		.amdhsa_exception_fp_denorm_src 0
		.amdhsa_exception_fp_ieee_div_zero 0
		.amdhsa_exception_fp_ieee_overflow 0
		.amdhsa_exception_fp_ieee_underflow 0
		.amdhsa_exception_fp_ieee_inexact 0
		.amdhsa_exception_int_div_zero 0
	.end_amdhsa_kernel
	.section	.text._ZN5aiter23act_and_mul_bias_kernelItthfTnPFfRKT2_EXadL_ZNS_11gelu_kernelIfEEfRKT_EELi16EEEvPT0_PS8_PKT1_PS2_il,"axG",@progbits,_ZN5aiter23act_and_mul_bias_kernelItthfTnPFfRKT2_EXadL_ZNS_11gelu_kernelIfEEfRKT_EELi16EEEvPT0_PS8_PKT1_PS2_il,comdat
.Lfunc_end374:
	.size	_ZN5aiter23act_and_mul_bias_kernelItthfTnPFfRKT2_EXadL_ZNS_11gelu_kernelIfEEfRKT_EELi16EEEvPT0_PS8_PKT1_PS2_il, .Lfunc_end374-_ZN5aiter23act_and_mul_bias_kernelItthfTnPFfRKT2_EXadL_ZNS_11gelu_kernelIfEEfRKT_EELi16EEEvPT0_PS8_PKT1_PS2_il
                                        ; -- End function
	.section	.AMDGPU.csdata,"",@progbits
; Kernel info:
; codeLenInByte = 5164
; NumSgprs: 48
; NumVgprs: 60
; NumAgprs: 0
; TotalNumVgprs: 60
; ScratchSize: 0
; MemoryBound: 0
; FloatMode: 240
; IeeeMode: 1
; LDSByteSize: 0 bytes/workgroup (compile time only)
; SGPRBlocks: 5
; VGPRBlocks: 7
; NumSGPRsForWavesPerEU: 48
; NumVGPRsForWavesPerEU: 60
; AccumOffset: 60
; Occupancy: 8
; WaveLimiterHint : 0
; COMPUTE_PGM_RSRC2:SCRATCH_EN: 0
; COMPUTE_PGM_RSRC2:USER_SGPR: 2
; COMPUTE_PGM_RSRC2:TRAP_HANDLER: 0
; COMPUTE_PGM_RSRC2:TGID_X_EN: 1
; COMPUTE_PGM_RSRC2:TGID_Y_EN: 0
; COMPUTE_PGM_RSRC2:TGID_Z_EN: 0
; COMPUTE_PGM_RSRC2:TIDIG_COMP_CNT: 0
; COMPUTE_PGM_RSRC3_GFX90A:ACCUM_OFFSET: 14
; COMPUTE_PGM_RSRC3_GFX90A:TG_SPLIT: 0
	.section	.text._ZN5aiter23act_and_mul_bias_kernelItthfTnPFfRKT2_EXadL_ZNS_11gelu_kernelIfEEfRKT_EELi8EEEvPT0_PS8_PKT1_PS2_il,"axG",@progbits,_ZN5aiter23act_and_mul_bias_kernelItthfTnPFfRKT2_EXadL_ZNS_11gelu_kernelIfEEfRKT_EELi8EEEvPT0_PS8_PKT1_PS2_il,comdat
	.protected	_ZN5aiter23act_and_mul_bias_kernelItthfTnPFfRKT2_EXadL_ZNS_11gelu_kernelIfEEfRKT_EELi8EEEvPT0_PS8_PKT1_PS2_il ; -- Begin function _ZN5aiter23act_and_mul_bias_kernelItthfTnPFfRKT2_EXadL_ZNS_11gelu_kernelIfEEfRKT_EELi8EEEvPT0_PS8_PKT1_PS2_il
	.globl	_ZN5aiter23act_and_mul_bias_kernelItthfTnPFfRKT2_EXadL_ZNS_11gelu_kernelIfEEfRKT_EELi8EEEvPT0_PS8_PKT1_PS2_il
	.p2align	8
	.type	_ZN5aiter23act_and_mul_bias_kernelItthfTnPFfRKT2_EXadL_ZNS_11gelu_kernelIfEEfRKT_EELi8EEEvPT0_PS8_PKT1_PS2_il,@function
_ZN5aiter23act_and_mul_bias_kernelItthfTnPFfRKT2_EXadL_ZNS_11gelu_kernelIfEEfRKT_EELi8EEEvPT0_PS8_PKT1_PS2_il: ; @_ZN5aiter23act_and_mul_bias_kernelItthfTnPFfRKT2_EXadL_ZNS_11gelu_kernelIfEEfRKT_EELi8EEEvPT0_PS8_PKT1_PS2_il
; %bb.0:
	s_load_dwordx2 s[4:5], s[0:1], 0x10
	s_load_dword s24, s[0:1], 0x20
	s_load_dwordx2 s[6:7], s[0:1], 0x28
	v_mov_b32_e32 v1, s2
	s_mov_b32 s9, 0
	s_waitcnt lgkmcnt(0)
	global_load_ubyte v1, v1, s[4:5]
	s_add_i32 s3, s24, 1
	s_load_dwordx2 s[4:5], s[0:1], 0x0
	v_mov_b64_e32 v[2:3], s[6:7]
	s_lshr_b32 s6, s3, 31
	s_ashr_i32 s25, s24, 31
	s_add_i32 s3, s3, s6
	s_mul_hi_u32 s8, s24, s2
	s_mul_i32 s7, s25, s2
	s_lshl_b32 s3, s3, 1
	s_mul_i32 s12, s24, s2
	s_add_i32 s13, s8, s7
	s_and_b32 s6, s3, -4
	s_lshl_b64 s[12:13], s[12:13], 1
	s_mov_b64 s[10:11], -1
	v_lshlrev_b32_e32 v24, 3, v0
	s_waitcnt vmcnt(0)
	v_readfirstlane_b32 s3, v1
	s_and_b32 s8, s3, 0xffff
	s_waitcnt lgkmcnt(0)
	s_add_u32 s4, s4, s12
	v_cmp_lt_i64_e32 vcc, s[8:9], v[2:3]
	s_addc_u32 s3, s5, s13
	s_and_b32 s5, s3, 0xffff
	s_cbranch_vccnz .LBB375_5
; %bb.1:
	v_cmp_gt_i32_e32 vcc, s24, v24
	s_and_saveexec_b64 s[10:11], vcc
	s_cbranch_execz .LBB375_4
; %bb.2:
	s_load_dword s3, s[0:1], 0x3c
	v_mov_b32_e32 v25, 0
	s_mov_b32 s13, 0
	v_lshlrev_b32_e32 v6, 4, v0
	s_mov_b64 s[14:15], 0
	s_waitcnt lgkmcnt(0)
	s_and_b32 s3, s3, 0xffff
	s_lshl_b32 s12, s3, 3
	s_lshl_b32 s3, s3, 4
	s_mov_b32 s7, 0x20000
	v_mov_b32_e32 v0, v25
	v_mov_b32_e32 v1, v25
	v_mov_b32_e32 v2, v25
	v_mov_b32_e32 v3, v25
	v_mov_b64_e32 v[4:5], v[24:25]
.LBB375_3:                              ; =>This Inner Loop Header: Depth=1
	v_lshl_add_u64 v[4:5], s[12:13], 0, v[4:5]
	v_cmp_le_i64_e32 vcc, s[24:25], v[4:5]
	buffer_store_dwordx4 v[0:3], v6, s[4:7], 0 offen
	s_or_b64 s[14:15], vcc, s[14:15]
	v_add_u32_e32 v6, s3, v6
	s_andn2_b64 exec, exec, s[14:15]
	s_cbranch_execnz .LBB375_3
.LBB375_4:
	s_or_b64 exec, exec, s[10:11]
	s_mov_b64 s[10:11], 0
.LBB375_5:
	s_andn2_b64 vcc, exec, s[10:11]
	s_cbranch_vccnz .LBB375_41
; %bb.6:
	v_cmp_gt_i32_e32 vcc, s24, v24
	s_and_saveexec_b64 s[10:11], vcc
	s_cbranch_execz .LBB375_41
; %bb.7:
	s_load_dwordx2 s[10:11], s[0:1], 0x18
	s_load_dwordx2 s[14:15], s[0:1], 0x8
	s_mul_hi_i32 s9, s24, s8
	s_mul_i32 s8, s24, s8
	s_lshl_b64 s[8:9], s[8:9], 3
	s_waitcnt lgkmcnt(0)
	s_add_u32 s8, s10, s8
	s_addc_u32 s3, s11, s9
	s_lshl_b64 s[10:11], s[24:25], 2
	s_add_u32 s12, s8, s10
	s_addc_u32 s13, s3, s11
	s_and_b32 s9, s3, 0xffff
	s_mul_i32 s3, s2, s25
	s_mul_hi_u32 s16, s2, s24
	s_add_i32 s3, s16, s3
	s_mul_i32 s2, s2, s24
	s_lshl_b32 s10, s24, 2
	s_and_b32 s13, s13, 0xffff
	s_lshl_b64 s[2:3], s[2:3], 2
	s_add_u32 s16, s14, s2
	s_addc_u32 s14, s15, s3
	s_lshl_b64 s[2:3], s[24:25], 1
	s_add_u32 s20, s16, s2
	s_addc_u32 s2, s14, s3
	s_and_b32 s17, s14, 0xffff
	s_and_b32 s21, s2, 0xffff
	s_mov_b32 s7, 0x20000
	s_add_u32 s0, s0, 48
	s_mov_b32 s11, s7
	s_mov_b64 s[22:23], s[6:7]
	v_mov_b32_e32 v25, 0
	s_addc_u32 s1, s1, 0
	s_mov_b64 s[2:3], 0
	s_mov_b32 s18, s6
	s_mov_b32 s19, s7
	;; [unrolled: 1-line block ×12, first 2 shown]
	v_mov_b32_e32 v26, 0x3ba10414
	s_brev_b32 s38, -2
	s_mov_b32 s39, 0x7060302
	v_mov_b32_e32 v27, 0xb9c68948
	v_mov_b32_e32 v28, 0x7f800000
                                        ; implicit-def: $vgpr0
                                        ; implicit-def: $vgpr0
	;; [unrolled: 1-line block ×4, first 2 shown]
	s_branch .LBB375_9
.LBB375_8:                              ;   in Loop: Header=BB375_9 Depth=1
	s_or_b64 exec, exec, s[14:15]
	v_bfi_b32 v8, s38, v9, v8
	v_mul_f32_e32 v2, 0.5, v2
	v_add_f32_e32 v8, 1.0, v8
	v_mul_f32_e32 v2, v2, v8
	v_and_b32_e32 v8, 0xffff0000, v3
	v_add_f32_e32 v7, v7, v8
	v_lshlrev_b32_e32 v3, 16, v3
	v_bfi_b32 v8, s38, v12, v11
	v_add_f32_e32 v6, v6, v3
	v_mul_f32_e32 v3, 0.5, v10
	v_add_f32_e32 v8, 1.0, v8
	v_mul_f32_e32 v3, v3, v8
	;;#ASMSTART
	v_pk_mul_f32 v[2:3], v[2:3], v[6:7]
	;;#ASMEND
	s_load_dword s14, s[0:1], 0xc
	v_perm_b32 v3, v3, v2, s39
	v_perm_b32 v2, v5, v4, s39
	v_perm_b32 v1, v1, v0, s39
	v_perm_b32 v0, v17, v16, s39
	s_waitcnt lgkmcnt(0)
	s_and_b32 s14, s14, 0xffff
	s_lshl_b32 s26, s14, 3
	v_lshl_add_u64 v[24:25], s[26:27], 0, v[24:25]
	v_cmp_le_i64_e32 vcc, s[24:25], v[24:25]
	s_or_b64 s[2:3], vcc, s[2:3]
	buffer_store_dwordx4 v[0:3], v29, s[4:7], 0 offen
	s_andn2_b64 exec, exec, s[2:3]
	s_cbranch_execz .LBB375_41
.LBB375_9:                              ; =>This Inner Loop Header: Depth=1
	v_lshlrev_b32_e32 v29, 1, v24
	buffer_load_dwordx4 v[8:11], v29, s[16:19], 0 offen
	buffer_load_dwordx4 v[0:3], v29, s[20:23], 0 offen
	v_lshlrev_b32_e32 v30, 2, v24
	buffer_load_dwordx4 v[20:23], v30, s[8:11], 0 offen
	buffer_load_dwordx4 v[12:15], v30, s[8:11], 16 offen
	s_mov_b32 s14, s10
	s_mov_b32 s15, s11
	buffer_load_dwordx4 v[16:19], v30, s[12:15], 0 offen
	buffer_load_dwordx4 v[4:7], v30, s[12:15], 16 offen
                                        ; implicit-def: $vgpr31
	s_waitcnt vmcnt(5)
	v_lshlrev_b32_e32 v30, 16, v8
	s_waitcnt vmcnt(3)
	v_add_f32_e32 v20, v20, v30
	v_mul_f32_e32 v30, 0x3f3504f3, v20
	v_cmp_nlt_f32_e64 s[14:15], |v30|, 1.0
	s_and_saveexec_b64 s[40:41], s[14:15]
	s_xor_b64 s[14:15], exec, s[40:41]
	s_cbranch_execz .LBB375_11
; %bb.10:                               ;   in Loop: Header=BB375_9 Depth=1
	v_fma_f32 v31, |v30|, s28, v27
	v_fma_f32 v31, |v30|, v31, s29
	;; [unrolled: 1-line block ×6, first 2 shown]
	v_fma_f32 v31, |v30|, v31, |v30|
	v_mul_f32_e32 v32, 0xbfb8aa3b, v31
	v_fma_f32 v33, v31, s35, -v32
	v_rndne_f32_e32 v34, v32
	v_fmac_f32_e32 v33, 0xb2a5705f, v31
	v_sub_f32_e32 v32, v32, v34
	v_add_f32_e32 v32, v32, v33
	v_cvt_i32_f32_e32 v33, v34
	v_exp_f32_e32 v32, v32
	v_cmp_nlt_f32_e32 vcc, s36, v31
	v_ldexp_f32 v32, v32, v33
	s_nop 0
	v_cndmask_b32_e32 v32, 0, v32, vcc
	v_cmp_ngt_f32_e32 vcc, s37, v31
	s_nop 1
	v_cndmask_b32_e32 v31, v28, v32, vcc
	v_sub_f32_e32 v31, 1.0, v31
.LBB375_11:                             ;   in Loop: Header=BB375_9 Depth=1
	s_andn2_saveexec_b64 s[14:15], s[14:15]
; %bb.12:                               ;   in Loop: Header=BB375_9 Depth=1
	v_mul_f32_e32 v31, v30, v30
	v_fmamk_f32 v32, v31, 0xba1345e1, v26
	v_fmaak_f32 v32, v31, v32, 0xbcdac9b8
	v_fmaak_f32 v32, v31, v32, 0x3de703be
	;; [unrolled: 1-line block ×4, first 2 shown]
	v_fma_f32 v31, |v30|, v31, |v30|
; %bb.13:                               ;   in Loop: Header=BB375_9 Depth=1
	s_or_b64 exec, exec, s[14:15]
	v_and_b32_e32 v8, 0xffff0000, v8
	v_add_f32_e32 v8, v21, v8
	v_mul_f32_e32 v21, 0x3f3504f3, v8
	v_cmp_nlt_f32_e64 s[14:15], |v21|, 1.0
                                        ; implicit-def: $vgpr32
	s_and_saveexec_b64 s[40:41], s[14:15]
	s_xor_b64 s[14:15], exec, s[40:41]
	s_cbranch_execz .LBB375_15
; %bb.14:                               ;   in Loop: Header=BB375_9 Depth=1
	v_fma_f32 v32, |v21|, s28, v27
	v_fma_f32 v32, |v21|, v32, s29
	;; [unrolled: 1-line block ×6, first 2 shown]
	v_fma_f32 v32, |v21|, v32, |v21|
	v_mul_f32_e32 v33, 0xbfb8aa3b, v32
	v_fma_f32 v34, v32, s35, -v33
	v_rndne_f32_e32 v35, v33
	v_fmac_f32_e32 v34, 0xb2a5705f, v32
	v_sub_f32_e32 v33, v33, v35
	v_add_f32_e32 v33, v33, v34
	v_cvt_i32_f32_e32 v34, v35
	v_exp_f32_e32 v33, v33
	v_cmp_nlt_f32_e32 vcc, s36, v32
	v_ldexp_f32 v33, v33, v34
	s_nop 0
	v_cndmask_b32_e32 v33, 0, v33, vcc
	v_cmp_ngt_f32_e32 vcc, s37, v32
	s_nop 1
	v_cndmask_b32_e32 v32, v28, v33, vcc
	v_sub_f32_e32 v32, 1.0, v32
.LBB375_15:                             ;   in Loop: Header=BB375_9 Depth=1
	s_andn2_saveexec_b64 s[14:15], s[14:15]
; %bb.16:                               ;   in Loop: Header=BB375_9 Depth=1
	v_mul_f32_e32 v32, v21, v21
	v_fmamk_f32 v33, v32, 0xba1345e1, v26
	v_fmaak_f32 v33, v32, v33, 0xbcdac9b8
	v_fmaak_f32 v33, v32, v33, 0x3de703be
	;; [unrolled: 1-line block ×4, first 2 shown]
	v_fma_f32 v32, |v21|, v32, |v21|
; %bb.17:                               ;   in Loop: Header=BB375_9 Depth=1
	s_or_b64 exec, exec, s[14:15]
	v_bfi_b32 v30, s38, v31, v30
	v_mul_f32_e32 v20, 0.5, v20
	v_add_f32_e32 v30, 1.0, v30
	v_mul_f32_e32 v20, v20, v30
	v_and_b32_e32 v30, 0xffff0000, v0
	v_lshlrev_b32_e32 v0, 16, v0
	s_waitcnt vmcnt(1)
	v_add_f32_e32 v16, v16, v0
	v_mul_f32_e32 v0, 0.5, v8
	v_bfi_b32 v8, s38, v32, v21
	v_add_f32_e32 v8, 1.0, v8
	v_mul_f32_e32 v21, v0, v8
	v_lshlrev_b32_e32 v0, 16, v9
	v_add_f32_e32 v0, v22, v0
	v_mul_f32_e32 v8, 0x3f3504f3, v0
	v_add_f32_e32 v17, v17, v30
	v_cmp_nlt_f32_e64 s[14:15], |v8|, 1.0
	;;#ASMSTART
	v_pk_mul_f32 v[16:17], v[20:21], v[16:17]
	;;#ASMEND
                                        ; implicit-def: $vgpr20
	s_and_saveexec_b64 s[40:41], s[14:15]
	s_xor_b64 s[14:15], exec, s[40:41]
	s_cbranch_execz .LBB375_19
; %bb.18:                               ;   in Loop: Header=BB375_9 Depth=1
	v_fma_f32 v20, |v8|, s28, v27
	v_fma_f32 v20, |v8|, v20, s29
	;; [unrolled: 1-line block ×6, first 2 shown]
	v_fma_f32 v20, |v8|, v20, |v8|
	v_mul_f32_e32 v21, 0xbfb8aa3b, v20
	v_fma_f32 v22, v20, s35, -v21
	v_rndne_f32_e32 v30, v21
	v_fmac_f32_e32 v22, 0xb2a5705f, v20
	v_sub_f32_e32 v21, v21, v30
	v_add_f32_e32 v21, v21, v22
	v_cvt_i32_f32_e32 v22, v30
	v_exp_f32_e32 v21, v21
	v_cmp_nlt_f32_e32 vcc, s36, v20
	v_ldexp_f32 v21, v21, v22
	s_nop 0
	v_cndmask_b32_e32 v21, 0, v21, vcc
	v_cmp_ngt_f32_e32 vcc, s37, v20
	s_nop 1
	v_cndmask_b32_e32 v20, v28, v21, vcc
	v_sub_f32_e32 v20, 1.0, v20
.LBB375_19:                             ;   in Loop: Header=BB375_9 Depth=1
	s_andn2_saveexec_b64 s[14:15], s[14:15]
; %bb.20:                               ;   in Loop: Header=BB375_9 Depth=1
	v_mul_f32_e32 v20, v8, v8
	v_fmamk_f32 v21, v20, 0xba1345e1, v26
	v_fmaak_f32 v21, v20, v21, 0xbcdac9b8
	v_fmaak_f32 v21, v20, v21, 0x3de703be
	;; [unrolled: 1-line block ×4, first 2 shown]
	v_fma_f32 v20, |v8|, v20, |v8|
; %bb.21:                               ;   in Loop: Header=BB375_9 Depth=1
	s_or_b64 exec, exec, s[14:15]
	v_and_b32_e32 v9, 0xffff0000, v9
	v_add_f32_e32 v9, v23, v9
	v_mul_f32_e32 v21, 0x3f3504f3, v9
	v_cmp_nlt_f32_e64 s[14:15], |v21|, 1.0
                                        ; implicit-def: $vgpr22
	s_and_saveexec_b64 s[40:41], s[14:15]
	s_xor_b64 s[14:15], exec, s[40:41]
	s_cbranch_execz .LBB375_23
; %bb.22:                               ;   in Loop: Header=BB375_9 Depth=1
	v_fma_f32 v22, |v21|, s28, v27
	v_fma_f32 v22, |v21|, v22, s29
	;; [unrolled: 1-line block ×6, first 2 shown]
	v_fma_f32 v22, |v21|, v22, |v21|
	v_mul_f32_e32 v23, 0xbfb8aa3b, v22
	v_fma_f32 v30, v22, s35, -v23
	v_rndne_f32_e32 v31, v23
	v_fmac_f32_e32 v30, 0xb2a5705f, v22
	v_sub_f32_e32 v23, v23, v31
	v_add_f32_e32 v23, v23, v30
	v_cvt_i32_f32_e32 v30, v31
	v_exp_f32_e32 v23, v23
	v_cmp_nlt_f32_e32 vcc, s36, v22
	v_ldexp_f32 v23, v23, v30
	s_nop 0
	v_cndmask_b32_e32 v23, 0, v23, vcc
	v_cmp_ngt_f32_e32 vcc, s37, v22
	s_nop 1
	v_cndmask_b32_e32 v22, v28, v23, vcc
	v_sub_f32_e32 v22, 1.0, v22
.LBB375_23:                             ;   in Loop: Header=BB375_9 Depth=1
	s_andn2_saveexec_b64 s[14:15], s[14:15]
; %bb.24:                               ;   in Loop: Header=BB375_9 Depth=1
	v_mul_f32_e32 v22, v21, v21
	v_fmamk_f32 v23, v22, 0xba1345e1, v26
	v_fmaak_f32 v23, v22, v23, 0xbcdac9b8
	v_fmaak_f32 v23, v22, v23, 0x3de703be
	;; [unrolled: 1-line block ×4, first 2 shown]
	v_fma_f32 v22, |v21|, v22, |v21|
; %bb.25:                               ;   in Loop: Header=BB375_9 Depth=1
	s_or_b64 exec, exec, s[14:15]
	v_bfi_b32 v8, s38, v20, v8
	v_mul_f32_e32 v0, 0.5, v0
	v_add_f32_e32 v8, 1.0, v8
	v_mul_f32_e32 v0, v0, v8
	v_and_b32_e32 v8, 0xffff0000, v1
	v_add_f32_e32 v19, v19, v8
	v_lshlrev_b32_e32 v1, 16, v1
	v_bfi_b32 v8, s38, v22, v21
	v_add_f32_e32 v18, v18, v1
	v_mul_f32_e32 v1, 0.5, v9
	v_add_f32_e32 v8, 1.0, v8
	v_mul_f32_e32 v1, v1, v8
	v_lshlrev_b32_e32 v8, 16, v10
	v_add_f32_e32 v8, v12, v8
	v_mul_f32_e32 v9, 0x3f3504f3, v8
	v_cmp_nlt_f32_e64 s[14:15], |v9|, 1.0
	;;#ASMSTART
	v_pk_mul_f32 v[0:1], v[0:1], v[18:19]
	;;#ASMEND
                                        ; implicit-def: $vgpr12
	s_and_saveexec_b64 s[40:41], s[14:15]
	s_xor_b64 s[14:15], exec, s[40:41]
	s_cbranch_execz .LBB375_27
; %bb.26:                               ;   in Loop: Header=BB375_9 Depth=1
	v_fma_f32 v12, |v9|, s28, v27
	v_fma_f32 v12, |v9|, v12, s29
	v_fma_f32 v12, |v9|, v12, s30
	v_fma_f32 v12, |v9|, v12, s31
	v_fma_f32 v12, |v9|, v12, s33
	v_fma_f32 v12, |v9|, v12, s34
	v_fma_f32 v12, |v9|, v12, |v9|
	v_mul_f32_e32 v18, 0xbfb8aa3b, v12
	v_fma_f32 v19, v12, s35, -v18
	v_rndne_f32_e32 v20, v18
	v_fmac_f32_e32 v19, 0xb2a5705f, v12
	v_sub_f32_e32 v18, v18, v20
	v_add_f32_e32 v18, v18, v19
	v_cvt_i32_f32_e32 v19, v20
	v_exp_f32_e32 v18, v18
	v_cmp_nlt_f32_e32 vcc, s36, v12
	v_ldexp_f32 v18, v18, v19
	s_nop 0
	v_cndmask_b32_e32 v18, 0, v18, vcc
	v_cmp_ngt_f32_e32 vcc, s37, v12
	s_nop 1
	v_cndmask_b32_e32 v12, v28, v18, vcc
	v_sub_f32_e32 v12, 1.0, v12
.LBB375_27:                             ;   in Loop: Header=BB375_9 Depth=1
	s_andn2_saveexec_b64 s[14:15], s[14:15]
; %bb.28:                               ;   in Loop: Header=BB375_9 Depth=1
	v_mul_f32_e32 v12, v9, v9
	v_fmamk_f32 v18, v12, 0xba1345e1, v26
	v_fmaak_f32 v18, v12, v18, 0xbcdac9b8
	v_fmaak_f32 v18, v12, v18, 0x3de703be
	;; [unrolled: 1-line block ×4, first 2 shown]
	v_fma_f32 v12, |v9|, v12, |v9|
; %bb.29:                               ;   in Loop: Header=BB375_9 Depth=1
	s_or_b64 exec, exec, s[14:15]
	v_and_b32_e32 v10, 0xffff0000, v10
	v_add_f32_e32 v10, v13, v10
	v_mul_f32_e32 v13, 0x3f3504f3, v10
	v_cmp_nlt_f32_e64 s[14:15], |v13|, 1.0
                                        ; implicit-def: $vgpr18
	s_and_saveexec_b64 s[40:41], s[14:15]
	s_xor_b64 s[14:15], exec, s[40:41]
	s_cbranch_execz .LBB375_31
; %bb.30:                               ;   in Loop: Header=BB375_9 Depth=1
	v_fma_f32 v18, |v13|, s28, v27
	v_fma_f32 v18, |v13|, v18, s29
	;; [unrolled: 1-line block ×6, first 2 shown]
	v_fma_f32 v18, |v13|, v18, |v13|
	v_mul_f32_e32 v19, 0xbfb8aa3b, v18
	v_fma_f32 v20, v18, s35, -v19
	v_rndne_f32_e32 v21, v19
	v_fmac_f32_e32 v20, 0xb2a5705f, v18
	v_sub_f32_e32 v19, v19, v21
	v_add_f32_e32 v19, v19, v20
	v_cvt_i32_f32_e32 v20, v21
	v_exp_f32_e32 v19, v19
	v_cmp_nlt_f32_e32 vcc, s36, v18
	v_ldexp_f32 v19, v19, v20
	s_nop 0
	v_cndmask_b32_e32 v19, 0, v19, vcc
	v_cmp_ngt_f32_e32 vcc, s37, v18
	s_nop 1
	v_cndmask_b32_e32 v18, v28, v19, vcc
	v_sub_f32_e32 v18, 1.0, v18
.LBB375_31:                             ;   in Loop: Header=BB375_9 Depth=1
	s_andn2_saveexec_b64 s[14:15], s[14:15]
; %bb.32:                               ;   in Loop: Header=BB375_9 Depth=1
	v_mul_f32_e32 v18, v13, v13
	v_fmamk_f32 v19, v18, 0xba1345e1, v26
	v_fmaak_f32 v19, v18, v19, 0xbcdac9b8
	v_fmaak_f32 v19, v18, v19, 0x3de703be
	;; [unrolled: 1-line block ×4, first 2 shown]
	v_fma_f32 v18, |v13|, v18, |v13|
; %bb.33:                               ;   in Loop: Header=BB375_9 Depth=1
	s_or_b64 exec, exec, s[14:15]
	v_bfi_b32 v9, s38, v12, v9
	v_mul_f32_e32 v8, 0.5, v8
	v_add_f32_e32 v9, 1.0, v9
	v_mul_f32_e32 v8, v8, v9
	v_and_b32_e32 v9, 0xffff0000, v2
	s_waitcnt vmcnt(0)
	v_add_f32_e32 v5, v5, v9
	v_lshlrev_b32_e32 v2, 16, v2
	v_bfi_b32 v9, s38, v18, v13
	v_add_f32_e32 v4, v4, v2
	v_mul_f32_e32 v2, 0.5, v10
	v_add_f32_e32 v9, 1.0, v9
	v_mul_f32_e32 v9, v2, v9
	v_lshlrev_b32_e32 v2, 16, v11
	v_add_f32_e32 v2, v14, v2
	;;#ASMSTART
	v_pk_mul_f32 v[4:5], v[8:9], v[4:5]
	;;#ASMEND
	v_mul_f32_e32 v8, 0x3f3504f3, v2
	v_cmp_nlt_f32_e64 s[14:15], |v8|, 1.0
                                        ; implicit-def: $vgpr9
	s_and_saveexec_b64 s[40:41], s[14:15]
	s_xor_b64 s[14:15], exec, s[40:41]
	s_cbranch_execz .LBB375_35
; %bb.34:                               ;   in Loop: Header=BB375_9 Depth=1
	v_fma_f32 v9, |v8|, s28, v27
	v_fma_f32 v9, |v8|, v9, s29
	;; [unrolled: 1-line block ×6, first 2 shown]
	v_fma_f32 v9, |v8|, v9, |v8|
	v_mul_f32_e32 v10, 0xbfb8aa3b, v9
	v_fma_f32 v12, v9, s35, -v10
	v_rndne_f32_e32 v13, v10
	v_fmac_f32_e32 v12, 0xb2a5705f, v9
	v_sub_f32_e32 v10, v10, v13
	v_add_f32_e32 v10, v10, v12
	v_cvt_i32_f32_e32 v12, v13
	v_exp_f32_e32 v10, v10
	v_cmp_nlt_f32_e32 vcc, s36, v9
	v_ldexp_f32 v10, v10, v12
	s_nop 0
	v_cndmask_b32_e32 v10, 0, v10, vcc
	v_cmp_ngt_f32_e32 vcc, s37, v9
	s_nop 1
	v_cndmask_b32_e32 v9, v28, v10, vcc
	v_sub_f32_e32 v9, 1.0, v9
.LBB375_35:                             ;   in Loop: Header=BB375_9 Depth=1
	s_andn2_saveexec_b64 s[14:15], s[14:15]
; %bb.36:                               ;   in Loop: Header=BB375_9 Depth=1
	v_mul_f32_e32 v9, v8, v8
	v_fmamk_f32 v10, v9, 0xba1345e1, v26
	v_fmaak_f32 v10, v9, v10, 0xbcdac9b8
	v_fmaak_f32 v10, v9, v10, 0x3de703be
	;; [unrolled: 1-line block ×4, first 2 shown]
	v_fma_f32 v9, |v8|, v9, |v8|
; %bb.37:                               ;   in Loop: Header=BB375_9 Depth=1
	s_or_b64 exec, exec, s[14:15]
	v_and_b32_e32 v10, 0xffff0000, v11
	v_add_f32_e32 v10, v15, v10
	v_mul_f32_e32 v11, 0x3f3504f3, v10
	v_cmp_nlt_f32_e64 s[14:15], |v11|, 1.0
                                        ; implicit-def: $vgpr12
	s_and_saveexec_b64 s[40:41], s[14:15]
	s_xor_b64 s[14:15], exec, s[40:41]
	s_cbranch_execz .LBB375_39
; %bb.38:                               ;   in Loop: Header=BB375_9 Depth=1
	v_fma_f32 v12, |v11|, s28, v27
	v_fma_f32 v12, |v11|, v12, s29
	;; [unrolled: 1-line block ×6, first 2 shown]
	v_fma_f32 v12, |v11|, v12, |v11|
	v_mul_f32_e32 v13, 0xbfb8aa3b, v12
	v_fma_f32 v14, v12, s35, -v13
	v_rndne_f32_e32 v15, v13
	v_fmac_f32_e32 v14, 0xb2a5705f, v12
	v_sub_f32_e32 v13, v13, v15
	v_add_f32_e32 v13, v13, v14
	v_cvt_i32_f32_e32 v14, v15
	v_exp_f32_e32 v13, v13
	v_cmp_nlt_f32_e32 vcc, s36, v12
	v_ldexp_f32 v13, v13, v14
	s_nop 0
	v_cndmask_b32_e32 v13, 0, v13, vcc
	v_cmp_ngt_f32_e32 vcc, s37, v12
	s_nop 1
	v_cndmask_b32_e32 v12, v28, v13, vcc
	v_sub_f32_e32 v12, 1.0, v12
.LBB375_39:                             ;   in Loop: Header=BB375_9 Depth=1
	s_andn2_saveexec_b64 s[14:15], s[14:15]
	s_cbranch_execz .LBB375_8
; %bb.40:                               ;   in Loop: Header=BB375_9 Depth=1
	v_mul_f32_e32 v12, v11, v11
	v_fmamk_f32 v13, v12, 0xba1345e1, v26
	v_fmaak_f32 v13, v12, v13, 0xbcdac9b8
	v_fmaak_f32 v13, v12, v13, 0x3de703be
	;; [unrolled: 1-line block ×4, first 2 shown]
	v_fma_f32 v12, |v11|, v12, |v11|
	s_branch .LBB375_8
.LBB375_41:
	s_endpgm
	.section	.rodata,"a",@progbits
	.p2align	6, 0x0
	.amdhsa_kernel _ZN5aiter23act_and_mul_bias_kernelItthfTnPFfRKT2_EXadL_ZNS_11gelu_kernelIfEEfRKT_EELi8EEEvPT0_PS8_PKT1_PS2_il
		.amdhsa_group_segment_fixed_size 0
		.amdhsa_private_segment_fixed_size 0
		.amdhsa_kernarg_size 304
		.amdhsa_user_sgpr_count 2
		.amdhsa_user_sgpr_dispatch_ptr 0
		.amdhsa_user_sgpr_queue_ptr 0
		.amdhsa_user_sgpr_kernarg_segment_ptr 1
		.amdhsa_user_sgpr_dispatch_id 0
		.amdhsa_user_sgpr_kernarg_preload_length 0
		.amdhsa_user_sgpr_kernarg_preload_offset 0
		.amdhsa_user_sgpr_private_segment_size 0
		.amdhsa_uses_dynamic_stack 0
		.amdhsa_enable_private_segment 0
		.amdhsa_system_sgpr_workgroup_id_x 1
		.amdhsa_system_sgpr_workgroup_id_y 0
		.amdhsa_system_sgpr_workgroup_id_z 0
		.amdhsa_system_sgpr_workgroup_info 0
		.amdhsa_system_vgpr_workitem_id 0
		.amdhsa_next_free_vgpr 36
		.amdhsa_next_free_sgpr 42
		.amdhsa_accum_offset 36
		.amdhsa_reserve_vcc 1
		.amdhsa_float_round_mode_32 0
		.amdhsa_float_round_mode_16_64 0
		.amdhsa_float_denorm_mode_32 3
		.amdhsa_float_denorm_mode_16_64 3
		.amdhsa_dx10_clamp 1
		.amdhsa_ieee_mode 1
		.amdhsa_fp16_overflow 0
		.amdhsa_tg_split 0
		.amdhsa_exception_fp_ieee_invalid_op 0
		.amdhsa_exception_fp_denorm_src 0
		.amdhsa_exception_fp_ieee_div_zero 0
		.amdhsa_exception_fp_ieee_overflow 0
		.amdhsa_exception_fp_ieee_underflow 0
		.amdhsa_exception_fp_ieee_inexact 0
		.amdhsa_exception_int_div_zero 0
	.end_amdhsa_kernel
	.section	.text._ZN5aiter23act_and_mul_bias_kernelItthfTnPFfRKT2_EXadL_ZNS_11gelu_kernelIfEEfRKT_EELi8EEEvPT0_PS8_PKT1_PS2_il,"axG",@progbits,_ZN5aiter23act_and_mul_bias_kernelItthfTnPFfRKT2_EXadL_ZNS_11gelu_kernelIfEEfRKT_EELi8EEEvPT0_PS8_PKT1_PS2_il,comdat
.Lfunc_end375:
	.size	_ZN5aiter23act_and_mul_bias_kernelItthfTnPFfRKT2_EXadL_ZNS_11gelu_kernelIfEEfRKT_EELi8EEEvPT0_PS8_PKT1_PS2_il, .Lfunc_end375-_ZN5aiter23act_and_mul_bias_kernelItthfTnPFfRKT2_EXadL_ZNS_11gelu_kernelIfEEfRKT_EELi8EEEvPT0_PS8_PKT1_PS2_il
                                        ; -- End function
	.section	.AMDGPU.csdata,"",@progbits
; Kernel info:
; codeLenInByte = 2908
; NumSgprs: 48
; NumVgprs: 36
; NumAgprs: 0
; TotalNumVgprs: 36
; ScratchSize: 0
; MemoryBound: 0
; FloatMode: 240
; IeeeMode: 1
; LDSByteSize: 0 bytes/workgroup (compile time only)
; SGPRBlocks: 5
; VGPRBlocks: 4
; NumSGPRsForWavesPerEU: 48
; NumVGPRsForWavesPerEU: 36
; AccumOffset: 36
; Occupancy: 8
; WaveLimiterHint : 0
; COMPUTE_PGM_RSRC2:SCRATCH_EN: 0
; COMPUTE_PGM_RSRC2:USER_SGPR: 2
; COMPUTE_PGM_RSRC2:TRAP_HANDLER: 0
; COMPUTE_PGM_RSRC2:TGID_X_EN: 1
; COMPUTE_PGM_RSRC2:TGID_Y_EN: 0
; COMPUTE_PGM_RSRC2:TGID_Z_EN: 0
; COMPUTE_PGM_RSRC2:TIDIG_COMP_CNT: 0
; COMPUTE_PGM_RSRC3_GFX90A:ACCUM_OFFSET: 8
; COMPUTE_PGM_RSRC3_GFX90A:TG_SPLIT: 0
	.section	.text._ZN5aiter23act_and_mul_bias_kernelItthfTnPFfRKT2_EXadL_ZNS_11gelu_kernelIfEEfRKT_EELi4EEEvPT0_PS8_PKT1_PS2_il,"axG",@progbits,_ZN5aiter23act_and_mul_bias_kernelItthfTnPFfRKT2_EXadL_ZNS_11gelu_kernelIfEEfRKT_EELi4EEEvPT0_PS8_PKT1_PS2_il,comdat
	.protected	_ZN5aiter23act_and_mul_bias_kernelItthfTnPFfRKT2_EXadL_ZNS_11gelu_kernelIfEEfRKT_EELi4EEEvPT0_PS8_PKT1_PS2_il ; -- Begin function _ZN5aiter23act_and_mul_bias_kernelItthfTnPFfRKT2_EXadL_ZNS_11gelu_kernelIfEEfRKT_EELi4EEEvPT0_PS8_PKT1_PS2_il
	.globl	_ZN5aiter23act_and_mul_bias_kernelItthfTnPFfRKT2_EXadL_ZNS_11gelu_kernelIfEEfRKT_EELi4EEEvPT0_PS8_PKT1_PS2_il
	.p2align	8
	.type	_ZN5aiter23act_and_mul_bias_kernelItthfTnPFfRKT2_EXadL_ZNS_11gelu_kernelIfEEfRKT_EELi4EEEvPT0_PS8_PKT1_PS2_il,@function
_ZN5aiter23act_and_mul_bias_kernelItthfTnPFfRKT2_EXadL_ZNS_11gelu_kernelIfEEfRKT_EELi4EEEvPT0_PS8_PKT1_PS2_il: ; @_ZN5aiter23act_and_mul_bias_kernelItthfTnPFfRKT2_EXadL_ZNS_11gelu_kernelIfEEfRKT_EELi4EEEvPT0_PS8_PKT1_PS2_il
; %bb.0:
	s_load_dwordx2 s[4:5], s[0:1], 0x10
	s_load_dword s24, s[0:1], 0x20
	s_load_dwordx2 s[6:7], s[0:1], 0x28
	v_mov_b32_e32 v1, s2
	s_mov_b32 s9, 0
	s_waitcnt lgkmcnt(0)
	global_load_ubyte v1, v1, s[4:5]
	s_add_i32 s3, s24, 1
	s_load_dwordx2 s[4:5], s[0:1], 0x0
	v_mov_b64_e32 v[2:3], s[6:7]
	s_lshr_b32 s6, s3, 31
	s_ashr_i32 s25, s24, 31
	s_add_i32 s3, s3, s6
	s_mul_hi_u32 s8, s24, s2
	s_mul_i32 s7, s25, s2
	s_lshl_b32 s3, s3, 1
	s_mul_i32 s12, s24, s2
	s_add_i32 s13, s8, s7
	s_and_b32 s6, s3, -4
	s_lshl_b64 s[12:13], s[12:13], 1
	s_mov_b64 s[10:11], -1
	v_lshlrev_b32_e32 v8, 2, v0
	s_waitcnt vmcnt(0)
	v_readfirstlane_b32 s3, v1
	s_and_b32 s8, s3, 0xffff
	s_waitcnt lgkmcnt(0)
	s_add_u32 s4, s4, s12
	v_cmp_lt_i64_e32 vcc, s[8:9], v[2:3]
	s_addc_u32 s3, s5, s13
	s_and_b32 s5, s3, 0xffff
	s_cbranch_vccnz .LBB376_5
; %bb.1:
	v_cmp_gt_i32_e32 vcc, s24, v8
	s_and_saveexec_b64 s[10:11], vcc
	s_cbranch_execz .LBB376_4
; %bb.2:
	s_load_dword s3, s[0:1], 0x3c
	v_mov_b32_e32 v9, 0
	s_mov_b32 s13, 0
	v_lshlrev_b32_e32 v4, 3, v0
	s_mov_b64 s[14:15], 0
	s_waitcnt lgkmcnt(0)
	s_and_b32 s3, s3, 0xffff
	s_lshl_b32 s12, s3, 2
	s_lshl_b32 s3, s3, 3
	s_mov_b32 s7, 0x20000
	v_mov_b32_e32 v0, v9
	v_mov_b32_e32 v1, v9
	v_mov_b64_e32 v[2:3], v[8:9]
.LBB376_3:                              ; =>This Inner Loop Header: Depth=1
	v_lshl_add_u64 v[2:3], s[12:13], 0, v[2:3]
	v_cmp_le_i64_e32 vcc, s[24:25], v[2:3]
	buffer_store_dwordx2 v[0:1], v4, s[4:7], 0 offen
	s_or_b64 s[14:15], vcc, s[14:15]
	v_add_u32_e32 v4, s3, v4
	s_andn2_b64 exec, exec, s[14:15]
	s_cbranch_execnz .LBB376_3
.LBB376_4:
	s_or_b64 exec, exec, s[10:11]
	s_mov_b64 s[10:11], 0
.LBB376_5:
	s_andn2_b64 vcc, exec, s[10:11]
	s_cbranch_vccnz .LBB376_25
; %bb.6:
	v_cmp_gt_i32_e32 vcc, s24, v8
	s_and_saveexec_b64 s[10:11], vcc
	s_cbranch_execz .LBB376_25
; %bb.7:
	s_load_dwordx2 s[10:11], s[0:1], 0x18
	s_load_dwordx2 s[14:15], s[0:1], 0x8
	s_mul_hi_i32 s9, s24, s8
	s_mul_i32 s8, s24, s8
	s_lshl_b64 s[8:9], s[8:9], 3
	s_waitcnt lgkmcnt(0)
	s_add_u32 s8, s10, s8
	s_addc_u32 s3, s11, s9
	s_lshl_b64 s[10:11], s[24:25], 2
	s_add_u32 s12, s8, s10
	s_addc_u32 s13, s3, s11
	s_and_b32 s9, s3, 0xffff
	s_mul_i32 s3, s2, s25
	s_mul_hi_u32 s16, s2, s24
	s_add_i32 s3, s16, s3
	s_mul_i32 s2, s2, s24
	s_lshl_b32 s10, s24, 2
	s_and_b32 s13, s13, 0xffff
	s_lshl_b64 s[2:3], s[2:3], 2
	s_add_u32 s16, s14, s2
	s_addc_u32 s14, s15, s3
	s_lshl_b64 s[2:3], s[24:25], 1
	s_add_u32 s20, s16, s2
	s_addc_u32 s2, s14, s3
	s_and_b32 s17, s14, 0xffff
	s_and_b32 s21, s2, 0xffff
	s_mov_b32 s7, 0x20000
	s_add_u32 s0, s0, 48
	s_mov_b32 s11, s7
	s_mov_b64 s[22:23], s[6:7]
	v_mov_b32_e32 v9, 0
	s_addc_u32 s1, s1, 0
	s_mov_b64 s[2:3], 0
	s_mov_b32 s18, s6
	s_mov_b32 s19, s7
	;; [unrolled: 1-line block ×12, first 2 shown]
	v_mov_b32_e32 v14, 0x3ba10414
	s_brev_b32 s38, -2
	s_mov_b32 s39, 0x7060302
	v_mov_b32_e32 v15, 0xb9c68948
	v_mov_b32_e32 v16, 0x7f800000
                                        ; implicit-def: $vgpr0
                                        ; implicit-def: $vgpr0
	;; [unrolled: 1-line block ×4, first 2 shown]
	s_branch .LBB376_9
.LBB376_8:                              ;   in Loop: Header=BB376_9 Depth=1
	s_or_b64 exec, exec, s[14:15]
	v_bfi_b32 v5, s38, v6, v5
	v_mul_f32_e32 v4, 0.5, v4
	v_add_f32_e32 v5, 1.0, v5
	v_mul_f32_e32 v4, v4, v5
	v_and_b32_e32 v5, 0xffff0000, v11
	v_add_f32_e32 v3, v3, v5
	v_lshlrev_b32_e32 v5, 16, v11
	v_bfi_b32 v6, s38, v12, v10
	v_add_f32_e32 v2, v2, v5
	v_mul_f32_e32 v5, 0.5, v7
	v_add_f32_e32 v6, 1.0, v6
	v_mul_f32_e32 v5, v5, v6
	;;#ASMSTART
	v_pk_mul_f32 v[2:3], v[4:5], v[2:3]
	;;#ASMEND
	s_load_dword s14, s[0:1], 0xc
	v_perm_b32 v3, v3, v2, s39
	v_perm_b32 v2, v1, v0, s39
	buffer_store_dwordx2 v[2:3], v17, s[4:7], 0 offen
	s_waitcnt lgkmcnt(0)
	s_and_b32 s14, s14, 0xffff
	s_lshl_b32 s26, s14, 2
	v_lshl_add_u64 v[8:9], s[26:27], 0, v[8:9]
	v_cmp_le_i64_e32 vcc, s[24:25], v[8:9]
	s_or_b64 s[2:3], vcc, s[2:3]
	s_andn2_b64 exec, exec, s[2:3]
	s_cbranch_execz .LBB376_25
.LBB376_9:                              ; =>This Inner Loop Header: Depth=1
	v_lshlrev_b32_e32 v17, 1, v8
	v_lshlrev_b32_e32 v0, 2, v8
	buffer_load_dwordx2 v[12:13], v17, s[16:19], 0 offen
	buffer_load_dwordx2 v[10:11], v17, s[20:23], 0 offen
	buffer_load_dwordx4 v[4:7], v0, s[8:11], 0 offen
	s_mov_b32 s14, s10
	s_mov_b32 s15, s11
	buffer_load_dwordx4 v[0:3], v0, s[12:15], 0 offen
                                        ; implicit-def: $vgpr19
	s_waitcnt vmcnt(3)
	v_lshlrev_b32_e32 v18, 16, v12
	s_waitcnt vmcnt(1)
	v_add_f32_e32 v4, v4, v18
	v_mul_f32_e32 v18, 0x3f3504f3, v4
	v_cmp_nlt_f32_e64 s[14:15], |v18|, 1.0
	s_and_saveexec_b64 s[40:41], s[14:15]
	s_xor_b64 s[14:15], exec, s[40:41]
	s_cbranch_execz .LBB376_11
; %bb.10:                               ;   in Loop: Header=BB376_9 Depth=1
	v_fma_f32 v19, |v18|, s28, v15
	v_fma_f32 v19, |v18|, v19, s29
	;; [unrolled: 1-line block ×6, first 2 shown]
	v_fma_f32 v19, |v18|, v19, |v18|
	v_mul_f32_e32 v20, 0xbfb8aa3b, v19
	v_fma_f32 v21, v19, s35, -v20
	v_rndne_f32_e32 v22, v20
	v_fmac_f32_e32 v21, 0xb2a5705f, v19
	v_sub_f32_e32 v20, v20, v22
	v_add_f32_e32 v20, v20, v21
	v_cvt_i32_f32_e32 v21, v22
	v_exp_f32_e32 v20, v20
	v_cmp_nlt_f32_e32 vcc, s36, v19
	v_ldexp_f32 v20, v20, v21
	s_nop 0
	v_cndmask_b32_e32 v20, 0, v20, vcc
	v_cmp_ngt_f32_e32 vcc, s37, v19
	s_nop 1
	v_cndmask_b32_e32 v19, v16, v20, vcc
	v_sub_f32_e32 v19, 1.0, v19
.LBB376_11:                             ;   in Loop: Header=BB376_9 Depth=1
	s_andn2_saveexec_b64 s[14:15], s[14:15]
; %bb.12:                               ;   in Loop: Header=BB376_9 Depth=1
	v_mul_f32_e32 v19, v18, v18
	v_fmamk_f32 v20, v19, 0xba1345e1, v14
	v_fmaak_f32 v20, v19, v20, 0xbcdac9b8
	v_fmaak_f32 v20, v19, v20, 0x3de703be
	;; [unrolled: 1-line block ×4, first 2 shown]
	v_fma_f32 v19, |v18|, v19, |v18|
; %bb.13:                               ;   in Loop: Header=BB376_9 Depth=1
	s_or_b64 exec, exec, s[14:15]
	v_and_b32_e32 v12, 0xffff0000, v12
	v_add_f32_e32 v5, v5, v12
	v_mul_f32_e32 v12, 0x3f3504f3, v5
	v_cmp_nlt_f32_e64 s[14:15], |v12|, 1.0
                                        ; implicit-def: $vgpr20
	s_and_saveexec_b64 s[40:41], s[14:15]
	s_xor_b64 s[14:15], exec, s[40:41]
	s_cbranch_execz .LBB376_15
; %bb.14:                               ;   in Loop: Header=BB376_9 Depth=1
	v_fma_f32 v20, |v12|, s28, v15
	v_fma_f32 v20, |v12|, v20, s29
	;; [unrolled: 1-line block ×6, first 2 shown]
	v_fma_f32 v20, |v12|, v20, |v12|
	v_mul_f32_e32 v21, 0xbfb8aa3b, v20
	v_fma_f32 v22, v20, s35, -v21
	v_rndne_f32_e32 v23, v21
	v_fmac_f32_e32 v22, 0xb2a5705f, v20
	v_sub_f32_e32 v21, v21, v23
	v_add_f32_e32 v21, v21, v22
	v_cvt_i32_f32_e32 v22, v23
	v_exp_f32_e32 v21, v21
	v_cmp_nlt_f32_e32 vcc, s36, v20
	v_ldexp_f32 v21, v21, v22
	s_nop 0
	v_cndmask_b32_e32 v21, 0, v21, vcc
	v_cmp_ngt_f32_e32 vcc, s37, v20
	s_nop 1
	v_cndmask_b32_e32 v20, v16, v21, vcc
	v_sub_f32_e32 v20, 1.0, v20
.LBB376_15:                             ;   in Loop: Header=BB376_9 Depth=1
	s_andn2_saveexec_b64 s[14:15], s[14:15]
; %bb.16:                               ;   in Loop: Header=BB376_9 Depth=1
	v_mul_f32_e32 v20, v12, v12
	v_fmamk_f32 v21, v20, 0xba1345e1, v14
	v_fmaak_f32 v21, v20, v21, 0xbcdac9b8
	v_fmaak_f32 v21, v20, v21, 0x3de703be
	;; [unrolled: 1-line block ×4, first 2 shown]
	v_fma_f32 v20, |v12|, v20, |v12|
; %bb.17:                               ;   in Loop: Header=BB376_9 Depth=1
	s_or_b64 exec, exec, s[14:15]
	v_bfi_b32 v18, s38, v19, v18
	v_mul_f32_e32 v4, 0.5, v4
	v_add_f32_e32 v18, 1.0, v18
	v_mul_f32_e32 v4, v4, v18
	v_and_b32_e32 v18, 0xffff0000, v10
	v_lshlrev_b32_e32 v10, 16, v10
	s_waitcnt vmcnt(0)
	v_add_f32_e32 v0, v0, v10
	v_bfi_b32 v10, s38, v20, v12
	v_add_f32_e32 v1, v1, v18
	v_mul_f32_e32 v5, 0.5, v5
	v_add_f32_e32 v10, 1.0, v10
	v_mul_f32_e32 v5, v5, v10
	;;#ASMSTART
	v_pk_mul_f32 v[0:1], v[4:5], v[0:1]
	;;#ASMEND
	v_lshlrev_b32_e32 v4, 16, v13
	v_add_f32_e32 v4, v6, v4
	v_mul_f32_e32 v5, 0x3f3504f3, v4
	v_cmp_nlt_f32_e64 s[14:15], |v5|, 1.0
                                        ; implicit-def: $vgpr6
	s_and_saveexec_b64 s[40:41], s[14:15]
	s_xor_b64 s[14:15], exec, s[40:41]
	s_cbranch_execz .LBB376_19
; %bb.18:                               ;   in Loop: Header=BB376_9 Depth=1
	v_fma_f32 v6, |v5|, s28, v15
	v_fma_f32 v6, |v5|, v6, s29
	;; [unrolled: 1-line block ×6, first 2 shown]
	v_fma_f32 v6, |v5|, v6, |v5|
	v_mul_f32_e32 v10, 0xbfb8aa3b, v6
	v_fma_f32 v12, v6, s35, -v10
	v_rndne_f32_e32 v18, v10
	v_fmac_f32_e32 v12, 0xb2a5705f, v6
	v_sub_f32_e32 v10, v10, v18
	v_add_f32_e32 v10, v10, v12
	v_cvt_i32_f32_e32 v12, v18
	v_exp_f32_e32 v10, v10
	v_cmp_nlt_f32_e32 vcc, s36, v6
	v_ldexp_f32 v10, v10, v12
	s_nop 0
	v_cndmask_b32_e32 v10, 0, v10, vcc
	v_cmp_ngt_f32_e32 vcc, s37, v6
	s_nop 1
	v_cndmask_b32_e32 v6, v16, v10, vcc
	v_sub_f32_e32 v6, 1.0, v6
.LBB376_19:                             ;   in Loop: Header=BB376_9 Depth=1
	s_andn2_saveexec_b64 s[14:15], s[14:15]
; %bb.20:                               ;   in Loop: Header=BB376_9 Depth=1
	v_mul_f32_e32 v6, v5, v5
	v_fmamk_f32 v10, v6, 0xba1345e1, v14
	v_fmaak_f32 v10, v6, v10, 0xbcdac9b8
	v_fmaak_f32 v10, v6, v10, 0x3de703be
	;; [unrolled: 1-line block ×4, first 2 shown]
	v_fma_f32 v6, |v5|, v6, |v5|
; %bb.21:                               ;   in Loop: Header=BB376_9 Depth=1
	s_or_b64 exec, exec, s[14:15]
	v_and_b32_e32 v10, 0xffff0000, v13
	v_add_f32_e32 v7, v7, v10
	v_mul_f32_e32 v10, 0x3f3504f3, v7
	v_cmp_nlt_f32_e64 s[14:15], |v10|, 1.0
                                        ; implicit-def: $vgpr12
	s_and_saveexec_b64 s[40:41], s[14:15]
	s_xor_b64 s[14:15], exec, s[40:41]
	s_cbranch_execz .LBB376_23
; %bb.22:                               ;   in Loop: Header=BB376_9 Depth=1
	v_fma_f32 v12, |v10|, s28, v15
	v_fma_f32 v12, |v10|, v12, s29
	v_fma_f32 v12, |v10|, v12, s30
	v_fma_f32 v12, |v10|, v12, s31
	v_fma_f32 v12, |v10|, v12, s33
	v_fma_f32 v12, |v10|, v12, s34
	v_fma_f32 v12, |v10|, v12, |v10|
	v_mul_f32_e32 v13, 0xbfb8aa3b, v12
	v_fma_f32 v18, v12, s35, -v13
	v_rndne_f32_e32 v19, v13
	v_fmac_f32_e32 v18, 0xb2a5705f, v12
	v_sub_f32_e32 v13, v13, v19
	v_add_f32_e32 v13, v13, v18
	v_cvt_i32_f32_e32 v18, v19
	v_exp_f32_e32 v13, v13
	v_cmp_nlt_f32_e32 vcc, s36, v12
	v_ldexp_f32 v13, v13, v18
	s_nop 0
	v_cndmask_b32_e32 v13, 0, v13, vcc
	v_cmp_ngt_f32_e32 vcc, s37, v12
	s_nop 1
	v_cndmask_b32_e32 v12, v16, v13, vcc
	v_sub_f32_e32 v12, 1.0, v12
.LBB376_23:                             ;   in Loop: Header=BB376_9 Depth=1
	s_andn2_saveexec_b64 s[14:15], s[14:15]
	s_cbranch_execz .LBB376_8
; %bb.24:                               ;   in Loop: Header=BB376_9 Depth=1
	v_mul_f32_e32 v12, v10, v10
	v_fmamk_f32 v13, v12, 0xba1345e1, v14
	v_fmaak_f32 v13, v12, v13, 0xbcdac9b8
	v_fmaak_f32 v13, v12, v13, 0x3de703be
	;; [unrolled: 1-line block ×4, first 2 shown]
	v_fma_f32 v12, |v10|, v12, |v10|
	s_branch .LBB376_8
.LBB376_25:
	s_endpgm
	.section	.rodata,"a",@progbits
	.p2align	6, 0x0
	.amdhsa_kernel _ZN5aiter23act_and_mul_bias_kernelItthfTnPFfRKT2_EXadL_ZNS_11gelu_kernelIfEEfRKT_EELi4EEEvPT0_PS8_PKT1_PS2_il
		.amdhsa_group_segment_fixed_size 0
		.amdhsa_private_segment_fixed_size 0
		.amdhsa_kernarg_size 304
		.amdhsa_user_sgpr_count 2
		.amdhsa_user_sgpr_dispatch_ptr 0
		.amdhsa_user_sgpr_queue_ptr 0
		.amdhsa_user_sgpr_kernarg_segment_ptr 1
		.amdhsa_user_sgpr_dispatch_id 0
		.amdhsa_user_sgpr_kernarg_preload_length 0
		.amdhsa_user_sgpr_kernarg_preload_offset 0
		.amdhsa_user_sgpr_private_segment_size 0
		.amdhsa_uses_dynamic_stack 0
		.amdhsa_enable_private_segment 0
		.amdhsa_system_sgpr_workgroup_id_x 1
		.amdhsa_system_sgpr_workgroup_id_y 0
		.amdhsa_system_sgpr_workgroup_id_z 0
		.amdhsa_system_sgpr_workgroup_info 0
		.amdhsa_system_vgpr_workitem_id 0
		.amdhsa_next_free_vgpr 24
		.amdhsa_next_free_sgpr 42
		.amdhsa_accum_offset 24
		.amdhsa_reserve_vcc 1
		.amdhsa_float_round_mode_32 0
		.amdhsa_float_round_mode_16_64 0
		.amdhsa_float_denorm_mode_32 3
		.amdhsa_float_denorm_mode_16_64 3
		.amdhsa_dx10_clamp 1
		.amdhsa_ieee_mode 1
		.amdhsa_fp16_overflow 0
		.amdhsa_tg_split 0
		.amdhsa_exception_fp_ieee_invalid_op 0
		.amdhsa_exception_fp_denorm_src 0
		.amdhsa_exception_fp_ieee_div_zero 0
		.amdhsa_exception_fp_ieee_overflow 0
		.amdhsa_exception_fp_ieee_underflow 0
		.amdhsa_exception_fp_ieee_inexact 0
		.amdhsa_exception_int_div_zero 0
	.end_amdhsa_kernel
	.section	.text._ZN5aiter23act_and_mul_bias_kernelItthfTnPFfRKT2_EXadL_ZNS_11gelu_kernelIfEEfRKT_EELi4EEEvPT0_PS8_PKT1_PS2_il,"axG",@progbits,_ZN5aiter23act_and_mul_bias_kernelItthfTnPFfRKT2_EXadL_ZNS_11gelu_kernelIfEEfRKT_EELi4EEEvPT0_PS8_PKT1_PS2_il,comdat
.Lfunc_end376:
	.size	_ZN5aiter23act_and_mul_bias_kernelItthfTnPFfRKT2_EXadL_ZNS_11gelu_kernelIfEEfRKT_EELi4EEEvPT0_PS8_PKT1_PS2_il, .Lfunc_end376-_ZN5aiter23act_and_mul_bias_kernelItthfTnPFfRKT2_EXadL_ZNS_11gelu_kernelIfEEfRKT_EELi4EEEvPT0_PS8_PKT1_PS2_il
                                        ; -- End function
	.section	.AMDGPU.csdata,"",@progbits
; Kernel info:
; codeLenInByte = 1792
; NumSgprs: 48
; NumVgprs: 24
; NumAgprs: 0
; TotalNumVgprs: 24
; ScratchSize: 0
; MemoryBound: 0
; FloatMode: 240
; IeeeMode: 1
; LDSByteSize: 0 bytes/workgroup (compile time only)
; SGPRBlocks: 5
; VGPRBlocks: 2
; NumSGPRsForWavesPerEU: 48
; NumVGPRsForWavesPerEU: 24
; AccumOffset: 24
; Occupancy: 8
; WaveLimiterHint : 0
; COMPUTE_PGM_RSRC2:SCRATCH_EN: 0
; COMPUTE_PGM_RSRC2:USER_SGPR: 2
; COMPUTE_PGM_RSRC2:TRAP_HANDLER: 0
; COMPUTE_PGM_RSRC2:TGID_X_EN: 1
; COMPUTE_PGM_RSRC2:TGID_Y_EN: 0
; COMPUTE_PGM_RSRC2:TGID_Z_EN: 0
; COMPUTE_PGM_RSRC2:TIDIG_COMP_CNT: 0
; COMPUTE_PGM_RSRC3_GFX90A:ACCUM_OFFSET: 5
; COMPUTE_PGM_RSRC3_GFX90A:TG_SPLIT: 0
	.section	.text._ZN5aiter23act_and_mul_bias_kernelItthfTnPFfRKT2_EXadL_ZNS_11gelu_kernelIfEEfRKT_EELi2EEEvPT0_PS8_PKT1_PS2_il,"axG",@progbits,_ZN5aiter23act_and_mul_bias_kernelItthfTnPFfRKT2_EXadL_ZNS_11gelu_kernelIfEEfRKT_EELi2EEEvPT0_PS8_PKT1_PS2_il,comdat
	.protected	_ZN5aiter23act_and_mul_bias_kernelItthfTnPFfRKT2_EXadL_ZNS_11gelu_kernelIfEEfRKT_EELi2EEEvPT0_PS8_PKT1_PS2_il ; -- Begin function _ZN5aiter23act_and_mul_bias_kernelItthfTnPFfRKT2_EXadL_ZNS_11gelu_kernelIfEEfRKT_EELi2EEEvPT0_PS8_PKT1_PS2_il
	.globl	_ZN5aiter23act_and_mul_bias_kernelItthfTnPFfRKT2_EXadL_ZNS_11gelu_kernelIfEEfRKT_EELi2EEEvPT0_PS8_PKT1_PS2_il
	.p2align	8
	.type	_ZN5aiter23act_and_mul_bias_kernelItthfTnPFfRKT2_EXadL_ZNS_11gelu_kernelIfEEfRKT_EELi2EEEvPT0_PS8_PKT1_PS2_il,@function
_ZN5aiter23act_and_mul_bias_kernelItthfTnPFfRKT2_EXadL_ZNS_11gelu_kernelIfEEfRKT_EELi2EEEvPT0_PS8_PKT1_PS2_il: ; @_ZN5aiter23act_and_mul_bias_kernelItthfTnPFfRKT2_EXadL_ZNS_11gelu_kernelIfEEfRKT_EELi2EEEvPT0_PS8_PKT1_PS2_il
; %bb.0:
	s_load_dwordx2 s[4:5], s[0:1], 0x10
	s_load_dword s24, s[0:1], 0x20
	s_load_dwordx2 s[6:7], s[0:1], 0x28
	v_mov_b32_e32 v1, s2
	s_mov_b32 s9, 0
	s_waitcnt lgkmcnt(0)
	global_load_ubyte v1, v1, s[4:5]
	s_add_i32 s3, s24, 1
	s_load_dwordx2 s[4:5], s[0:1], 0x0
	v_mov_b64_e32 v[4:5], s[6:7]
	s_lshr_b32 s6, s3, 31
	s_ashr_i32 s25, s24, 31
	s_add_i32 s3, s3, s6
	s_mul_hi_u32 s8, s24, s2
	s_mul_i32 s7, s25, s2
	s_lshl_b32 s3, s3, 1
	s_mul_i32 s12, s24, s2
	s_add_i32 s13, s8, s7
	s_and_b32 s6, s3, -4
	s_lshl_b64 s[12:13], s[12:13], 1
	s_mov_b64 s[10:11], -1
	v_lshlrev_b32_e32 v2, 1, v0
	s_waitcnt vmcnt(0)
	v_readfirstlane_b32 s3, v1
	s_and_b32 s8, s3, 0xffff
	s_waitcnt lgkmcnt(0)
	s_add_u32 s4, s4, s12
	v_cmp_lt_i64_e32 vcc, s[8:9], v[4:5]
	s_addc_u32 s3, s5, s13
	s_and_b32 s5, s3, 0xffff
	s_cbranch_vccnz .LBB377_5
; %bb.1:
	v_cmp_gt_i32_e32 vcc, s24, v2
	s_and_saveexec_b64 s[10:11], vcc
	s_cbranch_execz .LBB377_4
; %bb.2:
	s_load_dword s3, s[0:1], 0x3c
	v_mov_b32_e32 v3, 0
	s_mov_b32 s13, 0
	v_lshlrev_b32_e32 v4, 2, v0
	s_mov_b64 s[14:15], 0
	s_waitcnt lgkmcnt(0)
	s_and_b32 s3, s3, 0xffff
	s_lshl_b32 s12, s3, 1
	s_lshl_b32 s3, s3, 2
	s_mov_b32 s7, 0x20000
	v_mov_b64_e32 v[0:1], v[2:3]
.LBB377_3:                              ; =>This Inner Loop Header: Depth=1
	v_lshl_add_u64 v[0:1], s[12:13], 0, v[0:1]
	v_cmp_le_i64_e32 vcc, s[24:25], v[0:1]
	buffer_store_dword v3, v4, s[4:7], 0 offen
	s_or_b64 s[14:15], vcc, s[14:15]
	v_add_u32_e32 v4, s3, v4
	s_andn2_b64 exec, exec, s[14:15]
	s_cbranch_execnz .LBB377_3
.LBB377_4:
	s_or_b64 exec, exec, s[10:11]
	s_mov_b64 s[10:11], 0
.LBB377_5:
	s_andn2_b64 vcc, exec, s[10:11]
	s_cbranch_vccnz .LBB377_13
; %bb.6:
	v_cmp_gt_i32_e32 vcc, s24, v2
	s_and_saveexec_b64 s[10:11], vcc
	s_cbranch_execz .LBB377_13
; %bb.7:
	s_load_dwordx2 s[10:11], s[0:1], 0x18
	s_load_dwordx2 s[14:15], s[0:1], 0x8
	s_mul_hi_i32 s9, s24, s8
	s_mul_i32 s8, s24, s8
	s_lshl_b64 s[8:9], s[8:9], 3
	s_waitcnt lgkmcnt(0)
	s_add_u32 s8, s10, s8
	s_addc_u32 s3, s11, s9
	s_lshl_b64 s[10:11], s[24:25], 2
	s_add_u32 s12, s8, s10
	s_addc_u32 s13, s3, s11
	s_and_b32 s9, s3, 0xffff
	s_mul_i32 s3, s2, s25
	s_mul_hi_u32 s16, s2, s24
	s_add_i32 s3, s16, s3
	s_mul_i32 s2, s2, s24
	s_lshl_b32 s10, s24, 2
	s_and_b32 s13, s13, 0xffff
	s_lshl_b64 s[2:3], s[2:3], 2
	s_add_u32 s16, s14, s2
	s_addc_u32 s14, s15, s3
	s_lshl_b64 s[2:3], s[24:25], 1
	s_add_u32 s20, s16, s2
	s_addc_u32 s2, s14, s3
	s_and_b32 s17, s14, 0xffff
	s_and_b32 s21, s2, 0xffff
	s_mov_b32 s7, 0x20000
	s_add_u32 s0, s0, 48
	s_mov_b32 s11, s7
	s_mov_b64 s[22:23], s[6:7]
	v_mov_b32_e32 v3, 0
	s_addc_u32 s1, s1, 0
	s_mov_b64 s[2:3], 0
	s_mov_b32 s18, s6
	s_mov_b32 s19, s7
	;; [unrolled: 1-line block ×13, first 2 shown]
	v_mov_b32_e32 v10, 0x3ba10414
	v_mov_b32_e32 v11, 0xb9c68948
	;; [unrolled: 1-line block ×3, first 2 shown]
	s_brev_b32 s39, -2
	s_mov_b32 s40, 0x7060302
                                        ; implicit-def: $vgpr0
                                        ; implicit-def: $vgpr0
                                        ; implicit-def: $vgpr0
                                        ; implicit-def: $vgpr0
	s_branch .LBB377_9
.LBB377_8:                              ;   in Loop: Header=BB377_9 Depth=1
	s_or_b64 exec, exec, s[14:15]
	v_fma_f32 v8, |v1|, s29, v11
	v_fma_f32 v8, |v1|, v8, s30
	;; [unrolled: 1-line block ×6, first 2 shown]
	v_fma_f32 v8, |v1|, v8, |v1|
	v_mul_f32_e32 v16, 0xbfb8aa3b, v8
	v_fma_f32 v17, v8, s36, -v16
	v_rndne_f32_e32 v18, v16
	v_fmac_f32_e32 v17, 0xb2a5705f, v8
	v_sub_f32_e32 v16, v16, v18
	v_add_f32_e32 v16, v16, v17
	v_exp_f32_e32 v19, v16
	v_cvt_i32_f32_e32 v18, v18
	v_and_b32_e32 v17, 0xffff0000, v14
	v_lshlrev_b32_e32 v16, 16, v14
	v_cmp_nlt_f32_e32 vcc, s37, v8
	v_ldexp_f32 v14, v19, v18
	v_bfi_b32 v0, s39, v15, v0
	v_cndmask_b32_e32 v14, 0, v14, vcc
	v_cmp_ngt_f32_e32 vcc, s38, v8
	v_mul_f32_e32 v5, 0.5, v5
	v_mul_f32_e32 v4, 0.5, v4
	v_cndmask_b32_e32 v8, v12, v14, vcc
	v_fmamk_f32 v14, v9, 0xba1345e1, v10
	v_fmaak_f32 v14, v9, v14, 0xbcdac9b8
	v_fmaak_f32 v14, v9, v14, 0x3de703be
	;; [unrolled: 1-line block ×4, first 2 shown]
	v_sub_f32_e32 v8, 1.0, v8
	v_fma_f32 v9, |v1|, v9, |v1|
	v_cmp_lt_f32_e64 vcc, |v1|, 1.0
	s_waitcnt vmcnt(0)
	v_pk_add_f32 v[6:7], v[6:7], v[16:17]
	v_cndmask_b32_e32 v8, v8, v9, vcc
	v_bfi_b32 v1, s39, v8, v1
	v_pk_add_f32 v[0:1], v[0:1], 1.0 op_sel_hi:[1,0]
	s_nop 0
	v_pk_mul_f32 v[0:1], v[4:5], v[0:1]
	s_nop 0
	;;#ASMSTART
	v_pk_mul_f32 v[0:1], v[0:1], v[6:7]
	;;#ASMEND
	s_load_dword s14, s[0:1], 0xc
	v_perm_b32 v0, v1, v0, s40
	buffer_store_dword v0, v13, s[4:7], 0 offen
	s_waitcnt lgkmcnt(0)
	s_and_b32 s14, s14, 0xffff
	s_lshl_b32 s26, s14, 1
	v_lshl_add_u64 v[2:3], s[26:27], 0, v[2:3]
	v_cmp_le_i64_e32 vcc, s[24:25], v[2:3]
	s_or_b64 s[2:3], vcc, s[2:3]
	s_andn2_b64 exec, exec, s[2:3]
	s_cbranch_execz .LBB377_13
.LBB377_9:                              ; =>This Inner Loop Header: Depth=1
	v_lshlrev_b32_e32 v13, 1, v2
	v_lshlrev_b32_e32 v5, 2, v2
	buffer_load_dword v4, v13, s[16:19], 0 offen
	buffer_load_dword v14, v13, s[20:23], 0 offen
	buffer_load_dwordx2 v[0:1], v5, s[8:11], 0 offen
	s_mov_b32 s14, s10
	s_mov_b32 s15, s11
	buffer_load_dwordx2 v[6:7], v5, s[12:15], 0 offen
                                        ; implicit-def: $vgpr15
	s_waitcnt vmcnt(3)
	v_and_b32_e32 v5, 0xffff0000, v4
	v_lshlrev_b32_e32 v4, 16, v4
	s_waitcnt vmcnt(1)
	v_pk_add_f32 v[4:5], v[0:1], v[4:5]
	s_nop 0
	v_pk_mul_f32 v[0:1], v[4:5], s[28:29] op_sel_hi:[1,0]
	s_nop 0
	v_cmp_nlt_f32_e64 s[14:15], |v0|, 1.0
	s_and_saveexec_b64 s[42:43], s[14:15]
	s_xor_b64 s[14:15], exec, s[42:43]
	s_cbranch_execz .LBB377_11
; %bb.10:                               ;   in Loop: Header=BB377_9 Depth=1
	v_fma_f32 v8, |v0|, s29, v11
	v_fma_f32 v8, |v0|, v8, s30
	;; [unrolled: 1-line block ×6, first 2 shown]
	v_fma_f32 v8, |v0|, v8, |v0|
	v_mul_f32_e32 v9, 0xbfb8aa3b, v8
	v_fma_f32 v15, v8, s36, -v9
	v_rndne_f32_e32 v16, v9
	v_fmac_f32_e32 v15, 0xb2a5705f, v8
	v_sub_f32_e32 v9, v9, v16
	v_add_f32_e32 v9, v9, v15
	v_cvt_i32_f32_e32 v15, v16
	v_exp_f32_e32 v9, v9
	v_cmp_nlt_f32_e32 vcc, s37, v8
	v_ldexp_f32 v9, v9, v15
	s_nop 0
	v_cndmask_b32_e32 v9, 0, v9, vcc
	v_cmp_ngt_f32_e32 vcc, s38, v8
	s_nop 1
	v_cndmask_b32_e32 v8, v12, v9, vcc
	v_sub_f32_e32 v15, 1.0, v8
.LBB377_11:                             ;   in Loop: Header=BB377_9 Depth=1
	s_or_saveexec_b64 s[14:15], s[14:15]
	v_pk_mul_f32 v[8:9], v[0:1], v[0:1]
	s_xor_b64 exec, exec, s[14:15]
	s_cbranch_execz .LBB377_8
; %bb.12:                               ;   in Loop: Header=BB377_9 Depth=1
	v_fmamk_f32 v15, v8, 0xba1345e1, v10
	v_fmaak_f32 v15, v8, v15, 0xbcdac9b8
	v_fmaak_f32 v15, v8, v15, 0x3de703be
	;; [unrolled: 1-line block ×4, first 2 shown]
	v_fma_f32 v15, |v0|, v8, |v0|
	s_branch .LBB377_8
.LBB377_13:
	s_endpgm
	.section	.rodata,"a",@progbits
	.p2align	6, 0x0
	.amdhsa_kernel _ZN5aiter23act_and_mul_bias_kernelItthfTnPFfRKT2_EXadL_ZNS_11gelu_kernelIfEEfRKT_EELi2EEEvPT0_PS8_PKT1_PS2_il
		.amdhsa_group_segment_fixed_size 0
		.amdhsa_private_segment_fixed_size 0
		.amdhsa_kernarg_size 304
		.amdhsa_user_sgpr_count 2
		.amdhsa_user_sgpr_dispatch_ptr 0
		.amdhsa_user_sgpr_queue_ptr 0
		.amdhsa_user_sgpr_kernarg_segment_ptr 1
		.amdhsa_user_sgpr_dispatch_id 0
		.amdhsa_user_sgpr_kernarg_preload_length 0
		.amdhsa_user_sgpr_kernarg_preload_offset 0
		.amdhsa_user_sgpr_private_segment_size 0
		.amdhsa_uses_dynamic_stack 0
		.amdhsa_enable_private_segment 0
		.amdhsa_system_sgpr_workgroup_id_x 1
		.amdhsa_system_sgpr_workgroup_id_y 0
		.amdhsa_system_sgpr_workgroup_id_z 0
		.amdhsa_system_sgpr_workgroup_info 0
		.amdhsa_system_vgpr_workitem_id 0
		.amdhsa_next_free_vgpr 20
		.amdhsa_next_free_sgpr 44
		.amdhsa_accum_offset 20
		.amdhsa_reserve_vcc 1
		.amdhsa_float_round_mode_32 0
		.amdhsa_float_round_mode_16_64 0
		.amdhsa_float_denorm_mode_32 3
		.amdhsa_float_denorm_mode_16_64 3
		.amdhsa_dx10_clamp 1
		.amdhsa_ieee_mode 1
		.amdhsa_fp16_overflow 0
		.amdhsa_tg_split 0
		.amdhsa_exception_fp_ieee_invalid_op 0
		.amdhsa_exception_fp_denorm_src 0
		.amdhsa_exception_fp_ieee_div_zero 0
		.amdhsa_exception_fp_ieee_overflow 0
		.amdhsa_exception_fp_ieee_underflow 0
		.amdhsa_exception_fp_ieee_inexact 0
		.amdhsa_exception_int_div_zero 0
	.end_amdhsa_kernel
	.section	.text._ZN5aiter23act_and_mul_bias_kernelItthfTnPFfRKT2_EXadL_ZNS_11gelu_kernelIfEEfRKT_EELi2EEEvPT0_PS8_PKT1_PS2_il,"axG",@progbits,_ZN5aiter23act_and_mul_bias_kernelItthfTnPFfRKT2_EXadL_ZNS_11gelu_kernelIfEEfRKT_EELi2EEEvPT0_PS8_PKT1_PS2_il,comdat
.Lfunc_end377:
	.size	_ZN5aiter23act_and_mul_bias_kernelItthfTnPFfRKT2_EXadL_ZNS_11gelu_kernelIfEEfRKT_EELi2EEEvPT0_PS8_PKT1_PS2_il, .Lfunc_end377-_ZN5aiter23act_and_mul_bias_kernelItthfTnPFfRKT2_EXadL_ZNS_11gelu_kernelIfEEfRKT_EELi2EEEvPT0_PS8_PKT1_PS2_il
                                        ; -- End function
	.section	.AMDGPU.csdata,"",@progbits
; Kernel info:
; codeLenInByte = 1236
; NumSgprs: 50
; NumVgprs: 20
; NumAgprs: 0
; TotalNumVgprs: 20
; ScratchSize: 0
; MemoryBound: 0
; FloatMode: 240
; IeeeMode: 1
; LDSByteSize: 0 bytes/workgroup (compile time only)
; SGPRBlocks: 6
; VGPRBlocks: 2
; NumSGPRsForWavesPerEU: 50
; NumVGPRsForWavesPerEU: 20
; AccumOffset: 20
; Occupancy: 8
; WaveLimiterHint : 0
; COMPUTE_PGM_RSRC2:SCRATCH_EN: 0
; COMPUTE_PGM_RSRC2:USER_SGPR: 2
; COMPUTE_PGM_RSRC2:TRAP_HANDLER: 0
; COMPUTE_PGM_RSRC2:TGID_X_EN: 1
; COMPUTE_PGM_RSRC2:TGID_Y_EN: 0
; COMPUTE_PGM_RSRC2:TGID_Z_EN: 0
; COMPUTE_PGM_RSRC2:TIDIG_COMP_CNT: 0
; COMPUTE_PGM_RSRC3_GFX90A:ACCUM_OFFSET: 4
; COMPUTE_PGM_RSRC3_GFX90A:TG_SPLIT: 0
	.section	.text._ZN5aiter23act_and_mul_bias_kernelItthfTnPFfRKT2_EXadL_ZNS_11gelu_kernelIfEEfRKT_EELi1EEEvPT0_PS8_PKT1_PS2_il,"axG",@progbits,_ZN5aiter23act_and_mul_bias_kernelItthfTnPFfRKT2_EXadL_ZNS_11gelu_kernelIfEEfRKT_EELi1EEEvPT0_PS8_PKT1_PS2_il,comdat
	.protected	_ZN5aiter23act_and_mul_bias_kernelItthfTnPFfRKT2_EXadL_ZNS_11gelu_kernelIfEEfRKT_EELi1EEEvPT0_PS8_PKT1_PS2_il ; -- Begin function _ZN5aiter23act_and_mul_bias_kernelItthfTnPFfRKT2_EXadL_ZNS_11gelu_kernelIfEEfRKT_EELi1EEEvPT0_PS8_PKT1_PS2_il
	.globl	_ZN5aiter23act_and_mul_bias_kernelItthfTnPFfRKT2_EXadL_ZNS_11gelu_kernelIfEEfRKT_EELi1EEEvPT0_PS8_PKT1_PS2_il
	.p2align	8
	.type	_ZN5aiter23act_and_mul_bias_kernelItthfTnPFfRKT2_EXadL_ZNS_11gelu_kernelIfEEfRKT_EELi1EEEvPT0_PS8_PKT1_PS2_il,@function
_ZN5aiter23act_and_mul_bias_kernelItthfTnPFfRKT2_EXadL_ZNS_11gelu_kernelIfEEfRKT_EELi1EEEvPT0_PS8_PKT1_PS2_il: ; @_ZN5aiter23act_and_mul_bias_kernelItthfTnPFfRKT2_EXadL_ZNS_11gelu_kernelIfEEfRKT_EELi1EEEvPT0_PS8_PKT1_PS2_il
; %bb.0:
	s_load_dwordx2 s[4:5], s[0:1], 0x10
	s_load_dword s20, s[0:1], 0x20
	s_load_dwordx2 s[8:9], s[0:1], 0x28
	v_mov_b32_e32 v1, s2
	s_load_dwordx2 s[14:15], s[0:1], 0x0
	s_waitcnt lgkmcnt(0)
	global_load_ubyte v1, v1, s[4:5]
	s_add_i32 s3, s20, 1
	s_ashr_i32 s21, s20, 31
	v_mov_b64_e32 v[2:3], s[8:9]
	s_lshr_b32 s8, s3, 31
	s_mul_hi_u32 s6, s20, s2
	s_mul_i32 s9, s21, s2
	s_add_i32 s3, s3, s8
	s_mul_i32 s10, s20, s2
	s_add_i32 s11, s6, s9
	s_lshl_b32 s3, s3, 1
	s_lshl_b64 s[8:9], s[10:11], 1
	s_and_b32 s10, s3, -4
	s_mov_b32 s7, 0
	s_mov_b64 s[12:13], -1
	v_cmp_gt_i32_e64 s[4:5], s20, v0
	s_waitcnt vmcnt(0)
	v_readfirstlane_b32 s3, v1
	s_and_b32 s6, s3, 0xffff
	s_add_u32 s8, s14, s8
	v_cmp_lt_i64_e32 vcc, s[6:7], v[2:3]
	s_addc_u32 s3, s15, s9
	s_and_b32 s9, s3, 0xffff
	s_cbranch_vccnz .LBB378_5
; %bb.1:
	s_and_saveexec_b64 s[12:13], s[4:5]
	s_cbranch_execz .LBB378_4
; %bb.2:
	s_load_dword s3, s[0:1], 0x3c
	v_mov_b32_e32 v1, 0
	s_mov_b32 s5, 0
	v_lshlrev_b32_e32 v4, 1, v0
	s_mov_b64 s[14:15], 0
	s_waitcnt lgkmcnt(0)
	s_and_b32 s4, s3, 0xffff
	s_lshl_b32 s3, s4, 1
	s_mov_b32 s11, 0x20000
	v_mov_b64_e32 v[2:3], v[0:1]
.LBB378_3:                              ; =>This Inner Loop Header: Depth=1
	v_lshl_add_u64 v[2:3], v[2:3], 0, s[4:5]
	v_cmp_le_i64_e32 vcc, s[20:21], v[2:3]
	buffer_store_short v1, v4, s[8:11], 0 offen
	s_or_b64 s[14:15], vcc, s[14:15]
	v_add_u32_e32 v4, s3, v4
	s_andn2_b64 exec, exec, s[14:15]
	s_cbranch_execnz .LBB378_3
.LBB378_4:
	s_or_b64 exec, exec, s[12:13]
	s_mov_b64 s[12:13], 0
.LBB378_5:
	s_andn2_b64 vcc, exec, s[12:13]
	s_cbranch_vccnz .LBB378_13
; %bb.6:
	v_cmp_gt_i32_e32 vcc, s20, v0
	s_and_saveexec_b64 s[4:5], vcc
	s_cbranch_execz .LBB378_13
; %bb.7:
	s_load_dwordx2 s[12:13], s[0:1], 0x8
	s_load_dwordx2 s[4:5], s[0:1], 0x18
	s_mul_hi_i32 s7, s20, s6
	s_mul_i32 s6, s20, s6
	s_lshl_b64 s[6:7], s[6:7], 3
	s_load_dword s14, s[0:1], 0x3c
	s_waitcnt lgkmcnt(0)
	s_add_u32 s4, s4, s6
	s_addc_u32 s3, s5, s7
	s_lshl_b64 s[0:1], s[20:21], 2
	s_add_u32 s0, s4, s0
	s_addc_u32 s1, s3, s1
	s_and_b32 s5, s3, 0xffff
	s_mul_i32 s3, s2, s21
	s_mul_hi_u32 s15, s2, s20
	s_add_i32 s3, s15, s3
	s_mul_i32 s2, s2, s20
	s_lshl_b32 s6, s20, 2
	s_and_b32 s1, s1, 0xffff
	s_lshl_b64 s[2:3], s[2:3], 2
	s_add_u32 s12, s12, s2
	s_addc_u32 s13, s13, s3
	s_lshl_b64 s[2:3], s[20:21], 1
	s_add_u32 s16, s12, s2
	s_mov_b32 s11, 0x20000
	s_addc_u32 s2, s13, s3
	s_and_b32 s22, s14, 0xffff
                                        ; implicit-def: $vgpr5
                                        ; implicit-def: $vgpr5
	;; [unrolled: 1-line block ×4, first 2 shown]
	s_mov_b32 s7, s11
	s_and_b32 s13, s13, 0xffff
	s_mov_b64 s[18:19], s[10:11]
	s_and_b32 s17, s2, 0xffff
	s_mov_b32 s23, 0
	v_mov_b32_e32 v1, 0
	v_lshlrev_b32_e32 v2, 2, v0
	s_lshl_b32 s26, s22, 2
	v_lshlrev_b32_e32 v3, 1, v0
	s_lshl_b32 s27, s22, 1
	s_mov_b64 s[24:25], 0
	s_mov_b32 s14, s10
	s_mov_b32 s15, s11
	;; [unrolled: 1-line block ×11, first 2 shown]
	v_mov_b32_e32 v4, 0x3ba10414
	s_brev_b32 s38, -2
	v_mov_b32_e32 v5, 0xb9c68948
	v_mov_b32_e32 v6, 0x7f800000
	s_branch .LBB378_9
.LBB378_8:                              ;   in Loop: Header=BB378_9 Depth=1
	s_or_b64 exec, exec, s[2:3]
	v_lshlrev_b32_e32 v7, 16, v7
	s_waitcnt vmcnt(0)
	v_add_f32_e32 v7, v7, v8
	v_mul_f32_e32 v8, 0.5, v9
	v_bfi_b32 v9, s38, v11, v10
	v_add_f32_e32 v9, 1.0, v9
	v_mul_f32_e32 v8, v8, v9
	v_mul_f32_e32 v7, v7, v8
	v_lshl_add_u64 v[0:1], v[0:1], 0, s[22:23]
	v_lshrrev_b32_e32 v7, 16, v7
	v_cmp_le_i64_e32 vcc, s[20:21], v[0:1]
	buffer_store_short v7, v3, s[8:11], 0 offen
	v_add_u32_e32 v2, s26, v2
	s_or_b64 s[24:25], vcc, s[24:25]
	v_add_u32_e32 v3, s27, v3
	s_andn2_b64 exec, exec, s[24:25]
	s_cbranch_execz .LBB378_13
.LBB378_9:                              ; =>This Inner Loop Header: Depth=1
	buffer_load_ushort v9, v3, s[12:15], 0 offen
	buffer_load_ushort v7, v3, s[16:19], 0 offen
	buffer_load_dword v10, v2, s[4:7], 0 offen
	s_mov_b32 s2, s6
	s_mov_b32 s3, s7
	buffer_load_dword v8, v2, s[0:3], 0 offen
                                        ; implicit-def: $vgpr11
	s_waitcnt vmcnt(3)
	v_lshlrev_b32_e32 v9, 16, v9
	s_waitcnt vmcnt(1)
	v_add_f32_e32 v9, v9, v10
	v_mul_f32_e32 v10, 0x3f3504f3, v9
	v_cmp_nlt_f32_e64 s[2:3], |v10|, 1.0
	s_and_saveexec_b64 s[40:41], s[2:3]
	s_xor_b64 s[2:3], exec, s[40:41]
	s_cbranch_execz .LBB378_11
; %bb.10:                               ;   in Loop: Header=BB378_9 Depth=1
	v_fma_f32 v11, |v10|, s28, v5
	v_fma_f32 v11, |v10|, v11, s29
	;; [unrolled: 1-line block ×6, first 2 shown]
	v_fma_f32 v11, |v10|, v11, |v10|
	v_mul_f32_e32 v12, 0xbfb8aa3b, v11
	v_fma_f32 v13, v11, s35, -v12
	v_rndne_f32_e32 v14, v12
	v_fmac_f32_e32 v13, 0xb2a5705f, v11
	v_sub_f32_e32 v12, v12, v14
	v_add_f32_e32 v12, v12, v13
	v_cvt_i32_f32_e32 v13, v14
	v_exp_f32_e32 v12, v12
	v_cmp_nlt_f32_e32 vcc, s36, v11
	v_ldexp_f32 v12, v12, v13
	s_nop 0
	v_cndmask_b32_e32 v12, 0, v12, vcc
	v_cmp_ngt_f32_e32 vcc, s37, v11
	s_nop 1
	v_cndmask_b32_e32 v11, v6, v12, vcc
	v_sub_f32_e32 v11, 1.0, v11
.LBB378_11:                             ;   in Loop: Header=BB378_9 Depth=1
	s_andn2_saveexec_b64 s[2:3], s[2:3]
	s_cbranch_execz .LBB378_8
; %bb.12:                               ;   in Loop: Header=BB378_9 Depth=1
	v_mul_f32_e32 v11, v10, v10
	v_fmamk_f32 v12, v11, 0xba1345e1, v4
	v_fmaak_f32 v12, v11, v12, 0xbcdac9b8
	v_fmaak_f32 v12, v11, v12, 0x3de703be
	v_fmaak_f32 v12, v11, v12, 0xbec09330
	v_fmaak_f32 v11, v11, v12, 0x3e0375d0
	v_fma_f32 v11, |v10|, v11, |v10|
	s_branch .LBB378_8
.LBB378_13:
	s_endpgm
	.section	.rodata,"a",@progbits
	.p2align	6, 0x0
	.amdhsa_kernel _ZN5aiter23act_and_mul_bias_kernelItthfTnPFfRKT2_EXadL_ZNS_11gelu_kernelIfEEfRKT_EELi1EEEvPT0_PS8_PKT1_PS2_il
		.amdhsa_group_segment_fixed_size 0
		.amdhsa_private_segment_fixed_size 0
		.amdhsa_kernarg_size 304
		.amdhsa_user_sgpr_count 2
		.amdhsa_user_sgpr_dispatch_ptr 0
		.amdhsa_user_sgpr_queue_ptr 0
		.amdhsa_user_sgpr_kernarg_segment_ptr 1
		.amdhsa_user_sgpr_dispatch_id 0
		.amdhsa_user_sgpr_kernarg_preload_length 0
		.amdhsa_user_sgpr_kernarg_preload_offset 0
		.amdhsa_user_sgpr_private_segment_size 0
		.amdhsa_uses_dynamic_stack 0
		.amdhsa_enable_private_segment 0
		.amdhsa_system_sgpr_workgroup_id_x 1
		.amdhsa_system_sgpr_workgroup_id_y 0
		.amdhsa_system_sgpr_workgroup_id_z 0
		.amdhsa_system_sgpr_workgroup_info 0
		.amdhsa_system_vgpr_workitem_id 0
		.amdhsa_next_free_vgpr 15
		.amdhsa_next_free_sgpr 42
		.amdhsa_accum_offset 16
		.amdhsa_reserve_vcc 1
		.amdhsa_float_round_mode_32 0
		.amdhsa_float_round_mode_16_64 0
		.amdhsa_float_denorm_mode_32 3
		.amdhsa_float_denorm_mode_16_64 3
		.amdhsa_dx10_clamp 1
		.amdhsa_ieee_mode 1
		.amdhsa_fp16_overflow 0
		.amdhsa_tg_split 0
		.amdhsa_exception_fp_ieee_invalid_op 0
		.amdhsa_exception_fp_denorm_src 0
		.amdhsa_exception_fp_ieee_div_zero 0
		.amdhsa_exception_fp_ieee_overflow 0
		.amdhsa_exception_fp_ieee_underflow 0
		.amdhsa_exception_fp_ieee_inexact 0
		.amdhsa_exception_int_div_zero 0
	.end_amdhsa_kernel
	.section	.text._ZN5aiter23act_and_mul_bias_kernelItthfTnPFfRKT2_EXadL_ZNS_11gelu_kernelIfEEfRKT_EELi1EEEvPT0_PS8_PKT1_PS2_il,"axG",@progbits,_ZN5aiter23act_and_mul_bias_kernelItthfTnPFfRKT2_EXadL_ZNS_11gelu_kernelIfEEfRKT_EELi1EEEvPT0_PS8_PKT1_PS2_il,comdat
.Lfunc_end378:
	.size	_ZN5aiter23act_and_mul_bias_kernelItthfTnPFfRKT2_EXadL_ZNS_11gelu_kernelIfEEfRKT_EELi1EEEvPT0_PS8_PKT1_PS2_il, .Lfunc_end378-_ZN5aiter23act_and_mul_bias_kernelItthfTnPFfRKT2_EXadL_ZNS_11gelu_kernelIfEEfRKT_EELi1EEEvPT0_PS8_PKT1_PS2_il
                                        ; -- End function
	.section	.AMDGPU.csdata,"",@progbits
; Kernel info:
; codeLenInByte = 948
; NumSgprs: 48
; NumVgprs: 15
; NumAgprs: 0
; TotalNumVgprs: 15
; ScratchSize: 0
; MemoryBound: 0
; FloatMode: 240
; IeeeMode: 1
; LDSByteSize: 0 bytes/workgroup (compile time only)
; SGPRBlocks: 5
; VGPRBlocks: 1
; NumSGPRsForWavesPerEU: 48
; NumVGPRsForWavesPerEU: 15
; AccumOffset: 16
; Occupancy: 8
; WaveLimiterHint : 0
; COMPUTE_PGM_RSRC2:SCRATCH_EN: 0
; COMPUTE_PGM_RSRC2:USER_SGPR: 2
; COMPUTE_PGM_RSRC2:TRAP_HANDLER: 0
; COMPUTE_PGM_RSRC2:TGID_X_EN: 1
; COMPUTE_PGM_RSRC2:TGID_Y_EN: 0
; COMPUTE_PGM_RSRC2:TGID_Z_EN: 0
; COMPUTE_PGM_RSRC2:TIDIG_COMP_CNT: 0
; COMPUTE_PGM_RSRC3_GFX90A:ACCUM_OFFSET: 3
; COMPUTE_PGM_RSRC3_GFX90A:TG_SPLIT: 0
	.section	.text._ZN5aiter23act_and_mul_bias_kernelIftafTnPFfRKT2_EXadL_ZNS_11gelu_kernelIfEEfRKT_EELi16EEEvPT0_PS8_PKT1_PS2_il,"axG",@progbits,_ZN5aiter23act_and_mul_bias_kernelIftafTnPFfRKT2_EXadL_ZNS_11gelu_kernelIfEEfRKT_EELi16EEEvPT0_PS8_PKT1_PS2_il,comdat
	.protected	_ZN5aiter23act_and_mul_bias_kernelIftafTnPFfRKT2_EXadL_ZNS_11gelu_kernelIfEEfRKT_EELi16EEEvPT0_PS8_PKT1_PS2_il ; -- Begin function _ZN5aiter23act_and_mul_bias_kernelIftafTnPFfRKT2_EXadL_ZNS_11gelu_kernelIfEEfRKT_EELi16EEEvPT0_PS8_PKT1_PS2_il
	.globl	_ZN5aiter23act_and_mul_bias_kernelIftafTnPFfRKT2_EXadL_ZNS_11gelu_kernelIfEEfRKT_EELi16EEEvPT0_PS8_PKT1_PS2_il
	.p2align	8
	.type	_ZN5aiter23act_and_mul_bias_kernelIftafTnPFfRKT2_EXadL_ZNS_11gelu_kernelIfEEfRKT_EELi16EEEvPT0_PS8_PKT1_PS2_il,@function
_ZN5aiter23act_and_mul_bias_kernelIftafTnPFfRKT2_EXadL_ZNS_11gelu_kernelIfEEfRKT_EELi16EEEvPT0_PS8_PKT1_PS2_il: ; @_ZN5aiter23act_and_mul_bias_kernelIftafTnPFfRKT2_EXadL_ZNS_11gelu_kernelIfEEfRKT_EELi16EEEvPT0_PS8_PKT1_PS2_il
; %bb.0:
	s_load_dwordx2 s[4:5], s[0:1], 0x10
	s_load_dword s24, s[0:1], 0x20
	s_load_dwordx2 s[6:7], s[0:1], 0x28
	v_mov_b32_e32 v1, s2
	s_mov_b32 s9, 0
	s_waitcnt lgkmcnt(0)
	global_load_ubyte v1, v1, s[4:5]
	s_ashr_i32 s25, s24, 31
	s_load_dwordx2 s[4:5], s[0:1], 0x0
	s_mul_hi_u32 s3, s24, s2
	v_mov_b64_e32 v[2:3], s[6:7]
	s_mul_i32 s6, s25, s2
	s_add_i32 s13, s3, s6
	s_mul_i32 s12, s24, s2
	s_lshl_b64 s[6:7], s[12:13], 1
	s_mov_b64 s[10:11], -1
	v_lshlrev_b32_e32 v64, 4, v0
	s_waitcnt vmcnt(0)
	v_readfirstlane_b32 s3, v1
	s_nop 1
	v_mov_b32_e32 v4, s3
	s_sext_i32_i8 s3, s3
	v_readfirstlane_b32 s8, v4
	s_bfe_i64 s[8:9], s[8:9], 0x80000
	s_waitcnt lgkmcnt(0)
	s_add_u32 s4, s4, s6
	s_addc_u32 s5, s5, s7
	s_add_i32 s6, s24, 1
	s_lshr_b32 s7, s6, 31
	s_add_i32 s6, s6, s7
	s_lshl_b32 s6, s6, 1
	s_and_b32 s5, s5, 0xffff
	s_and_b32 s6, s6, -4
	s_cmp_gt_i32 s3, -1
	v_cmp_lt_i64_e32 vcc, s[8:9], v[2:3]
	s_cselect_b64 s[12:13], -1, 0
	s_and_b64 s[12:13], s[12:13], vcc
	s_and_b64 vcc, exec, s[12:13]
	s_cbranch_vccnz .LBB379_5
; %bb.1:
	v_cmp_gt_i32_e32 vcc, s24, v64
	s_and_saveexec_b64 s[10:11], vcc
	s_cbranch_execz .LBB379_4
; %bb.2:
	s_load_dword s3, s[0:1], 0x3c
	s_mov_b32 s13, 0
	s_mov_b32 s16, s13
	;; [unrolled: 1-line block ×3, first 2 shown]
	v_mov_b32_e32 v65, 0
	v_lshlrev_b32_e32 v6, 5, v0
	s_waitcnt lgkmcnt(0)
	s_and_b32 s3, s3, 0xffff
	s_mov_b32 s18, s13
	s_mov_b32 s19, s13
	v_mov_b64_e32 v[0:1], s[16:17]
	s_lshl_b32 s12, s3, 4
	s_lshl_b32 s3, s3, 5
	s_mov_b64 s[14:15], 0
	s_mov_b32 s7, 0x20000
	v_mov_b64_e32 v[2:3], s[18:19]
	v_mov_b64_e32 v[4:5], v[64:65]
.LBB379_3:                              ; =>This Inner Loop Header: Depth=1
	v_lshl_add_u64 v[4:5], s[12:13], 0, v[4:5]
	v_cmp_le_i64_e32 vcc, s[24:25], v[4:5]
	buffer_store_dwordx4 v[0:3], v6, s[4:7], 0 offen
	buffer_store_dwordx4 v[0:3], v6, s[4:7], 16 offen
	s_or_b64 s[14:15], vcc, s[14:15]
	v_add_u32_e32 v6, s3, v6
	s_andn2_b64 exec, exec, s[14:15]
	s_cbranch_execnz .LBB379_3
.LBB379_4:
	s_or_b64 exec, exec, s[10:11]
	s_mov_b64 s[10:11], 0
.LBB379_5:
	s_andn2_b64 vcc, exec, s[10:11]
	s_cbranch_vccnz .LBB379_73
; %bb.6:
	v_cmp_gt_i32_e32 vcc, s24, v64
	s_and_saveexec_b64 s[10:11], vcc
	s_cbranch_execz .LBB379_73
; %bb.7:
	s_load_dwordx2 s[14:15], s[0:1], 0x8
	s_load_dwordx2 s[12:13], s[0:1], 0x18
	s_mul_hi_i32 s9, s24, s8
	s_mul_i32 s8, s24, s8
	s_lshl_b32 s10, s24, 2
	s_lshl_b64 s[8:9], s[8:9], 3
	s_waitcnt lgkmcnt(0)
	s_add_u32 s8, s12, s8
	s_addc_u32 s7, s13, s9
	s_lshl_b64 s[18:19], s[24:25], 2
	s_add_u32 s12, s8, s18
	s_mul_i32 s16, s2, s25
	s_mul_hi_u32 s17, s2, s24
	s_addc_u32 s13, s7, s19
	s_add_i32 s17, s17, s16
	s_mul_i32 s16, s2, s24
	s_and_b32 s9, s7, 0xffff
	s_and_b32 s13, s13, 0xffff
	s_lshl_b64 s[16:17], s[16:17], 3
	s_add_u32 s16, s14, s16
	s_addc_u32 s2, s15, s17
	s_add_u32 s20, s16, s18
	s_addc_u32 s14, s2, s19
	s_and_b32 s17, s2, 0xffff
	s_and_b32 s21, s14, 0xffff
	s_mov_b32 s7, 0x20000
	s_add_u32 s0, s0, 48
	s_mov_b32 s3, 0
	s_mov_b32 s11, s7
	v_mov_b32_e32 v65, 0
	s_addc_u32 s1, s1, 0
	s_mov_b64 s[26:27], 0
	s_mov_b32 s18, s10
	s_mov_b32 s19, s7
	;; [unrolled: 1-line block ×11, first 2 shown]
	v_mov_b32_e32 v66, 0x3ba10414
	s_brev_b32 s38, -2
	s_mov_b32 s39, 0x7060302
	s_mov_b32 s22, s10
	;; [unrolled: 1-line block ×3, first 2 shown]
	v_mov_b32_e32 v67, 0xb9c68948
	v_mov_b32_e32 v68, 0x7f800000
                                        ; implicit-def: $vgpr0
                                        ; implicit-def: $vgpr0
	;; [unrolled: 1-line block ×4, first 2 shown]
	s_branch .LBB379_9
.LBB379_8:                              ;   in Loop: Header=BB379_9 Depth=1
	s_or_b64 exec, exec, s[14:15]
	v_bfi_b32 v5, s38, v8, v5
	v_mul_f32_e32 v4, 0.5, v4
	v_add_f32_e32 v5, 1.0, v5
	v_add_f32_e32 v2, v2, v6
	v_bfi_b32 v6, s38, v11, v10
	v_mul_f32_e32 v4, v4, v5
	v_mul_f32_e32 v5, 0.5, v9
	v_add_f32_e32 v6, 1.0, v6
	v_add_f32_e32 v3, v3, v7
	v_mul_f32_e32 v5, v5, v6
	;;#ASMSTART
	v_pk_mul_f32 v[6:7], v[4:5], v[2:3]
	;;#ASMEND
	s_load_dword s2, s[0:1], 0xc
	v_lshlrev_b32_e32 v8, 1, v64
	v_perm_b32 v5, v35, v34, s39
	v_perm_b32 v4, v33, v32, s39
	;; [unrolled: 1-line block ×3, first 2 shown]
	s_waitcnt lgkmcnt(0)
	s_and_b32 s2, s2, 0xffff
	s_lshl_b32 s2, s2, 4
	v_lshl_add_u64 v[64:65], s[2:3], 0, v[64:65]
	v_perm_b32 v2, v49, v48, s39
	v_cmp_le_i64_e32 vcc, s[24:25], v[64:65]
	buffer_store_dwordx4 v[2:5], v8, s[4:7], 0 offen
	s_or_b64 s[26:27], vcc, s[26:27]
	s_nop 0
	v_perm_b32 v3, v7, v6, s39
	v_perm_b32 v2, v1, v0, s39
	;; [unrolled: 1-line block ×4, first 2 shown]
	buffer_store_dwordx4 v[0:3], v8, s[4:7], 16 offen
	s_andn2_b64 exec, exec, s[26:27]
	s_cbranch_execz .LBB379_73
.LBB379_9:                              ; =>This Inner Loop Header: Depth=1
	v_lshlrev_b32_e32 v4, 2, v64
	s_mov_b32 s14, s10
	s_mov_b32 s15, s11
	buffer_load_dwordx4 v[56:59], v4, s[16:19], 0 offen
	buffer_load_dwordx4 v[40:43], v4, s[16:19], 16 offen
	;; [unrolled: 1-line block ×15, first 2 shown]
	s_nop 0
	buffer_load_dwordx4 v[4:7], v4, s[12:15], 48 offen
                                        ; implicit-def: $vgpr69
	s_waitcnt vmcnt(7)
	v_add_f32_e32 v56, v56, v60
	v_mul_f32_e32 v60, 0x3f3504f3, v56
	v_cmp_nlt_f32_e64 s[14:15], |v60|, 1.0
	s_and_saveexec_b64 s[40:41], s[14:15]
	s_xor_b64 s[14:15], exec, s[40:41]
	s_cbranch_execz .LBB379_11
; %bb.10:                               ;   in Loop: Header=BB379_9 Depth=1
	v_fma_f32 v69, |v60|, s28, v67
	v_fma_f32 v69, |v60|, v69, s29
	;; [unrolled: 1-line block ×6, first 2 shown]
	v_fma_f32 v69, |v60|, v69, |v60|
	v_mul_f32_e32 v70, 0xbfb8aa3b, v69
	v_fma_f32 v71, v69, s35, -v70
	v_rndne_f32_e32 v72, v70
	v_fmac_f32_e32 v71, 0xb2a5705f, v69
	v_sub_f32_e32 v70, v70, v72
	v_add_f32_e32 v70, v70, v71
	v_cvt_i32_f32_e32 v71, v72
	v_exp_f32_e32 v70, v70
	v_cmp_nlt_f32_e32 vcc, s36, v69
	v_ldexp_f32 v70, v70, v71
	s_nop 0
	v_cndmask_b32_e32 v70, 0, v70, vcc
	v_cmp_ngt_f32_e32 vcc, s37, v69
	s_nop 1
	v_cndmask_b32_e32 v69, v68, v70, vcc
	v_sub_f32_e32 v69, 1.0, v69
.LBB379_11:                             ;   in Loop: Header=BB379_9 Depth=1
	s_andn2_saveexec_b64 s[14:15], s[14:15]
; %bb.12:                               ;   in Loop: Header=BB379_9 Depth=1
	v_mul_f32_e32 v69, v60, v60
	v_fmamk_f32 v70, v69, 0xba1345e1, v66
	v_fmaak_f32 v70, v69, v70, 0xbcdac9b8
	v_fmaak_f32 v70, v69, v70, 0x3de703be
	;; [unrolled: 1-line block ×4, first 2 shown]
	v_fma_f32 v69, |v60|, v69, |v60|
; %bb.13:                               ;   in Loop: Header=BB379_9 Depth=1
	s_or_b64 exec, exec, s[14:15]
	v_add_f32_e32 v57, v57, v61
	v_mul_f32_e32 v61, 0x3f3504f3, v57
	v_cmp_nlt_f32_e64 s[14:15], |v61|, 1.0
                                        ; implicit-def: $vgpr70
	s_and_saveexec_b64 s[40:41], s[14:15]
	s_xor_b64 s[14:15], exec, s[40:41]
	s_cbranch_execz .LBB379_15
; %bb.14:                               ;   in Loop: Header=BB379_9 Depth=1
	v_fma_f32 v70, |v61|, s28, v67
	v_fma_f32 v70, |v61|, v70, s29
	;; [unrolled: 1-line block ×6, first 2 shown]
	v_fma_f32 v70, |v61|, v70, |v61|
	v_mul_f32_e32 v71, 0xbfb8aa3b, v70
	v_fma_f32 v72, v70, s35, -v71
	v_rndne_f32_e32 v73, v71
	v_fmac_f32_e32 v72, 0xb2a5705f, v70
	v_sub_f32_e32 v71, v71, v73
	v_add_f32_e32 v71, v71, v72
	v_cvt_i32_f32_e32 v72, v73
	v_exp_f32_e32 v71, v71
	v_cmp_nlt_f32_e32 vcc, s36, v70
	v_ldexp_f32 v71, v71, v72
	s_nop 0
	v_cndmask_b32_e32 v71, 0, v71, vcc
	v_cmp_ngt_f32_e32 vcc, s37, v70
	s_nop 1
	v_cndmask_b32_e32 v70, v68, v71, vcc
	v_sub_f32_e32 v70, 1.0, v70
.LBB379_15:                             ;   in Loop: Header=BB379_9 Depth=1
	s_andn2_saveexec_b64 s[14:15], s[14:15]
; %bb.16:                               ;   in Loop: Header=BB379_9 Depth=1
	v_mul_f32_e32 v70, v61, v61
	v_fmamk_f32 v71, v70, 0xba1345e1, v66
	v_fmaak_f32 v71, v70, v71, 0xbcdac9b8
	v_fmaak_f32 v71, v70, v71, 0x3de703be
	v_fmaak_f32 v71, v70, v71, 0xbec09330
	v_fmaak_f32 v70, v70, v71, 0x3e0375d0
	v_fma_f32 v70, |v61|, v70, |v61|
; %bb.17:                               ;   in Loop: Header=BB379_9 Depth=1
	s_or_b64 exec, exec, s[14:15]
	s_waitcnt vmcnt(3)
	v_add_f32_e32 v49, v49, v53
	v_bfi_b32 v53, s38, v70, v61
	v_add_f32_e32 v48, v48, v52
	v_mul_f32_e32 v52, 0.5, v57
	v_add_f32_e32 v53, 1.0, v53
	v_bfi_b32 v60, s38, v69, v60
	v_mul_f32_e32 v57, v52, v53
	v_add_f32_e32 v52, v58, v62
	v_mul_f32_e32 v56, 0.5, v56
	v_add_f32_e32 v60, 1.0, v60
	v_mul_f32_e32 v53, 0x3f3504f3, v52
	v_mul_f32_e32 v56, v56, v60
	v_cmp_nlt_f32_e64 s[14:15], |v53|, 1.0
	;;#ASMSTART
	v_pk_mul_f32 v[48:49], v[56:57], v[48:49]
	;;#ASMEND
                                        ; implicit-def: $vgpr56
	s_and_saveexec_b64 s[40:41], s[14:15]
	s_xor_b64 s[14:15], exec, s[40:41]
	s_cbranch_execz .LBB379_19
; %bb.18:                               ;   in Loop: Header=BB379_9 Depth=1
	v_fma_f32 v56, |v53|, s28, v67
	v_fma_f32 v56, |v53|, v56, s29
	;; [unrolled: 1-line block ×6, first 2 shown]
	v_fma_f32 v56, |v53|, v56, |v53|
	v_mul_f32_e32 v57, 0xbfb8aa3b, v56
	v_fma_f32 v58, v56, s35, -v57
	v_rndne_f32_e32 v60, v57
	v_fmac_f32_e32 v58, 0xb2a5705f, v56
	v_sub_f32_e32 v57, v57, v60
	v_add_f32_e32 v57, v57, v58
	v_cvt_i32_f32_e32 v58, v60
	v_exp_f32_e32 v57, v57
	v_cmp_nlt_f32_e32 vcc, s36, v56
	v_ldexp_f32 v57, v57, v58
	s_nop 0
	v_cndmask_b32_e32 v57, 0, v57, vcc
	v_cmp_ngt_f32_e32 vcc, s37, v56
	s_nop 1
	v_cndmask_b32_e32 v56, v68, v57, vcc
	v_sub_f32_e32 v56, 1.0, v56
.LBB379_19:                             ;   in Loop: Header=BB379_9 Depth=1
	s_andn2_saveexec_b64 s[14:15], s[14:15]
; %bb.20:                               ;   in Loop: Header=BB379_9 Depth=1
	v_mul_f32_e32 v56, v53, v53
	v_fmamk_f32 v57, v56, 0xba1345e1, v66
	v_fmaak_f32 v57, v56, v57, 0xbcdac9b8
	v_fmaak_f32 v57, v56, v57, 0x3de703be
	;; [unrolled: 1-line block ×4, first 2 shown]
	v_fma_f32 v56, |v53|, v56, |v53|
; %bb.21:                               ;   in Loop: Header=BB379_9 Depth=1
	s_or_b64 exec, exec, s[14:15]
	v_add_f32_e32 v57, v59, v63
	v_mul_f32_e32 v58, 0x3f3504f3, v57
	v_cmp_nlt_f32_e64 s[14:15], |v58|, 1.0
                                        ; implicit-def: $vgpr59
	s_and_saveexec_b64 s[40:41], s[14:15]
	s_xor_b64 s[14:15], exec, s[40:41]
	s_cbranch_execz .LBB379_23
; %bb.22:                               ;   in Loop: Header=BB379_9 Depth=1
	v_fma_f32 v59, |v58|, s28, v67
	v_fma_f32 v59, |v58|, v59, s29
	;; [unrolled: 1-line block ×6, first 2 shown]
	v_fma_f32 v59, |v58|, v59, |v58|
	v_mul_f32_e32 v60, 0xbfb8aa3b, v59
	v_fma_f32 v61, v59, s35, -v60
	v_rndne_f32_e32 v62, v60
	v_fmac_f32_e32 v61, 0xb2a5705f, v59
	v_sub_f32_e32 v60, v60, v62
	v_add_f32_e32 v60, v60, v61
	v_cvt_i32_f32_e32 v61, v62
	v_exp_f32_e32 v60, v60
	v_cmp_nlt_f32_e32 vcc, s36, v59
	v_ldexp_f32 v60, v60, v61
	s_nop 0
	v_cndmask_b32_e32 v60, 0, v60, vcc
	v_cmp_ngt_f32_e32 vcc, s37, v59
	s_nop 1
	v_cndmask_b32_e32 v59, v68, v60, vcc
	v_sub_f32_e32 v59, 1.0, v59
.LBB379_23:                             ;   in Loop: Header=BB379_9 Depth=1
	s_andn2_saveexec_b64 s[14:15], s[14:15]
; %bb.24:                               ;   in Loop: Header=BB379_9 Depth=1
	v_mul_f32_e32 v59, v58, v58
	v_fmamk_f32 v60, v59, 0xba1345e1, v66
	v_fmaak_f32 v60, v59, v60, 0xbcdac9b8
	v_fmaak_f32 v60, v59, v60, 0x3de703be
	;; [unrolled: 1-line block ×4, first 2 shown]
	v_fma_f32 v59, |v58|, v59, |v58|
; %bb.25:                               ;   in Loop: Header=BB379_9 Depth=1
	s_or_b64 exec, exec, s[14:15]
	v_bfi_b32 v53, s38, v56, v53
	v_add_f32_e32 v40, v40, v44
	v_mul_f32_e32 v52, 0.5, v52
	v_add_f32_e32 v53, 1.0, v53
	v_add_f32_e32 v50, v50, v54
	v_bfi_b32 v54, s38, v59, v58
	v_mul_f32_e32 v44, 0x3f3504f3, v40
	v_mul_f32_e32 v52, v52, v53
	v_add_f32_e32 v51, v51, v55
	v_mul_f32_e32 v53, 0.5, v57
	v_add_f32_e32 v54, 1.0, v54
	v_cmp_nlt_f32_e64 s[14:15], |v44|, 1.0
	v_mul_f32_e32 v53, v53, v54
	;;#ASMSTART
	v_pk_mul_f32 v[50:51], v[52:53], v[50:51]
	;;#ASMEND
                                        ; implicit-def: $vgpr52
	s_and_saveexec_b64 s[40:41], s[14:15]
	s_xor_b64 s[14:15], exec, s[40:41]
	s_cbranch_execz .LBB379_27
; %bb.26:                               ;   in Loop: Header=BB379_9 Depth=1
	v_fma_f32 v52, |v44|, s28, v67
	v_fma_f32 v52, |v44|, v52, s29
	;; [unrolled: 1-line block ×6, first 2 shown]
	v_fma_f32 v52, |v44|, v52, |v44|
	v_mul_f32_e32 v53, 0xbfb8aa3b, v52
	v_fma_f32 v54, v52, s35, -v53
	v_rndne_f32_e32 v55, v53
	v_fmac_f32_e32 v54, 0xb2a5705f, v52
	v_sub_f32_e32 v53, v53, v55
	v_add_f32_e32 v53, v53, v54
	v_cvt_i32_f32_e32 v54, v55
	v_exp_f32_e32 v53, v53
	v_cmp_nlt_f32_e32 vcc, s36, v52
	v_ldexp_f32 v53, v53, v54
	s_nop 0
	v_cndmask_b32_e32 v53, 0, v53, vcc
	v_cmp_ngt_f32_e32 vcc, s37, v52
	s_nop 1
	v_cndmask_b32_e32 v52, v68, v53, vcc
	v_sub_f32_e32 v52, 1.0, v52
.LBB379_27:                             ;   in Loop: Header=BB379_9 Depth=1
	s_andn2_saveexec_b64 s[14:15], s[14:15]
; %bb.28:                               ;   in Loop: Header=BB379_9 Depth=1
	v_mul_f32_e32 v52, v44, v44
	v_fmamk_f32 v53, v52, 0xba1345e1, v66
	v_fmaak_f32 v53, v52, v53, 0xbcdac9b8
	v_fmaak_f32 v53, v52, v53, 0x3de703be
	;; [unrolled: 1-line block ×4, first 2 shown]
	v_fma_f32 v52, |v44|, v52, |v44|
; %bb.29:                               ;   in Loop: Header=BB379_9 Depth=1
	s_or_b64 exec, exec, s[14:15]
	v_add_f32_e32 v41, v41, v45
	v_mul_f32_e32 v45, 0x3f3504f3, v41
	v_cmp_nlt_f32_e64 s[14:15], |v45|, 1.0
                                        ; implicit-def: $vgpr53
	s_and_saveexec_b64 s[40:41], s[14:15]
	s_xor_b64 s[14:15], exec, s[40:41]
	s_cbranch_execz .LBB379_31
; %bb.30:                               ;   in Loop: Header=BB379_9 Depth=1
	v_fma_f32 v53, |v45|, s28, v67
	v_fma_f32 v53, |v45|, v53, s29
	;; [unrolled: 1-line block ×6, first 2 shown]
	v_fma_f32 v53, |v45|, v53, |v45|
	v_mul_f32_e32 v54, 0xbfb8aa3b, v53
	v_fma_f32 v55, v53, s35, -v54
	v_rndne_f32_e32 v56, v54
	v_fmac_f32_e32 v55, 0xb2a5705f, v53
	v_sub_f32_e32 v54, v54, v56
	v_add_f32_e32 v54, v54, v55
	v_cvt_i32_f32_e32 v55, v56
	v_exp_f32_e32 v54, v54
	v_cmp_nlt_f32_e32 vcc, s36, v53
	v_ldexp_f32 v54, v54, v55
	s_nop 0
	v_cndmask_b32_e32 v54, 0, v54, vcc
	v_cmp_ngt_f32_e32 vcc, s37, v53
	s_nop 1
	v_cndmask_b32_e32 v53, v68, v54, vcc
	v_sub_f32_e32 v53, 1.0, v53
.LBB379_31:                             ;   in Loop: Header=BB379_9 Depth=1
	s_andn2_saveexec_b64 s[14:15], s[14:15]
; %bb.32:                               ;   in Loop: Header=BB379_9 Depth=1
	v_mul_f32_e32 v53, v45, v45
	v_fmamk_f32 v54, v53, 0xba1345e1, v66
	v_fmaak_f32 v54, v53, v54, 0xbcdac9b8
	v_fmaak_f32 v54, v53, v54, 0x3de703be
	;; [unrolled: 1-line block ×4, first 2 shown]
	v_fma_f32 v53, |v45|, v53, |v45|
; %bb.33:                               ;   in Loop: Header=BB379_9 Depth=1
	s_or_b64 exec, exec, s[14:15]
	s_waitcnt vmcnt(2)
	v_add_f32_e32 v33, v33, v37
	v_bfi_b32 v37, s38, v53, v45
	v_add_f32_e32 v32, v32, v36
	v_mul_f32_e32 v36, 0.5, v41
	v_add_f32_e32 v37, 1.0, v37
	v_bfi_b32 v44, s38, v52, v44
	v_mul_f32_e32 v41, v36, v37
	v_add_f32_e32 v36, v42, v46
	v_mul_f32_e32 v40, 0.5, v40
	v_add_f32_e32 v44, 1.0, v44
	v_mul_f32_e32 v37, 0x3f3504f3, v36
	v_mul_f32_e32 v40, v40, v44
	v_cmp_nlt_f32_e64 s[14:15], |v37|, 1.0
	;;#ASMSTART
	v_pk_mul_f32 v[32:33], v[40:41], v[32:33]
	;;#ASMEND
                                        ; implicit-def: $vgpr40
	s_and_saveexec_b64 s[40:41], s[14:15]
	s_xor_b64 s[14:15], exec, s[40:41]
	s_cbranch_execz .LBB379_35
; %bb.34:                               ;   in Loop: Header=BB379_9 Depth=1
	v_fma_f32 v40, |v37|, s28, v67
	v_fma_f32 v40, |v37|, v40, s29
	v_fma_f32 v40, |v37|, v40, s30
	v_fma_f32 v40, |v37|, v40, s31
	v_fma_f32 v40, |v37|, v40, s33
	v_fma_f32 v40, |v37|, v40, s34
	v_fma_f32 v40, |v37|, v40, |v37|
	v_mul_f32_e32 v41, 0xbfb8aa3b, v40
	v_fma_f32 v42, v40, s35, -v41
	v_rndne_f32_e32 v44, v41
	v_fmac_f32_e32 v42, 0xb2a5705f, v40
	v_sub_f32_e32 v41, v41, v44
	v_add_f32_e32 v41, v41, v42
	v_cvt_i32_f32_e32 v42, v44
	v_exp_f32_e32 v41, v41
	v_cmp_nlt_f32_e32 vcc, s36, v40
	v_ldexp_f32 v41, v41, v42
	s_nop 0
	v_cndmask_b32_e32 v41, 0, v41, vcc
	v_cmp_ngt_f32_e32 vcc, s37, v40
	s_nop 1
	v_cndmask_b32_e32 v40, v68, v41, vcc
	v_sub_f32_e32 v40, 1.0, v40
.LBB379_35:                             ;   in Loop: Header=BB379_9 Depth=1
	s_andn2_saveexec_b64 s[14:15], s[14:15]
; %bb.36:                               ;   in Loop: Header=BB379_9 Depth=1
	v_mul_f32_e32 v40, v37, v37
	v_fmamk_f32 v41, v40, 0xba1345e1, v66
	v_fmaak_f32 v41, v40, v41, 0xbcdac9b8
	v_fmaak_f32 v41, v40, v41, 0x3de703be
	;; [unrolled: 1-line block ×4, first 2 shown]
	v_fma_f32 v40, |v37|, v40, |v37|
; %bb.37:                               ;   in Loop: Header=BB379_9 Depth=1
	s_or_b64 exec, exec, s[14:15]
	v_add_f32_e32 v41, v43, v47
	v_mul_f32_e32 v42, 0x3f3504f3, v41
	v_cmp_nlt_f32_e64 s[14:15], |v42|, 1.0
                                        ; implicit-def: $vgpr43
	s_and_saveexec_b64 s[40:41], s[14:15]
	s_xor_b64 s[14:15], exec, s[40:41]
	s_cbranch_execz .LBB379_39
; %bb.38:                               ;   in Loop: Header=BB379_9 Depth=1
	v_fma_f32 v43, |v42|, s28, v67
	v_fma_f32 v43, |v42|, v43, s29
	;; [unrolled: 1-line block ×6, first 2 shown]
	v_fma_f32 v43, |v42|, v43, |v42|
	v_mul_f32_e32 v44, 0xbfb8aa3b, v43
	v_fma_f32 v45, v43, s35, -v44
	v_rndne_f32_e32 v46, v44
	v_fmac_f32_e32 v45, 0xb2a5705f, v43
	v_sub_f32_e32 v44, v44, v46
	v_add_f32_e32 v44, v44, v45
	v_cvt_i32_f32_e32 v45, v46
	v_exp_f32_e32 v44, v44
	v_cmp_nlt_f32_e32 vcc, s36, v43
	v_ldexp_f32 v44, v44, v45
	s_nop 0
	v_cndmask_b32_e32 v44, 0, v44, vcc
	v_cmp_ngt_f32_e32 vcc, s37, v43
	s_nop 1
	v_cndmask_b32_e32 v43, v68, v44, vcc
	v_sub_f32_e32 v43, 1.0, v43
.LBB379_39:                             ;   in Loop: Header=BB379_9 Depth=1
	s_andn2_saveexec_b64 s[14:15], s[14:15]
; %bb.40:                               ;   in Loop: Header=BB379_9 Depth=1
	v_mul_f32_e32 v43, v42, v42
	v_fmamk_f32 v44, v43, 0xba1345e1, v66
	v_fmaak_f32 v44, v43, v44, 0xbcdac9b8
	v_fmaak_f32 v44, v43, v44, 0x3de703be
	;; [unrolled: 1-line block ×4, first 2 shown]
	v_fma_f32 v43, |v42|, v43, |v42|
; %bb.41:                               ;   in Loop: Header=BB379_9 Depth=1
	s_or_b64 exec, exec, s[14:15]
	v_bfi_b32 v37, s38, v40, v37
	v_add_f32_e32 v24, v24, v28
	v_mul_f32_e32 v36, 0.5, v36
	v_add_f32_e32 v37, 1.0, v37
	v_add_f32_e32 v34, v34, v38
	v_bfi_b32 v38, s38, v43, v42
	v_mul_f32_e32 v28, 0x3f3504f3, v24
	v_mul_f32_e32 v36, v36, v37
	v_add_f32_e32 v35, v35, v39
	v_mul_f32_e32 v37, 0.5, v41
	v_add_f32_e32 v38, 1.0, v38
	v_cmp_nlt_f32_e64 s[14:15], |v28|, 1.0
	v_mul_f32_e32 v37, v37, v38
	;;#ASMSTART
	v_pk_mul_f32 v[34:35], v[36:37], v[34:35]
	;;#ASMEND
                                        ; implicit-def: $vgpr36
	s_and_saveexec_b64 s[40:41], s[14:15]
	s_xor_b64 s[14:15], exec, s[40:41]
	s_cbranch_execz .LBB379_43
; %bb.42:                               ;   in Loop: Header=BB379_9 Depth=1
	v_fma_f32 v36, |v28|, s28, v67
	v_fma_f32 v36, |v28|, v36, s29
	;; [unrolled: 1-line block ×6, first 2 shown]
	v_fma_f32 v36, |v28|, v36, |v28|
	v_mul_f32_e32 v37, 0xbfb8aa3b, v36
	v_fma_f32 v38, v36, s35, -v37
	v_rndne_f32_e32 v39, v37
	v_fmac_f32_e32 v38, 0xb2a5705f, v36
	v_sub_f32_e32 v37, v37, v39
	v_add_f32_e32 v37, v37, v38
	v_cvt_i32_f32_e32 v38, v39
	v_exp_f32_e32 v37, v37
	v_cmp_nlt_f32_e32 vcc, s36, v36
	v_ldexp_f32 v37, v37, v38
	s_nop 0
	v_cndmask_b32_e32 v37, 0, v37, vcc
	v_cmp_ngt_f32_e32 vcc, s37, v36
	s_nop 1
	v_cndmask_b32_e32 v36, v68, v37, vcc
	v_sub_f32_e32 v36, 1.0, v36
.LBB379_43:                             ;   in Loop: Header=BB379_9 Depth=1
	s_andn2_saveexec_b64 s[14:15], s[14:15]
; %bb.44:                               ;   in Loop: Header=BB379_9 Depth=1
	v_mul_f32_e32 v36, v28, v28
	v_fmamk_f32 v37, v36, 0xba1345e1, v66
	v_fmaak_f32 v37, v36, v37, 0xbcdac9b8
	v_fmaak_f32 v37, v36, v37, 0x3de703be
	;; [unrolled: 1-line block ×4, first 2 shown]
	v_fma_f32 v36, |v28|, v36, |v28|
; %bb.45:                               ;   in Loop: Header=BB379_9 Depth=1
	s_or_b64 exec, exec, s[14:15]
	v_add_f32_e32 v25, v25, v29
	v_mul_f32_e32 v29, 0x3f3504f3, v25
	v_cmp_nlt_f32_e64 s[14:15], |v29|, 1.0
                                        ; implicit-def: $vgpr37
	s_and_saveexec_b64 s[40:41], s[14:15]
	s_xor_b64 s[14:15], exec, s[40:41]
	s_cbranch_execz .LBB379_47
; %bb.46:                               ;   in Loop: Header=BB379_9 Depth=1
	v_fma_f32 v37, |v29|, s28, v67
	v_fma_f32 v37, |v29|, v37, s29
	;; [unrolled: 1-line block ×6, first 2 shown]
	v_fma_f32 v37, |v29|, v37, |v29|
	v_mul_f32_e32 v38, 0xbfb8aa3b, v37
	v_fma_f32 v39, v37, s35, -v38
	v_rndne_f32_e32 v40, v38
	v_fmac_f32_e32 v39, 0xb2a5705f, v37
	v_sub_f32_e32 v38, v38, v40
	v_add_f32_e32 v38, v38, v39
	v_cvt_i32_f32_e32 v39, v40
	v_exp_f32_e32 v38, v38
	v_cmp_nlt_f32_e32 vcc, s36, v37
	v_ldexp_f32 v38, v38, v39
	s_nop 0
	v_cndmask_b32_e32 v38, 0, v38, vcc
	v_cmp_ngt_f32_e32 vcc, s37, v37
	s_nop 1
	v_cndmask_b32_e32 v37, v68, v38, vcc
	v_sub_f32_e32 v37, 1.0, v37
.LBB379_47:                             ;   in Loop: Header=BB379_9 Depth=1
	s_andn2_saveexec_b64 s[14:15], s[14:15]
; %bb.48:                               ;   in Loop: Header=BB379_9 Depth=1
	v_mul_f32_e32 v37, v29, v29
	v_fmamk_f32 v38, v37, 0xba1345e1, v66
	v_fmaak_f32 v38, v37, v38, 0xbcdac9b8
	v_fmaak_f32 v38, v37, v38, 0x3de703be
	;; [unrolled: 1-line block ×4, first 2 shown]
	v_fma_f32 v37, |v29|, v37, |v29|
; %bb.49:                               ;   in Loop: Header=BB379_9 Depth=1
	s_or_b64 exec, exec, s[14:15]
	s_waitcnt vmcnt(1)
	v_add_f32_e32 v17, v17, v21
	v_bfi_b32 v21, s38, v37, v29
	v_add_f32_e32 v16, v16, v20
	v_mul_f32_e32 v20, 0.5, v25
	v_add_f32_e32 v21, 1.0, v21
	v_bfi_b32 v28, s38, v36, v28
	v_mul_f32_e32 v25, v20, v21
	v_add_f32_e32 v20, v26, v30
	v_mul_f32_e32 v24, 0.5, v24
	v_add_f32_e32 v28, 1.0, v28
	v_mul_f32_e32 v21, 0x3f3504f3, v20
	v_mul_f32_e32 v24, v24, v28
	v_cmp_nlt_f32_e64 s[14:15], |v21|, 1.0
	;;#ASMSTART
	v_pk_mul_f32 v[16:17], v[24:25], v[16:17]
	;;#ASMEND
                                        ; implicit-def: $vgpr24
	s_and_saveexec_b64 s[40:41], s[14:15]
	s_xor_b64 s[14:15], exec, s[40:41]
	s_cbranch_execz .LBB379_51
; %bb.50:                               ;   in Loop: Header=BB379_9 Depth=1
	v_fma_f32 v24, |v21|, s28, v67
	v_fma_f32 v24, |v21|, v24, s29
	;; [unrolled: 1-line block ×6, first 2 shown]
	v_fma_f32 v24, |v21|, v24, |v21|
	v_mul_f32_e32 v25, 0xbfb8aa3b, v24
	v_fma_f32 v26, v24, s35, -v25
	v_rndne_f32_e32 v28, v25
	v_fmac_f32_e32 v26, 0xb2a5705f, v24
	v_sub_f32_e32 v25, v25, v28
	v_add_f32_e32 v25, v25, v26
	v_cvt_i32_f32_e32 v26, v28
	v_exp_f32_e32 v25, v25
	v_cmp_nlt_f32_e32 vcc, s36, v24
	v_ldexp_f32 v25, v25, v26
	s_nop 0
	v_cndmask_b32_e32 v25, 0, v25, vcc
	v_cmp_ngt_f32_e32 vcc, s37, v24
	s_nop 1
	v_cndmask_b32_e32 v24, v68, v25, vcc
	v_sub_f32_e32 v24, 1.0, v24
.LBB379_51:                             ;   in Loop: Header=BB379_9 Depth=1
	s_andn2_saveexec_b64 s[14:15], s[14:15]
; %bb.52:                               ;   in Loop: Header=BB379_9 Depth=1
	v_mul_f32_e32 v24, v21, v21
	v_fmamk_f32 v25, v24, 0xba1345e1, v66
	v_fmaak_f32 v25, v24, v25, 0xbcdac9b8
	v_fmaak_f32 v25, v24, v25, 0x3de703be
	;; [unrolled: 1-line block ×4, first 2 shown]
	v_fma_f32 v24, |v21|, v24, |v21|
; %bb.53:                               ;   in Loop: Header=BB379_9 Depth=1
	s_or_b64 exec, exec, s[14:15]
	v_add_f32_e32 v25, v27, v31
	v_mul_f32_e32 v26, 0x3f3504f3, v25
	v_cmp_nlt_f32_e64 s[14:15], |v26|, 1.0
                                        ; implicit-def: $vgpr27
	s_and_saveexec_b64 s[40:41], s[14:15]
	s_xor_b64 s[14:15], exec, s[40:41]
	s_cbranch_execz .LBB379_55
; %bb.54:                               ;   in Loop: Header=BB379_9 Depth=1
	v_fma_f32 v27, |v26|, s28, v67
	v_fma_f32 v27, |v26|, v27, s29
	;; [unrolled: 1-line block ×6, first 2 shown]
	v_fma_f32 v27, |v26|, v27, |v26|
	v_mul_f32_e32 v28, 0xbfb8aa3b, v27
	v_fma_f32 v29, v27, s35, -v28
	v_rndne_f32_e32 v30, v28
	v_fmac_f32_e32 v29, 0xb2a5705f, v27
	v_sub_f32_e32 v28, v28, v30
	v_add_f32_e32 v28, v28, v29
	v_cvt_i32_f32_e32 v29, v30
	v_exp_f32_e32 v28, v28
	v_cmp_nlt_f32_e32 vcc, s36, v27
	v_ldexp_f32 v28, v28, v29
	s_nop 0
	v_cndmask_b32_e32 v28, 0, v28, vcc
	v_cmp_ngt_f32_e32 vcc, s37, v27
	s_nop 1
	v_cndmask_b32_e32 v27, v68, v28, vcc
	v_sub_f32_e32 v27, 1.0, v27
.LBB379_55:                             ;   in Loop: Header=BB379_9 Depth=1
	s_andn2_saveexec_b64 s[14:15], s[14:15]
; %bb.56:                               ;   in Loop: Header=BB379_9 Depth=1
	v_mul_f32_e32 v27, v26, v26
	v_fmamk_f32 v28, v27, 0xba1345e1, v66
	v_fmaak_f32 v28, v27, v28, 0xbcdac9b8
	v_fmaak_f32 v28, v27, v28, 0x3de703be
	v_fmaak_f32 v28, v27, v28, 0xbec09330
	v_fmaak_f32 v27, v27, v28, 0x3e0375d0
	v_fma_f32 v27, |v26|, v27, |v26|
; %bb.57:                               ;   in Loop: Header=BB379_9 Depth=1
	s_or_b64 exec, exec, s[14:15]
	v_bfi_b32 v21, s38, v24, v21
	v_add_f32_e32 v8, v8, v12
	v_mul_f32_e32 v20, 0.5, v20
	v_add_f32_e32 v21, 1.0, v21
	v_add_f32_e32 v18, v18, v22
	v_bfi_b32 v22, s38, v27, v26
	v_mul_f32_e32 v12, 0x3f3504f3, v8
	v_mul_f32_e32 v20, v20, v21
	v_add_f32_e32 v19, v19, v23
	v_mul_f32_e32 v21, 0.5, v25
	v_add_f32_e32 v22, 1.0, v22
	v_cmp_nlt_f32_e64 s[14:15], |v12|, 1.0
	v_mul_f32_e32 v21, v21, v22
	;;#ASMSTART
	v_pk_mul_f32 v[18:19], v[20:21], v[18:19]
	;;#ASMEND
                                        ; implicit-def: $vgpr20
	s_and_saveexec_b64 s[40:41], s[14:15]
	s_xor_b64 s[14:15], exec, s[40:41]
	s_cbranch_execz .LBB379_59
; %bb.58:                               ;   in Loop: Header=BB379_9 Depth=1
	v_fma_f32 v20, |v12|, s28, v67
	v_fma_f32 v20, |v12|, v20, s29
	;; [unrolled: 1-line block ×6, first 2 shown]
	v_fma_f32 v20, |v12|, v20, |v12|
	v_mul_f32_e32 v21, 0xbfb8aa3b, v20
	v_fma_f32 v22, v20, s35, -v21
	v_rndne_f32_e32 v23, v21
	v_fmac_f32_e32 v22, 0xb2a5705f, v20
	v_sub_f32_e32 v21, v21, v23
	v_add_f32_e32 v21, v21, v22
	v_cvt_i32_f32_e32 v22, v23
	v_exp_f32_e32 v21, v21
	v_cmp_nlt_f32_e32 vcc, s36, v20
	v_ldexp_f32 v21, v21, v22
	s_nop 0
	v_cndmask_b32_e32 v21, 0, v21, vcc
	v_cmp_ngt_f32_e32 vcc, s37, v20
	s_nop 1
	v_cndmask_b32_e32 v20, v68, v21, vcc
	v_sub_f32_e32 v20, 1.0, v20
.LBB379_59:                             ;   in Loop: Header=BB379_9 Depth=1
	s_andn2_saveexec_b64 s[14:15], s[14:15]
; %bb.60:                               ;   in Loop: Header=BB379_9 Depth=1
	v_mul_f32_e32 v20, v12, v12
	v_fmamk_f32 v21, v20, 0xba1345e1, v66
	v_fmaak_f32 v21, v20, v21, 0xbcdac9b8
	v_fmaak_f32 v21, v20, v21, 0x3de703be
	;; [unrolled: 1-line block ×4, first 2 shown]
	v_fma_f32 v20, |v12|, v20, |v12|
; %bb.61:                               ;   in Loop: Header=BB379_9 Depth=1
	s_or_b64 exec, exec, s[14:15]
	v_add_f32_e32 v9, v9, v13
	v_mul_f32_e32 v13, 0x3f3504f3, v9
	v_cmp_nlt_f32_e64 s[14:15], |v13|, 1.0
                                        ; implicit-def: $vgpr21
	s_and_saveexec_b64 s[40:41], s[14:15]
	s_xor_b64 s[14:15], exec, s[40:41]
	s_cbranch_execz .LBB379_63
; %bb.62:                               ;   in Loop: Header=BB379_9 Depth=1
	v_fma_f32 v21, |v13|, s28, v67
	v_fma_f32 v21, |v13|, v21, s29
	;; [unrolled: 1-line block ×6, first 2 shown]
	v_fma_f32 v21, |v13|, v21, |v13|
	v_mul_f32_e32 v22, 0xbfb8aa3b, v21
	v_fma_f32 v23, v21, s35, -v22
	v_rndne_f32_e32 v24, v22
	v_fmac_f32_e32 v23, 0xb2a5705f, v21
	v_sub_f32_e32 v22, v22, v24
	v_add_f32_e32 v22, v22, v23
	v_cvt_i32_f32_e32 v23, v24
	v_exp_f32_e32 v22, v22
	v_cmp_nlt_f32_e32 vcc, s36, v21
	v_ldexp_f32 v22, v22, v23
	s_nop 0
	v_cndmask_b32_e32 v22, 0, v22, vcc
	v_cmp_ngt_f32_e32 vcc, s37, v21
	s_nop 1
	v_cndmask_b32_e32 v21, v68, v22, vcc
	v_sub_f32_e32 v21, 1.0, v21
.LBB379_63:                             ;   in Loop: Header=BB379_9 Depth=1
	s_andn2_saveexec_b64 s[14:15], s[14:15]
; %bb.64:                               ;   in Loop: Header=BB379_9 Depth=1
	v_mul_f32_e32 v21, v13, v13
	v_fmamk_f32 v22, v21, 0xba1345e1, v66
	v_fmaak_f32 v22, v21, v22, 0xbcdac9b8
	v_fmaak_f32 v22, v21, v22, 0x3de703be
	;; [unrolled: 1-line block ×4, first 2 shown]
	v_fma_f32 v21, |v13|, v21, |v13|
; %bb.65:                               ;   in Loop: Header=BB379_9 Depth=1
	s_or_b64 exec, exec, s[14:15]
	s_waitcnt vmcnt(0)
	v_add_f32_e32 v1, v1, v5
	v_bfi_b32 v5, s38, v21, v13
	v_add_f32_e32 v0, v0, v4
	v_mul_f32_e32 v4, 0.5, v9
	v_add_f32_e32 v5, 1.0, v5
	v_bfi_b32 v12, s38, v20, v12
	v_mul_f32_e32 v9, v4, v5
	v_add_f32_e32 v4, v10, v14
	v_mul_f32_e32 v8, 0.5, v8
	v_add_f32_e32 v12, 1.0, v12
	v_mul_f32_e32 v5, 0x3f3504f3, v4
	v_mul_f32_e32 v8, v8, v12
	v_cmp_nlt_f32_e64 s[14:15], |v5|, 1.0
	;;#ASMSTART
	v_pk_mul_f32 v[0:1], v[8:9], v[0:1]
	;;#ASMEND
                                        ; implicit-def: $vgpr8
	s_and_saveexec_b64 s[40:41], s[14:15]
	s_xor_b64 s[14:15], exec, s[40:41]
	s_cbranch_execz .LBB379_67
; %bb.66:                               ;   in Loop: Header=BB379_9 Depth=1
	v_fma_f32 v8, |v5|, s28, v67
	v_fma_f32 v8, |v5|, v8, s29
	;; [unrolled: 1-line block ×6, first 2 shown]
	v_fma_f32 v8, |v5|, v8, |v5|
	v_mul_f32_e32 v9, 0xbfb8aa3b, v8
	v_fma_f32 v10, v8, s35, -v9
	v_rndne_f32_e32 v12, v9
	v_fmac_f32_e32 v10, 0xb2a5705f, v8
	v_sub_f32_e32 v9, v9, v12
	v_add_f32_e32 v9, v9, v10
	v_cvt_i32_f32_e32 v10, v12
	v_exp_f32_e32 v9, v9
	v_cmp_nlt_f32_e32 vcc, s36, v8
	v_ldexp_f32 v9, v9, v10
	s_nop 0
	v_cndmask_b32_e32 v9, 0, v9, vcc
	v_cmp_ngt_f32_e32 vcc, s37, v8
	s_nop 1
	v_cndmask_b32_e32 v8, v68, v9, vcc
	v_sub_f32_e32 v8, 1.0, v8
.LBB379_67:                             ;   in Loop: Header=BB379_9 Depth=1
	s_andn2_saveexec_b64 s[14:15], s[14:15]
; %bb.68:                               ;   in Loop: Header=BB379_9 Depth=1
	v_mul_f32_e32 v8, v5, v5
	v_fmamk_f32 v9, v8, 0xba1345e1, v66
	v_fmaak_f32 v9, v8, v9, 0xbcdac9b8
	v_fmaak_f32 v9, v8, v9, 0x3de703be
	;; [unrolled: 1-line block ×4, first 2 shown]
	v_fma_f32 v8, |v5|, v8, |v5|
; %bb.69:                               ;   in Loop: Header=BB379_9 Depth=1
	s_or_b64 exec, exec, s[14:15]
	v_add_f32_e32 v9, v11, v15
	v_mul_f32_e32 v10, 0x3f3504f3, v9
	v_cmp_nlt_f32_e64 s[14:15], |v10|, 1.0
                                        ; implicit-def: $vgpr11
	s_and_saveexec_b64 s[40:41], s[14:15]
	s_xor_b64 s[14:15], exec, s[40:41]
	s_cbranch_execz .LBB379_71
; %bb.70:                               ;   in Loop: Header=BB379_9 Depth=1
	v_fma_f32 v11, |v10|, s28, v67
	v_fma_f32 v11, |v10|, v11, s29
	;; [unrolled: 1-line block ×6, first 2 shown]
	v_fma_f32 v11, |v10|, v11, |v10|
	v_mul_f32_e32 v12, 0xbfb8aa3b, v11
	v_fma_f32 v13, v11, s35, -v12
	v_rndne_f32_e32 v14, v12
	v_fmac_f32_e32 v13, 0xb2a5705f, v11
	v_sub_f32_e32 v12, v12, v14
	v_add_f32_e32 v12, v12, v13
	v_cvt_i32_f32_e32 v13, v14
	v_exp_f32_e32 v12, v12
	v_cmp_nlt_f32_e32 vcc, s36, v11
	v_ldexp_f32 v12, v12, v13
	s_nop 0
	v_cndmask_b32_e32 v12, 0, v12, vcc
	v_cmp_ngt_f32_e32 vcc, s37, v11
	s_nop 1
	v_cndmask_b32_e32 v11, v68, v12, vcc
	v_sub_f32_e32 v11, 1.0, v11
.LBB379_71:                             ;   in Loop: Header=BB379_9 Depth=1
	s_andn2_saveexec_b64 s[14:15], s[14:15]
	s_cbranch_execz .LBB379_8
; %bb.72:                               ;   in Loop: Header=BB379_9 Depth=1
	v_mul_f32_e32 v11, v10, v10
	v_fmamk_f32 v12, v11, 0xba1345e1, v66
	v_fmaak_f32 v12, v11, v12, 0xbcdac9b8
	v_fmaak_f32 v12, v11, v12, 0x3de703be
	;; [unrolled: 1-line block ×4, first 2 shown]
	v_fma_f32 v11, |v10|, v11, |v10|
	s_branch .LBB379_8
.LBB379_73:
	s_endpgm
	.section	.rodata,"a",@progbits
	.p2align	6, 0x0
	.amdhsa_kernel _ZN5aiter23act_and_mul_bias_kernelIftafTnPFfRKT2_EXadL_ZNS_11gelu_kernelIfEEfRKT_EELi16EEEvPT0_PS8_PKT1_PS2_il
		.amdhsa_group_segment_fixed_size 0
		.amdhsa_private_segment_fixed_size 0
		.amdhsa_kernarg_size 304
		.amdhsa_user_sgpr_count 2
		.amdhsa_user_sgpr_dispatch_ptr 0
		.amdhsa_user_sgpr_queue_ptr 0
		.amdhsa_user_sgpr_kernarg_segment_ptr 1
		.amdhsa_user_sgpr_dispatch_id 0
		.amdhsa_user_sgpr_kernarg_preload_length 0
		.amdhsa_user_sgpr_kernarg_preload_offset 0
		.amdhsa_user_sgpr_private_segment_size 0
		.amdhsa_uses_dynamic_stack 0
		.amdhsa_enable_private_segment 0
		.amdhsa_system_sgpr_workgroup_id_x 1
		.amdhsa_system_sgpr_workgroup_id_y 0
		.amdhsa_system_sgpr_workgroup_id_z 0
		.amdhsa_system_sgpr_workgroup_info 0
		.amdhsa_system_vgpr_workitem_id 0
		.amdhsa_next_free_vgpr 74
		.amdhsa_next_free_sgpr 42
		.amdhsa_accum_offset 76
		.amdhsa_reserve_vcc 1
		.amdhsa_float_round_mode_32 0
		.amdhsa_float_round_mode_16_64 0
		.amdhsa_float_denorm_mode_32 3
		.amdhsa_float_denorm_mode_16_64 3
		.amdhsa_dx10_clamp 1
		.amdhsa_ieee_mode 1
		.amdhsa_fp16_overflow 0
		.amdhsa_tg_split 0
		.amdhsa_exception_fp_ieee_invalid_op 0
		.amdhsa_exception_fp_denorm_src 0
		.amdhsa_exception_fp_ieee_div_zero 0
		.amdhsa_exception_fp_ieee_overflow 0
		.amdhsa_exception_fp_ieee_underflow 0
		.amdhsa_exception_fp_ieee_inexact 0
		.amdhsa_exception_int_div_zero 0
	.end_amdhsa_kernel
	.section	.text._ZN5aiter23act_and_mul_bias_kernelIftafTnPFfRKT2_EXadL_ZNS_11gelu_kernelIfEEfRKT_EELi16EEEvPT0_PS8_PKT1_PS2_il,"axG",@progbits,_ZN5aiter23act_and_mul_bias_kernelIftafTnPFfRKT2_EXadL_ZNS_11gelu_kernelIfEEfRKT_EELi16EEEvPT0_PS8_PKT1_PS2_il,comdat
.Lfunc_end379:
	.size	_ZN5aiter23act_and_mul_bias_kernelIftafTnPFfRKT2_EXadL_ZNS_11gelu_kernelIfEEfRKT_EELi16EEEvPT0_PS8_PKT1_PS2_il, .Lfunc_end379-_ZN5aiter23act_and_mul_bias_kernelIftafTnPFfRKT2_EXadL_ZNS_11gelu_kernelIfEEfRKT_EELi16EEEvPT0_PS8_PKT1_PS2_il
                                        ; -- End function
	.section	.AMDGPU.csdata,"",@progbits
; Kernel info:
; codeLenInByte = 5040
; NumSgprs: 48
; NumVgprs: 74
; NumAgprs: 0
; TotalNumVgprs: 74
; ScratchSize: 0
; MemoryBound: 0
; FloatMode: 240
; IeeeMode: 1
; LDSByteSize: 0 bytes/workgroup (compile time only)
; SGPRBlocks: 5
; VGPRBlocks: 9
; NumSGPRsForWavesPerEU: 48
; NumVGPRsForWavesPerEU: 74
; AccumOffset: 76
; Occupancy: 6
; WaveLimiterHint : 0
; COMPUTE_PGM_RSRC2:SCRATCH_EN: 0
; COMPUTE_PGM_RSRC2:USER_SGPR: 2
; COMPUTE_PGM_RSRC2:TRAP_HANDLER: 0
; COMPUTE_PGM_RSRC2:TGID_X_EN: 1
; COMPUTE_PGM_RSRC2:TGID_Y_EN: 0
; COMPUTE_PGM_RSRC2:TGID_Z_EN: 0
; COMPUTE_PGM_RSRC2:TIDIG_COMP_CNT: 0
; COMPUTE_PGM_RSRC3_GFX90A:ACCUM_OFFSET: 18
; COMPUTE_PGM_RSRC3_GFX90A:TG_SPLIT: 0
	.section	.text._ZN5aiter23act_and_mul_bias_kernelIftafTnPFfRKT2_EXadL_ZNS_11gelu_kernelIfEEfRKT_EELi8EEEvPT0_PS8_PKT1_PS2_il,"axG",@progbits,_ZN5aiter23act_and_mul_bias_kernelIftafTnPFfRKT2_EXadL_ZNS_11gelu_kernelIfEEfRKT_EELi8EEEvPT0_PS8_PKT1_PS2_il,comdat
	.protected	_ZN5aiter23act_and_mul_bias_kernelIftafTnPFfRKT2_EXadL_ZNS_11gelu_kernelIfEEfRKT_EELi8EEEvPT0_PS8_PKT1_PS2_il ; -- Begin function _ZN5aiter23act_and_mul_bias_kernelIftafTnPFfRKT2_EXadL_ZNS_11gelu_kernelIfEEfRKT_EELi8EEEvPT0_PS8_PKT1_PS2_il
	.globl	_ZN5aiter23act_and_mul_bias_kernelIftafTnPFfRKT2_EXadL_ZNS_11gelu_kernelIfEEfRKT_EELi8EEEvPT0_PS8_PKT1_PS2_il
	.p2align	8
	.type	_ZN5aiter23act_and_mul_bias_kernelIftafTnPFfRKT2_EXadL_ZNS_11gelu_kernelIfEEfRKT_EELi8EEEvPT0_PS8_PKT1_PS2_il,@function
_ZN5aiter23act_and_mul_bias_kernelIftafTnPFfRKT2_EXadL_ZNS_11gelu_kernelIfEEfRKT_EELi8EEEvPT0_PS8_PKT1_PS2_il: ; @_ZN5aiter23act_and_mul_bias_kernelIftafTnPFfRKT2_EXadL_ZNS_11gelu_kernelIfEEfRKT_EELi8EEEvPT0_PS8_PKT1_PS2_il
; %bb.0:
	s_load_dwordx2 s[4:5], s[0:1], 0x10
	s_load_dword s24, s[0:1], 0x20
	s_load_dwordx2 s[6:7], s[0:1], 0x28
	v_mov_b32_e32 v1, s2
	s_mov_b32 s9, 0
	s_waitcnt lgkmcnt(0)
	global_load_ubyte v1, v1, s[4:5]
	s_ashr_i32 s25, s24, 31
	s_load_dwordx2 s[4:5], s[0:1], 0x0
	s_mul_hi_u32 s3, s24, s2
	v_mov_b64_e32 v[2:3], s[6:7]
	s_mul_i32 s6, s25, s2
	s_add_i32 s13, s3, s6
	s_mul_i32 s12, s24, s2
	s_lshl_b64 s[6:7], s[12:13], 1
	s_mov_b64 s[10:11], -1
	v_lshlrev_b32_e32 v32, 3, v0
	s_waitcnt vmcnt(0)
	v_readfirstlane_b32 s3, v1
	s_nop 1
	v_mov_b32_e32 v4, s3
	s_sext_i32_i8 s3, s3
	v_readfirstlane_b32 s8, v4
	s_bfe_i64 s[8:9], s[8:9], 0x80000
	s_waitcnt lgkmcnt(0)
	s_add_u32 s4, s4, s6
	s_addc_u32 s5, s5, s7
	s_add_i32 s6, s24, 1
	s_lshr_b32 s7, s6, 31
	s_add_i32 s6, s6, s7
	s_lshl_b32 s6, s6, 1
	s_and_b32 s5, s5, 0xffff
	s_and_b32 s6, s6, -4
	s_cmp_gt_i32 s3, -1
	v_cmp_lt_i64_e32 vcc, s[8:9], v[2:3]
	s_cselect_b64 s[12:13], -1, 0
	s_and_b64 s[12:13], s[12:13], vcc
	s_and_b64 vcc, exec, s[12:13]
	s_cbranch_vccnz .LBB380_5
; %bb.1:
	v_cmp_gt_i32_e32 vcc, s24, v32
	s_and_saveexec_b64 s[10:11], vcc
	s_cbranch_execz .LBB380_4
; %bb.2:
	s_load_dword s3, s[0:1], 0x3c
	v_mov_b32_e32 v33, 0
	s_mov_b32 s13, 0
	v_lshlrev_b32_e32 v6, 4, v0
	s_mov_b64 s[14:15], 0
	s_waitcnt lgkmcnt(0)
	s_and_b32 s3, s3, 0xffff
	s_lshl_b32 s12, s3, 3
	s_lshl_b32 s3, s3, 4
	s_mov_b32 s7, 0x20000
	v_mov_b32_e32 v0, v33
	v_mov_b32_e32 v1, v33
	v_mov_b32_e32 v2, v33
	v_mov_b32_e32 v3, v33
	v_mov_b64_e32 v[4:5], v[32:33]
.LBB380_3:                              ; =>This Inner Loop Header: Depth=1
	v_lshl_add_u64 v[4:5], s[12:13], 0, v[4:5]
	v_cmp_le_i64_e32 vcc, s[24:25], v[4:5]
	buffer_store_dwordx4 v[0:3], v6, s[4:7], 0 offen
	s_or_b64 s[14:15], vcc, s[14:15]
	v_add_u32_e32 v6, s3, v6
	s_andn2_b64 exec, exec, s[14:15]
	s_cbranch_execnz .LBB380_3
.LBB380_4:
	s_or_b64 exec, exec, s[10:11]
	s_mov_b64 s[10:11], 0
.LBB380_5:
	s_andn2_b64 vcc, exec, s[10:11]
	s_cbranch_vccnz .LBB380_41
; %bb.6:
	v_cmp_gt_i32_e32 vcc, s24, v32
	s_and_saveexec_b64 s[10:11], vcc
	s_cbranch_execz .LBB380_41
; %bb.7:
	s_load_dwordx2 s[14:15], s[0:1], 0x8
	s_load_dwordx2 s[12:13], s[0:1], 0x18
	s_mul_hi_i32 s9, s24, s8
	s_mul_i32 s8, s24, s8
	s_lshl_b32 s10, s24, 2
	s_lshl_b64 s[8:9], s[8:9], 3
	s_waitcnt lgkmcnt(0)
	s_add_u32 s8, s12, s8
	s_addc_u32 s7, s13, s9
	s_lshl_b64 s[18:19], s[24:25], 2
	s_add_u32 s12, s8, s18
	s_mul_i32 s16, s2, s25
	s_mul_hi_u32 s17, s2, s24
	s_addc_u32 s13, s7, s19
	s_add_i32 s17, s17, s16
	s_mul_i32 s16, s2, s24
	s_and_b32 s9, s7, 0xffff
	s_and_b32 s13, s13, 0xffff
	s_lshl_b64 s[16:17], s[16:17], 3
	s_add_u32 s16, s14, s16
	s_addc_u32 s2, s15, s17
	s_add_u32 s20, s16, s18
	s_addc_u32 s14, s2, s19
	s_and_b32 s17, s2, 0xffff
	s_and_b32 s21, s14, 0xffff
	s_mov_b32 s7, 0x20000
	s_add_u32 s0, s0, 48
	s_mov_b32 s3, 0
	s_mov_b32 s11, s7
	v_mov_b32_e32 v33, 0
	s_addc_u32 s1, s1, 0
	s_mov_b64 s[26:27], 0
	s_mov_b32 s18, s10
	s_mov_b32 s19, s7
	;; [unrolled: 1-line block ×11, first 2 shown]
	v_mov_b32_e32 v34, 0x3ba10414
	s_brev_b32 s38, -2
	s_mov_b32 s39, 0x7060302
	s_mov_b32 s22, s10
	s_mov_b32 s23, s7
	v_mov_b32_e32 v35, 0xb9c68948
	v_mov_b32_e32 v36, 0x7f800000
                                        ; implicit-def: $vgpr0
                                        ; implicit-def: $vgpr0
	;; [unrolled: 1-line block ×4, first 2 shown]
	s_branch .LBB380_9
.LBB380_8:                              ;   in Loop: Header=BB380_9 Depth=1
	s_or_b64 exec, exec, s[14:15]
	v_bfi_b32 v5, s38, v8, v5
	v_mul_f32_e32 v4, 0.5, v4
	v_add_f32_e32 v5, 1.0, v5
	v_add_f32_e32 v2, v2, v6
	v_bfi_b32 v6, s38, v11, v10
	v_mul_f32_e32 v4, v4, v5
	v_add_f32_e32 v3, v3, v7
	v_mul_f32_e32 v5, 0.5, v9
	v_add_f32_e32 v6, 1.0, v6
	v_mul_f32_e32 v5, v5, v6
	;;#ASMSTART
	v_pk_mul_f32 v[2:3], v[4:5], v[2:3]
	;;#ASMEND
	s_load_dword s2, s[0:1], 0xc
	v_lshlrev_b32_e32 v4, 1, v32
	v_perm_b32 v3, v3, v2, s39
	v_perm_b32 v2, v1, v0, s39
	;; [unrolled: 1-line block ×3, first 2 shown]
	s_waitcnt lgkmcnt(0)
	s_and_b32 s2, s2, 0xffff
	s_lshl_b32 s2, s2, 3
	v_lshl_add_u64 v[32:33], s[2:3], 0, v[32:33]
	v_cmp_le_i64_e32 vcc, s[24:25], v[32:33]
	v_perm_b32 v0, v17, v16, s39
	s_or_b64 s[26:27], vcc, s[26:27]
	buffer_store_dwordx4 v[0:3], v4, s[4:7], 0 offen
	s_andn2_b64 exec, exec, s[26:27]
	s_cbranch_execz .LBB380_41
.LBB380_9:                              ; =>This Inner Loop Header: Depth=1
	v_lshlrev_b32_e32 v37, 2, v32
	buffer_load_dwordx4 v[24:27], v37, s[16:19], 0 offen
	buffer_load_dwordx4 v[8:11], v37, s[16:19], 16 offen
	;; [unrolled: 1-line block ×6, first 2 shown]
	s_mov_b32 s14, s10
	s_mov_b32 s15, s11
	buffer_load_dwordx4 v[20:23], v37, s[12:15], 0 offen
	buffer_load_dwordx4 v[4:7], v37, s[12:15], 16 offen
                                        ; implicit-def: $vgpr37
	s_waitcnt vmcnt(3)
	v_add_f32_e32 v24, v24, v28
	v_mul_f32_e32 v28, 0x3f3504f3, v24
	v_cmp_nlt_f32_e64 s[14:15], |v28|, 1.0
	s_and_saveexec_b64 s[40:41], s[14:15]
	s_xor_b64 s[14:15], exec, s[40:41]
	s_cbranch_execz .LBB380_11
; %bb.10:                               ;   in Loop: Header=BB380_9 Depth=1
	v_fma_f32 v37, |v28|, s28, v35
	v_fma_f32 v37, |v28|, v37, s29
	;; [unrolled: 1-line block ×6, first 2 shown]
	v_fma_f32 v37, |v28|, v37, |v28|
	v_mul_f32_e32 v38, 0xbfb8aa3b, v37
	v_fma_f32 v39, v37, s35, -v38
	v_rndne_f32_e32 v40, v38
	v_fmac_f32_e32 v39, 0xb2a5705f, v37
	v_sub_f32_e32 v38, v38, v40
	v_add_f32_e32 v38, v38, v39
	v_cvt_i32_f32_e32 v39, v40
	v_exp_f32_e32 v38, v38
	v_cmp_nlt_f32_e32 vcc, s36, v37
	v_ldexp_f32 v38, v38, v39
	s_nop 0
	v_cndmask_b32_e32 v38, 0, v38, vcc
	v_cmp_ngt_f32_e32 vcc, s37, v37
	s_nop 1
	v_cndmask_b32_e32 v37, v36, v38, vcc
	v_sub_f32_e32 v37, 1.0, v37
.LBB380_11:                             ;   in Loop: Header=BB380_9 Depth=1
	s_andn2_saveexec_b64 s[14:15], s[14:15]
; %bb.12:                               ;   in Loop: Header=BB380_9 Depth=1
	v_mul_f32_e32 v37, v28, v28
	v_fmamk_f32 v38, v37, 0xba1345e1, v34
	v_fmaak_f32 v38, v37, v38, 0xbcdac9b8
	v_fmaak_f32 v38, v37, v38, 0x3de703be
	;; [unrolled: 1-line block ×4, first 2 shown]
	v_fma_f32 v37, |v28|, v37, |v28|
; %bb.13:                               ;   in Loop: Header=BB380_9 Depth=1
	s_or_b64 exec, exec, s[14:15]
	v_add_f32_e32 v25, v25, v29
	v_mul_f32_e32 v29, 0x3f3504f3, v25
	v_cmp_nlt_f32_e64 s[14:15], |v29|, 1.0
                                        ; implicit-def: $vgpr38
	s_and_saveexec_b64 s[40:41], s[14:15]
	s_xor_b64 s[14:15], exec, s[40:41]
	s_cbranch_execz .LBB380_15
; %bb.14:                               ;   in Loop: Header=BB380_9 Depth=1
	v_fma_f32 v38, |v29|, s28, v35
	v_fma_f32 v38, |v29|, v38, s29
	;; [unrolled: 1-line block ×6, first 2 shown]
	v_fma_f32 v38, |v29|, v38, |v29|
	v_mul_f32_e32 v39, 0xbfb8aa3b, v38
	v_fma_f32 v40, v38, s35, -v39
	v_rndne_f32_e32 v41, v39
	v_fmac_f32_e32 v40, 0xb2a5705f, v38
	v_sub_f32_e32 v39, v39, v41
	v_add_f32_e32 v39, v39, v40
	v_cvt_i32_f32_e32 v40, v41
	v_exp_f32_e32 v39, v39
	v_cmp_nlt_f32_e32 vcc, s36, v38
	v_ldexp_f32 v39, v39, v40
	s_nop 0
	v_cndmask_b32_e32 v39, 0, v39, vcc
	v_cmp_ngt_f32_e32 vcc, s37, v38
	s_nop 1
	v_cndmask_b32_e32 v38, v36, v39, vcc
	v_sub_f32_e32 v38, 1.0, v38
.LBB380_15:                             ;   in Loop: Header=BB380_9 Depth=1
	s_andn2_saveexec_b64 s[14:15], s[14:15]
; %bb.16:                               ;   in Loop: Header=BB380_9 Depth=1
	v_mul_f32_e32 v38, v29, v29
	v_fmamk_f32 v39, v38, 0xba1345e1, v34
	v_fmaak_f32 v39, v38, v39, 0xbcdac9b8
	v_fmaak_f32 v39, v38, v39, 0x3de703be
	;; [unrolled: 1-line block ×4, first 2 shown]
	v_fma_f32 v38, |v29|, v38, |v29|
; %bb.17:                               ;   in Loop: Header=BB380_9 Depth=1
	s_or_b64 exec, exec, s[14:15]
	s_waitcnt vmcnt(1)
	v_add_f32_e32 v17, v17, v21
	v_bfi_b32 v21, s38, v38, v29
	v_add_f32_e32 v16, v16, v20
	v_mul_f32_e32 v20, 0.5, v25
	v_add_f32_e32 v21, 1.0, v21
	v_bfi_b32 v28, s38, v37, v28
	v_mul_f32_e32 v25, v20, v21
	v_add_f32_e32 v20, v26, v30
	v_mul_f32_e32 v24, 0.5, v24
	v_add_f32_e32 v28, 1.0, v28
	v_mul_f32_e32 v21, 0x3f3504f3, v20
	v_mul_f32_e32 v24, v24, v28
	v_cmp_nlt_f32_e64 s[14:15], |v21|, 1.0
	;;#ASMSTART
	v_pk_mul_f32 v[16:17], v[24:25], v[16:17]
	;;#ASMEND
                                        ; implicit-def: $vgpr24
	s_and_saveexec_b64 s[40:41], s[14:15]
	s_xor_b64 s[14:15], exec, s[40:41]
	s_cbranch_execz .LBB380_19
; %bb.18:                               ;   in Loop: Header=BB380_9 Depth=1
	v_fma_f32 v24, |v21|, s28, v35
	v_fma_f32 v24, |v21|, v24, s29
	;; [unrolled: 1-line block ×6, first 2 shown]
	v_fma_f32 v24, |v21|, v24, |v21|
	v_mul_f32_e32 v25, 0xbfb8aa3b, v24
	v_fma_f32 v26, v24, s35, -v25
	v_rndne_f32_e32 v28, v25
	v_fmac_f32_e32 v26, 0xb2a5705f, v24
	v_sub_f32_e32 v25, v25, v28
	v_add_f32_e32 v25, v25, v26
	v_cvt_i32_f32_e32 v26, v28
	v_exp_f32_e32 v25, v25
	v_cmp_nlt_f32_e32 vcc, s36, v24
	v_ldexp_f32 v25, v25, v26
	s_nop 0
	v_cndmask_b32_e32 v25, 0, v25, vcc
	v_cmp_ngt_f32_e32 vcc, s37, v24
	s_nop 1
	v_cndmask_b32_e32 v24, v36, v25, vcc
	v_sub_f32_e32 v24, 1.0, v24
.LBB380_19:                             ;   in Loop: Header=BB380_9 Depth=1
	s_andn2_saveexec_b64 s[14:15], s[14:15]
; %bb.20:                               ;   in Loop: Header=BB380_9 Depth=1
	v_mul_f32_e32 v24, v21, v21
	v_fmamk_f32 v25, v24, 0xba1345e1, v34
	v_fmaak_f32 v25, v24, v25, 0xbcdac9b8
	v_fmaak_f32 v25, v24, v25, 0x3de703be
	;; [unrolled: 1-line block ×4, first 2 shown]
	v_fma_f32 v24, |v21|, v24, |v21|
; %bb.21:                               ;   in Loop: Header=BB380_9 Depth=1
	s_or_b64 exec, exec, s[14:15]
	v_add_f32_e32 v25, v27, v31
	v_mul_f32_e32 v26, 0x3f3504f3, v25
	v_cmp_nlt_f32_e64 s[14:15], |v26|, 1.0
                                        ; implicit-def: $vgpr27
	s_and_saveexec_b64 s[40:41], s[14:15]
	s_xor_b64 s[14:15], exec, s[40:41]
	s_cbranch_execz .LBB380_23
; %bb.22:                               ;   in Loop: Header=BB380_9 Depth=1
	v_fma_f32 v27, |v26|, s28, v35
	v_fma_f32 v27, |v26|, v27, s29
	v_fma_f32 v27, |v26|, v27, s30
	v_fma_f32 v27, |v26|, v27, s31
	v_fma_f32 v27, |v26|, v27, s33
	v_fma_f32 v27, |v26|, v27, s34
	v_fma_f32 v27, |v26|, v27, |v26|
	v_mul_f32_e32 v28, 0xbfb8aa3b, v27
	v_fma_f32 v29, v27, s35, -v28
	v_rndne_f32_e32 v30, v28
	v_fmac_f32_e32 v29, 0xb2a5705f, v27
	v_sub_f32_e32 v28, v28, v30
	v_add_f32_e32 v28, v28, v29
	v_cvt_i32_f32_e32 v29, v30
	v_exp_f32_e32 v28, v28
	v_cmp_nlt_f32_e32 vcc, s36, v27
	v_ldexp_f32 v28, v28, v29
	s_nop 0
	v_cndmask_b32_e32 v28, 0, v28, vcc
	v_cmp_ngt_f32_e32 vcc, s37, v27
	s_nop 1
	v_cndmask_b32_e32 v27, v36, v28, vcc
	v_sub_f32_e32 v27, 1.0, v27
.LBB380_23:                             ;   in Loop: Header=BB380_9 Depth=1
	s_andn2_saveexec_b64 s[14:15], s[14:15]
; %bb.24:                               ;   in Loop: Header=BB380_9 Depth=1
	v_mul_f32_e32 v27, v26, v26
	v_fmamk_f32 v28, v27, 0xba1345e1, v34
	v_fmaak_f32 v28, v27, v28, 0xbcdac9b8
	v_fmaak_f32 v28, v27, v28, 0x3de703be
	v_fmaak_f32 v28, v27, v28, 0xbec09330
	v_fmaak_f32 v27, v27, v28, 0x3e0375d0
	v_fma_f32 v27, |v26|, v27, |v26|
; %bb.25:                               ;   in Loop: Header=BB380_9 Depth=1
	s_or_b64 exec, exec, s[14:15]
	v_bfi_b32 v21, s38, v24, v21
	v_add_f32_e32 v8, v8, v12
	v_mul_f32_e32 v20, 0.5, v20
	v_add_f32_e32 v21, 1.0, v21
	v_add_f32_e32 v18, v18, v22
	v_bfi_b32 v22, s38, v27, v26
	v_mul_f32_e32 v12, 0x3f3504f3, v8
	v_mul_f32_e32 v20, v20, v21
	v_add_f32_e32 v19, v19, v23
	v_mul_f32_e32 v21, 0.5, v25
	v_add_f32_e32 v22, 1.0, v22
	v_cmp_nlt_f32_e64 s[14:15], |v12|, 1.0
	v_mul_f32_e32 v21, v21, v22
	;;#ASMSTART
	v_pk_mul_f32 v[18:19], v[20:21], v[18:19]
	;;#ASMEND
                                        ; implicit-def: $vgpr20
	s_and_saveexec_b64 s[40:41], s[14:15]
	s_xor_b64 s[14:15], exec, s[40:41]
	s_cbranch_execz .LBB380_27
; %bb.26:                               ;   in Loop: Header=BB380_9 Depth=1
	v_fma_f32 v20, |v12|, s28, v35
	v_fma_f32 v20, |v12|, v20, s29
	v_fma_f32 v20, |v12|, v20, s30
	v_fma_f32 v20, |v12|, v20, s31
	v_fma_f32 v20, |v12|, v20, s33
	v_fma_f32 v20, |v12|, v20, s34
	v_fma_f32 v20, |v12|, v20, |v12|
	v_mul_f32_e32 v21, 0xbfb8aa3b, v20
	v_fma_f32 v22, v20, s35, -v21
	v_rndne_f32_e32 v23, v21
	v_fmac_f32_e32 v22, 0xb2a5705f, v20
	v_sub_f32_e32 v21, v21, v23
	v_add_f32_e32 v21, v21, v22
	v_cvt_i32_f32_e32 v22, v23
	v_exp_f32_e32 v21, v21
	v_cmp_nlt_f32_e32 vcc, s36, v20
	v_ldexp_f32 v21, v21, v22
	s_nop 0
	v_cndmask_b32_e32 v21, 0, v21, vcc
	v_cmp_ngt_f32_e32 vcc, s37, v20
	s_nop 1
	v_cndmask_b32_e32 v20, v36, v21, vcc
	v_sub_f32_e32 v20, 1.0, v20
.LBB380_27:                             ;   in Loop: Header=BB380_9 Depth=1
	s_andn2_saveexec_b64 s[14:15], s[14:15]
; %bb.28:                               ;   in Loop: Header=BB380_9 Depth=1
	v_mul_f32_e32 v20, v12, v12
	v_fmamk_f32 v21, v20, 0xba1345e1, v34
	v_fmaak_f32 v21, v20, v21, 0xbcdac9b8
	v_fmaak_f32 v21, v20, v21, 0x3de703be
	;; [unrolled: 1-line block ×4, first 2 shown]
	v_fma_f32 v20, |v12|, v20, |v12|
; %bb.29:                               ;   in Loop: Header=BB380_9 Depth=1
	s_or_b64 exec, exec, s[14:15]
	v_add_f32_e32 v9, v9, v13
	v_mul_f32_e32 v13, 0x3f3504f3, v9
	v_cmp_nlt_f32_e64 s[14:15], |v13|, 1.0
                                        ; implicit-def: $vgpr21
	s_and_saveexec_b64 s[40:41], s[14:15]
	s_xor_b64 s[14:15], exec, s[40:41]
	s_cbranch_execz .LBB380_31
; %bb.30:                               ;   in Loop: Header=BB380_9 Depth=1
	v_fma_f32 v21, |v13|, s28, v35
	v_fma_f32 v21, |v13|, v21, s29
	;; [unrolled: 1-line block ×6, first 2 shown]
	v_fma_f32 v21, |v13|, v21, |v13|
	v_mul_f32_e32 v22, 0xbfb8aa3b, v21
	v_fma_f32 v23, v21, s35, -v22
	v_rndne_f32_e32 v24, v22
	v_fmac_f32_e32 v23, 0xb2a5705f, v21
	v_sub_f32_e32 v22, v22, v24
	v_add_f32_e32 v22, v22, v23
	v_cvt_i32_f32_e32 v23, v24
	v_exp_f32_e32 v22, v22
	v_cmp_nlt_f32_e32 vcc, s36, v21
	v_ldexp_f32 v22, v22, v23
	s_nop 0
	v_cndmask_b32_e32 v22, 0, v22, vcc
	v_cmp_ngt_f32_e32 vcc, s37, v21
	s_nop 1
	v_cndmask_b32_e32 v21, v36, v22, vcc
	v_sub_f32_e32 v21, 1.0, v21
.LBB380_31:                             ;   in Loop: Header=BB380_9 Depth=1
	s_andn2_saveexec_b64 s[14:15], s[14:15]
; %bb.32:                               ;   in Loop: Header=BB380_9 Depth=1
	v_mul_f32_e32 v21, v13, v13
	v_fmamk_f32 v22, v21, 0xba1345e1, v34
	v_fmaak_f32 v22, v21, v22, 0xbcdac9b8
	v_fmaak_f32 v22, v21, v22, 0x3de703be
	;; [unrolled: 1-line block ×4, first 2 shown]
	v_fma_f32 v21, |v13|, v21, |v13|
; %bb.33:                               ;   in Loop: Header=BB380_9 Depth=1
	s_or_b64 exec, exec, s[14:15]
	s_waitcnt vmcnt(0)
	v_add_f32_e32 v1, v1, v5
	v_bfi_b32 v5, s38, v21, v13
	v_add_f32_e32 v0, v0, v4
	v_mul_f32_e32 v4, 0.5, v9
	v_add_f32_e32 v5, 1.0, v5
	v_bfi_b32 v12, s38, v20, v12
	v_mul_f32_e32 v9, v4, v5
	v_add_f32_e32 v4, v10, v14
	v_mul_f32_e32 v8, 0.5, v8
	v_add_f32_e32 v12, 1.0, v12
	v_mul_f32_e32 v5, 0x3f3504f3, v4
	v_mul_f32_e32 v8, v8, v12
	v_cmp_nlt_f32_e64 s[14:15], |v5|, 1.0
	;;#ASMSTART
	v_pk_mul_f32 v[0:1], v[8:9], v[0:1]
	;;#ASMEND
                                        ; implicit-def: $vgpr8
	s_and_saveexec_b64 s[40:41], s[14:15]
	s_xor_b64 s[14:15], exec, s[40:41]
	s_cbranch_execz .LBB380_35
; %bb.34:                               ;   in Loop: Header=BB380_9 Depth=1
	v_fma_f32 v8, |v5|, s28, v35
	v_fma_f32 v8, |v5|, v8, s29
	;; [unrolled: 1-line block ×6, first 2 shown]
	v_fma_f32 v8, |v5|, v8, |v5|
	v_mul_f32_e32 v9, 0xbfb8aa3b, v8
	v_fma_f32 v10, v8, s35, -v9
	v_rndne_f32_e32 v12, v9
	v_fmac_f32_e32 v10, 0xb2a5705f, v8
	v_sub_f32_e32 v9, v9, v12
	v_add_f32_e32 v9, v9, v10
	v_cvt_i32_f32_e32 v10, v12
	v_exp_f32_e32 v9, v9
	v_cmp_nlt_f32_e32 vcc, s36, v8
	v_ldexp_f32 v9, v9, v10
	s_nop 0
	v_cndmask_b32_e32 v9, 0, v9, vcc
	v_cmp_ngt_f32_e32 vcc, s37, v8
	s_nop 1
	v_cndmask_b32_e32 v8, v36, v9, vcc
	v_sub_f32_e32 v8, 1.0, v8
.LBB380_35:                             ;   in Loop: Header=BB380_9 Depth=1
	s_andn2_saveexec_b64 s[14:15], s[14:15]
; %bb.36:                               ;   in Loop: Header=BB380_9 Depth=1
	v_mul_f32_e32 v8, v5, v5
	v_fmamk_f32 v9, v8, 0xba1345e1, v34
	v_fmaak_f32 v9, v8, v9, 0xbcdac9b8
	v_fmaak_f32 v9, v8, v9, 0x3de703be
	;; [unrolled: 1-line block ×4, first 2 shown]
	v_fma_f32 v8, |v5|, v8, |v5|
; %bb.37:                               ;   in Loop: Header=BB380_9 Depth=1
	s_or_b64 exec, exec, s[14:15]
	v_add_f32_e32 v9, v11, v15
	v_mul_f32_e32 v10, 0x3f3504f3, v9
	v_cmp_nlt_f32_e64 s[14:15], |v10|, 1.0
                                        ; implicit-def: $vgpr11
	s_and_saveexec_b64 s[40:41], s[14:15]
	s_xor_b64 s[14:15], exec, s[40:41]
	s_cbranch_execz .LBB380_39
; %bb.38:                               ;   in Loop: Header=BB380_9 Depth=1
	v_fma_f32 v11, |v10|, s28, v35
	v_fma_f32 v11, |v10|, v11, s29
	;; [unrolled: 1-line block ×6, first 2 shown]
	v_fma_f32 v11, |v10|, v11, |v10|
	v_mul_f32_e32 v12, 0xbfb8aa3b, v11
	v_fma_f32 v13, v11, s35, -v12
	v_rndne_f32_e32 v14, v12
	v_fmac_f32_e32 v13, 0xb2a5705f, v11
	v_sub_f32_e32 v12, v12, v14
	v_add_f32_e32 v12, v12, v13
	v_cvt_i32_f32_e32 v13, v14
	v_exp_f32_e32 v12, v12
	v_cmp_nlt_f32_e32 vcc, s36, v11
	v_ldexp_f32 v12, v12, v13
	s_nop 0
	v_cndmask_b32_e32 v12, 0, v12, vcc
	v_cmp_ngt_f32_e32 vcc, s37, v11
	s_nop 1
	v_cndmask_b32_e32 v11, v36, v12, vcc
	v_sub_f32_e32 v11, 1.0, v11
.LBB380_39:                             ;   in Loop: Header=BB380_9 Depth=1
	s_andn2_saveexec_b64 s[14:15], s[14:15]
	s_cbranch_execz .LBB380_8
; %bb.40:                               ;   in Loop: Header=BB380_9 Depth=1
	v_mul_f32_e32 v11, v10, v10
	v_fmamk_f32 v12, v11, 0xba1345e1, v34
	v_fmaak_f32 v12, v11, v12, 0xbcdac9b8
	v_fmaak_f32 v12, v11, v12, 0x3de703be
	v_fmaak_f32 v12, v11, v12, 0xbec09330
	v_fmaak_f32 v11, v11, v12, 0x3e0375d0
	v_fma_f32 v11, |v10|, v11, |v10|
	s_branch .LBB380_8
.LBB380_41:
	s_endpgm
	.section	.rodata,"a",@progbits
	.p2align	6, 0x0
	.amdhsa_kernel _ZN5aiter23act_and_mul_bias_kernelIftafTnPFfRKT2_EXadL_ZNS_11gelu_kernelIfEEfRKT_EELi8EEEvPT0_PS8_PKT1_PS2_il
		.amdhsa_group_segment_fixed_size 0
		.amdhsa_private_segment_fixed_size 0
		.amdhsa_kernarg_size 304
		.amdhsa_user_sgpr_count 2
		.amdhsa_user_sgpr_dispatch_ptr 0
		.amdhsa_user_sgpr_queue_ptr 0
		.amdhsa_user_sgpr_kernarg_segment_ptr 1
		.amdhsa_user_sgpr_dispatch_id 0
		.amdhsa_user_sgpr_kernarg_preload_length 0
		.amdhsa_user_sgpr_kernarg_preload_offset 0
		.amdhsa_user_sgpr_private_segment_size 0
		.amdhsa_uses_dynamic_stack 0
		.amdhsa_enable_private_segment 0
		.amdhsa_system_sgpr_workgroup_id_x 1
		.amdhsa_system_sgpr_workgroup_id_y 0
		.amdhsa_system_sgpr_workgroup_id_z 0
		.amdhsa_system_sgpr_workgroup_info 0
		.amdhsa_system_vgpr_workitem_id 0
		.amdhsa_next_free_vgpr 42
		.amdhsa_next_free_sgpr 42
		.amdhsa_accum_offset 44
		.amdhsa_reserve_vcc 1
		.amdhsa_float_round_mode_32 0
		.amdhsa_float_round_mode_16_64 0
		.amdhsa_float_denorm_mode_32 3
		.amdhsa_float_denorm_mode_16_64 3
		.amdhsa_dx10_clamp 1
		.amdhsa_ieee_mode 1
		.amdhsa_fp16_overflow 0
		.amdhsa_tg_split 0
		.amdhsa_exception_fp_ieee_invalid_op 0
		.amdhsa_exception_fp_denorm_src 0
		.amdhsa_exception_fp_ieee_div_zero 0
		.amdhsa_exception_fp_ieee_overflow 0
		.amdhsa_exception_fp_ieee_underflow 0
		.amdhsa_exception_fp_ieee_inexact 0
		.amdhsa_exception_int_div_zero 0
	.end_amdhsa_kernel
	.section	.text._ZN5aiter23act_and_mul_bias_kernelIftafTnPFfRKT2_EXadL_ZNS_11gelu_kernelIfEEfRKT_EELi8EEEvPT0_PS8_PKT1_PS2_il,"axG",@progbits,_ZN5aiter23act_and_mul_bias_kernelIftafTnPFfRKT2_EXadL_ZNS_11gelu_kernelIfEEfRKT_EELi8EEEvPT0_PS8_PKT1_PS2_il,comdat
.Lfunc_end380:
	.size	_ZN5aiter23act_and_mul_bias_kernelIftafTnPFfRKT2_EXadL_ZNS_11gelu_kernelIfEEfRKT_EELi8EEEvPT0_PS8_PKT1_PS2_il, .Lfunc_end380-_ZN5aiter23act_and_mul_bias_kernelIftafTnPFfRKT2_EXadL_ZNS_11gelu_kernelIfEEfRKT_EELi8EEEvPT0_PS8_PKT1_PS2_il
                                        ; -- End function
	.section	.AMDGPU.csdata,"",@progbits
; Kernel info:
; codeLenInByte = 2856
; NumSgprs: 48
; NumVgprs: 42
; NumAgprs: 0
; TotalNumVgprs: 42
; ScratchSize: 0
; MemoryBound: 0
; FloatMode: 240
; IeeeMode: 1
; LDSByteSize: 0 bytes/workgroup (compile time only)
; SGPRBlocks: 5
; VGPRBlocks: 5
; NumSGPRsForWavesPerEU: 48
; NumVGPRsForWavesPerEU: 42
; AccumOffset: 44
; Occupancy: 8
; WaveLimiterHint : 0
; COMPUTE_PGM_RSRC2:SCRATCH_EN: 0
; COMPUTE_PGM_RSRC2:USER_SGPR: 2
; COMPUTE_PGM_RSRC2:TRAP_HANDLER: 0
; COMPUTE_PGM_RSRC2:TGID_X_EN: 1
; COMPUTE_PGM_RSRC2:TGID_Y_EN: 0
; COMPUTE_PGM_RSRC2:TGID_Z_EN: 0
; COMPUTE_PGM_RSRC2:TIDIG_COMP_CNT: 0
; COMPUTE_PGM_RSRC3_GFX90A:ACCUM_OFFSET: 10
; COMPUTE_PGM_RSRC3_GFX90A:TG_SPLIT: 0
	.section	.text._ZN5aiter23act_and_mul_bias_kernelIftafTnPFfRKT2_EXadL_ZNS_11gelu_kernelIfEEfRKT_EELi4EEEvPT0_PS8_PKT1_PS2_il,"axG",@progbits,_ZN5aiter23act_and_mul_bias_kernelIftafTnPFfRKT2_EXadL_ZNS_11gelu_kernelIfEEfRKT_EELi4EEEvPT0_PS8_PKT1_PS2_il,comdat
	.protected	_ZN5aiter23act_and_mul_bias_kernelIftafTnPFfRKT2_EXadL_ZNS_11gelu_kernelIfEEfRKT_EELi4EEEvPT0_PS8_PKT1_PS2_il ; -- Begin function _ZN5aiter23act_and_mul_bias_kernelIftafTnPFfRKT2_EXadL_ZNS_11gelu_kernelIfEEfRKT_EELi4EEEvPT0_PS8_PKT1_PS2_il
	.globl	_ZN5aiter23act_and_mul_bias_kernelIftafTnPFfRKT2_EXadL_ZNS_11gelu_kernelIfEEfRKT_EELi4EEEvPT0_PS8_PKT1_PS2_il
	.p2align	8
	.type	_ZN5aiter23act_and_mul_bias_kernelIftafTnPFfRKT2_EXadL_ZNS_11gelu_kernelIfEEfRKT_EELi4EEEvPT0_PS8_PKT1_PS2_il,@function
_ZN5aiter23act_and_mul_bias_kernelIftafTnPFfRKT2_EXadL_ZNS_11gelu_kernelIfEEfRKT_EELi4EEEvPT0_PS8_PKT1_PS2_il: ; @_ZN5aiter23act_and_mul_bias_kernelIftafTnPFfRKT2_EXadL_ZNS_11gelu_kernelIfEEfRKT_EELi4EEEvPT0_PS8_PKT1_PS2_il
; %bb.0:
	s_load_dwordx2 s[4:5], s[0:1], 0x10
	s_load_dword s24, s[0:1], 0x20
	s_load_dwordx2 s[6:7], s[0:1], 0x28
	v_mov_b32_e32 v1, s2
	s_mov_b32 s9, 0
	s_waitcnt lgkmcnt(0)
	global_load_ubyte v1, v1, s[4:5]
	s_ashr_i32 s25, s24, 31
	s_load_dwordx2 s[4:5], s[0:1], 0x0
	s_mul_hi_u32 s3, s24, s2
	v_mov_b64_e32 v[2:3], s[6:7]
	s_mul_i32 s6, s25, s2
	s_add_i32 s13, s3, s6
	s_mul_i32 s12, s24, s2
	s_lshl_b64 s[6:7], s[12:13], 1
	s_mov_b64 s[10:11], -1
	v_lshlrev_b32_e32 v16, 2, v0
	s_waitcnt vmcnt(0)
	v_readfirstlane_b32 s3, v1
	s_nop 1
	v_mov_b32_e32 v4, s3
	s_sext_i32_i8 s3, s3
	v_readfirstlane_b32 s8, v4
	s_bfe_i64 s[8:9], s[8:9], 0x80000
	s_waitcnt lgkmcnt(0)
	s_add_u32 s4, s4, s6
	s_addc_u32 s5, s5, s7
	s_add_i32 s6, s24, 1
	s_lshr_b32 s7, s6, 31
	s_add_i32 s6, s6, s7
	s_lshl_b32 s6, s6, 1
	s_and_b32 s5, s5, 0xffff
	s_and_b32 s6, s6, -4
	s_cmp_gt_i32 s3, -1
	v_cmp_lt_i64_e32 vcc, s[8:9], v[2:3]
	s_cselect_b64 s[12:13], -1, 0
	s_and_b64 s[12:13], s[12:13], vcc
	s_and_b64 vcc, exec, s[12:13]
	s_cbranch_vccnz .LBB381_5
; %bb.1:
	v_cmp_gt_i32_e32 vcc, s24, v16
	s_and_saveexec_b64 s[10:11], vcc
	s_cbranch_execz .LBB381_4
; %bb.2:
	s_load_dword s3, s[0:1], 0x3c
	v_mov_b32_e32 v17, 0
	s_mov_b32 s13, 0
	v_lshlrev_b32_e32 v4, 3, v0
	s_mov_b64 s[14:15], 0
	s_waitcnt lgkmcnt(0)
	s_and_b32 s3, s3, 0xffff
	s_lshl_b32 s12, s3, 2
	s_lshl_b32 s3, s3, 3
	s_mov_b32 s7, 0x20000
	v_mov_b32_e32 v0, v17
	v_mov_b32_e32 v1, v17
	v_mov_b64_e32 v[2:3], v[16:17]
.LBB381_3:                              ; =>This Inner Loop Header: Depth=1
	v_lshl_add_u64 v[2:3], s[12:13], 0, v[2:3]
	v_cmp_le_i64_e32 vcc, s[24:25], v[2:3]
	buffer_store_dwordx2 v[0:1], v4, s[4:7], 0 offen
	s_or_b64 s[14:15], vcc, s[14:15]
	v_add_u32_e32 v4, s3, v4
	s_andn2_b64 exec, exec, s[14:15]
	s_cbranch_execnz .LBB381_3
.LBB381_4:
	s_or_b64 exec, exec, s[10:11]
	s_mov_b64 s[10:11], 0
.LBB381_5:
	s_andn2_b64 vcc, exec, s[10:11]
	s_cbranch_vccnz .LBB381_25
; %bb.6:
	v_cmp_gt_i32_e32 vcc, s24, v16
	s_and_saveexec_b64 s[10:11], vcc
	s_cbranch_execz .LBB381_25
; %bb.7:
	s_load_dwordx2 s[14:15], s[0:1], 0x8
	s_load_dwordx2 s[12:13], s[0:1], 0x18
	s_mul_hi_i32 s9, s24, s8
	s_mul_i32 s8, s24, s8
	s_lshl_b32 s10, s24, 2
	s_lshl_b64 s[8:9], s[8:9], 3
	s_waitcnt lgkmcnt(0)
	s_add_u32 s8, s12, s8
	s_addc_u32 s7, s13, s9
	s_lshl_b64 s[18:19], s[24:25], 2
	s_add_u32 s12, s8, s18
	s_mul_i32 s16, s2, s25
	s_mul_hi_u32 s17, s2, s24
	s_addc_u32 s13, s7, s19
	s_add_i32 s17, s17, s16
	s_mul_i32 s16, s2, s24
	s_and_b32 s9, s7, 0xffff
	s_and_b32 s13, s13, 0xffff
	s_lshl_b64 s[16:17], s[16:17], 3
	s_add_u32 s16, s14, s16
	s_addc_u32 s2, s15, s17
	s_add_u32 s20, s16, s18
	s_addc_u32 s14, s2, s19
	s_and_b32 s17, s2, 0xffff
	s_and_b32 s21, s14, 0xffff
	s_mov_b32 s7, 0x20000
	s_add_u32 s0, s0, 48
	s_mov_b32 s3, 0
	s_mov_b32 s11, s7
	v_mov_b32_e32 v17, 0
	s_addc_u32 s1, s1, 0
	s_mov_b64 s[26:27], 0
	s_mov_b32 s18, s10
	s_mov_b32 s19, s7
	;; [unrolled: 1-line block ×11, first 2 shown]
	v_mov_b32_e32 v18, 0x3ba10414
	s_brev_b32 s38, -2
	s_mov_b32 s39, 0x7060302
	s_mov_b32 s22, s10
	s_mov_b32 s23, s7
	v_mov_b32_e32 v19, 0xb9c68948
	v_mov_b32_e32 v20, 0x7f800000
                                        ; implicit-def: $vgpr0
                                        ; implicit-def: $vgpr0
	;; [unrolled: 1-line block ×4, first 2 shown]
	s_branch .LBB381_9
.LBB381_8:                              ;   in Loop: Header=BB381_9 Depth=1
	s_or_b64 exec, exec, s[14:15]
	v_bfi_b32 v5, s38, v8, v5
	v_mul_f32_e32 v4, 0.5, v4
	v_add_f32_e32 v5, 1.0, v5
	v_add_f32_e32 v2, v2, v6
	v_bfi_b32 v6, s38, v11, v10
	v_mul_f32_e32 v4, v4, v5
	v_add_f32_e32 v3, v3, v7
	v_mul_f32_e32 v5, 0.5, v9
	v_add_f32_e32 v6, 1.0, v6
	v_mul_f32_e32 v5, v5, v6
	;;#ASMSTART
	v_pk_mul_f32 v[2:3], v[4:5], v[2:3]
	;;#ASMEND
	s_load_dword s2, s[0:1], 0xc
	v_perm_b32 v3, v3, v2, s39
	v_perm_b32 v2, v1, v0, s39
	v_lshlrev_b32_e32 v0, 1, v16
	buffer_store_dwordx2 v[2:3], v0, s[4:7], 0 offen
	s_waitcnt lgkmcnt(0)
	s_and_b32 s2, s2, 0xffff
	s_lshl_b32 s2, s2, 2
	v_lshl_add_u64 v[16:17], s[2:3], 0, v[16:17]
	v_cmp_le_i64_e32 vcc, s[24:25], v[16:17]
	s_or_b64 s[26:27], vcc, s[26:27]
	s_andn2_b64 exec, exec, s[26:27]
	s_cbranch_execz .LBB381_25
.LBB381_9:                              ; =>This Inner Loop Header: Depth=1
	v_lshlrev_b32_e32 v4, 2, v16
	buffer_load_dwordx4 v[8:11], v4, s[16:19], 0 offen
	buffer_load_dwordx4 v[0:3], v4, s[20:23], 0 offen
	;; [unrolled: 1-line block ×3, first 2 shown]
	s_mov_b32 s14, s10
	s_mov_b32 s15, s11
	buffer_load_dwordx4 v[4:7], v4, s[12:15], 0 offen
                                        ; implicit-def: $vgpr21
	s_waitcnt vmcnt(1)
	v_add_f32_e32 v8, v8, v12
	v_mul_f32_e32 v12, 0x3f3504f3, v8
	v_cmp_nlt_f32_e64 s[14:15], |v12|, 1.0
	s_and_saveexec_b64 s[40:41], s[14:15]
	s_xor_b64 s[14:15], exec, s[40:41]
	s_cbranch_execz .LBB381_11
; %bb.10:                               ;   in Loop: Header=BB381_9 Depth=1
	v_fma_f32 v21, |v12|, s28, v19
	v_fma_f32 v21, |v12|, v21, s29
	;; [unrolled: 1-line block ×6, first 2 shown]
	v_fma_f32 v21, |v12|, v21, |v12|
	v_mul_f32_e32 v22, 0xbfb8aa3b, v21
	v_fma_f32 v23, v21, s35, -v22
	v_rndne_f32_e32 v24, v22
	v_fmac_f32_e32 v23, 0xb2a5705f, v21
	v_sub_f32_e32 v22, v22, v24
	v_add_f32_e32 v22, v22, v23
	v_cvt_i32_f32_e32 v23, v24
	v_exp_f32_e32 v22, v22
	v_cmp_nlt_f32_e32 vcc, s36, v21
	v_ldexp_f32 v22, v22, v23
	s_nop 0
	v_cndmask_b32_e32 v22, 0, v22, vcc
	v_cmp_ngt_f32_e32 vcc, s37, v21
	s_nop 1
	v_cndmask_b32_e32 v21, v20, v22, vcc
	v_sub_f32_e32 v21, 1.0, v21
.LBB381_11:                             ;   in Loop: Header=BB381_9 Depth=1
	s_andn2_saveexec_b64 s[14:15], s[14:15]
; %bb.12:                               ;   in Loop: Header=BB381_9 Depth=1
	v_mul_f32_e32 v21, v12, v12
	v_fmamk_f32 v22, v21, 0xba1345e1, v18
	v_fmaak_f32 v22, v21, v22, 0xbcdac9b8
	v_fmaak_f32 v22, v21, v22, 0x3de703be
	;; [unrolled: 1-line block ×4, first 2 shown]
	v_fma_f32 v21, |v12|, v21, |v12|
; %bb.13:                               ;   in Loop: Header=BB381_9 Depth=1
	s_or_b64 exec, exec, s[14:15]
	v_add_f32_e32 v9, v9, v13
	v_mul_f32_e32 v13, 0x3f3504f3, v9
	v_cmp_nlt_f32_e64 s[14:15], |v13|, 1.0
                                        ; implicit-def: $vgpr22
	s_and_saveexec_b64 s[40:41], s[14:15]
	s_xor_b64 s[14:15], exec, s[40:41]
	s_cbranch_execz .LBB381_15
; %bb.14:                               ;   in Loop: Header=BB381_9 Depth=1
	v_fma_f32 v22, |v13|, s28, v19
	v_fma_f32 v22, |v13|, v22, s29
	v_fma_f32 v22, |v13|, v22, s30
	v_fma_f32 v22, |v13|, v22, s31
	v_fma_f32 v22, |v13|, v22, s33
	v_fma_f32 v22, |v13|, v22, s34
	v_fma_f32 v22, |v13|, v22, |v13|
	v_mul_f32_e32 v23, 0xbfb8aa3b, v22
	v_fma_f32 v24, v22, s35, -v23
	v_rndne_f32_e32 v25, v23
	v_fmac_f32_e32 v24, 0xb2a5705f, v22
	v_sub_f32_e32 v23, v23, v25
	v_add_f32_e32 v23, v23, v24
	v_cvt_i32_f32_e32 v24, v25
	v_exp_f32_e32 v23, v23
	v_cmp_nlt_f32_e32 vcc, s36, v22
	v_ldexp_f32 v23, v23, v24
	s_nop 0
	v_cndmask_b32_e32 v23, 0, v23, vcc
	v_cmp_ngt_f32_e32 vcc, s37, v22
	s_nop 1
	v_cndmask_b32_e32 v22, v20, v23, vcc
	v_sub_f32_e32 v22, 1.0, v22
.LBB381_15:                             ;   in Loop: Header=BB381_9 Depth=1
	s_andn2_saveexec_b64 s[14:15], s[14:15]
; %bb.16:                               ;   in Loop: Header=BB381_9 Depth=1
	v_mul_f32_e32 v22, v13, v13
	v_fmamk_f32 v23, v22, 0xba1345e1, v18
	v_fmaak_f32 v23, v22, v23, 0xbcdac9b8
	v_fmaak_f32 v23, v22, v23, 0x3de703be
	v_fmaak_f32 v23, v22, v23, 0xbec09330
	v_fmaak_f32 v22, v22, v23, 0x3e0375d0
	v_fma_f32 v22, |v13|, v22, |v13|
; %bb.17:                               ;   in Loop: Header=BB381_9 Depth=1
	s_or_b64 exec, exec, s[14:15]
	s_waitcnt vmcnt(0)
	v_add_f32_e32 v1, v1, v5
	v_bfi_b32 v5, s38, v22, v13
	v_add_f32_e32 v0, v0, v4
	v_mul_f32_e32 v4, 0.5, v9
	v_add_f32_e32 v5, 1.0, v5
	v_bfi_b32 v12, s38, v21, v12
	v_mul_f32_e32 v9, v4, v5
	v_add_f32_e32 v4, v10, v14
	v_mul_f32_e32 v8, 0.5, v8
	v_add_f32_e32 v12, 1.0, v12
	v_mul_f32_e32 v5, 0x3f3504f3, v4
	v_mul_f32_e32 v8, v8, v12
	v_cmp_nlt_f32_e64 s[14:15], |v5|, 1.0
	;;#ASMSTART
	v_pk_mul_f32 v[0:1], v[8:9], v[0:1]
	;;#ASMEND
                                        ; implicit-def: $vgpr8
	s_and_saveexec_b64 s[40:41], s[14:15]
	s_xor_b64 s[14:15], exec, s[40:41]
	s_cbranch_execz .LBB381_19
; %bb.18:                               ;   in Loop: Header=BB381_9 Depth=1
	v_fma_f32 v8, |v5|, s28, v19
	v_fma_f32 v8, |v5|, v8, s29
	;; [unrolled: 1-line block ×6, first 2 shown]
	v_fma_f32 v8, |v5|, v8, |v5|
	v_mul_f32_e32 v9, 0xbfb8aa3b, v8
	v_fma_f32 v10, v8, s35, -v9
	v_rndne_f32_e32 v12, v9
	v_fmac_f32_e32 v10, 0xb2a5705f, v8
	v_sub_f32_e32 v9, v9, v12
	v_add_f32_e32 v9, v9, v10
	v_cvt_i32_f32_e32 v10, v12
	v_exp_f32_e32 v9, v9
	v_cmp_nlt_f32_e32 vcc, s36, v8
	v_ldexp_f32 v9, v9, v10
	s_nop 0
	v_cndmask_b32_e32 v9, 0, v9, vcc
	v_cmp_ngt_f32_e32 vcc, s37, v8
	s_nop 1
	v_cndmask_b32_e32 v8, v20, v9, vcc
	v_sub_f32_e32 v8, 1.0, v8
.LBB381_19:                             ;   in Loop: Header=BB381_9 Depth=1
	s_andn2_saveexec_b64 s[14:15], s[14:15]
; %bb.20:                               ;   in Loop: Header=BB381_9 Depth=1
	v_mul_f32_e32 v8, v5, v5
	v_fmamk_f32 v9, v8, 0xba1345e1, v18
	v_fmaak_f32 v9, v8, v9, 0xbcdac9b8
	v_fmaak_f32 v9, v8, v9, 0x3de703be
	;; [unrolled: 1-line block ×4, first 2 shown]
	v_fma_f32 v8, |v5|, v8, |v5|
; %bb.21:                               ;   in Loop: Header=BB381_9 Depth=1
	s_or_b64 exec, exec, s[14:15]
	v_add_f32_e32 v9, v11, v15
	v_mul_f32_e32 v10, 0x3f3504f3, v9
	v_cmp_nlt_f32_e64 s[14:15], |v10|, 1.0
                                        ; implicit-def: $vgpr11
	s_and_saveexec_b64 s[40:41], s[14:15]
	s_xor_b64 s[14:15], exec, s[40:41]
	s_cbranch_execz .LBB381_23
; %bb.22:                               ;   in Loop: Header=BB381_9 Depth=1
	v_fma_f32 v11, |v10|, s28, v19
	v_fma_f32 v11, |v10|, v11, s29
	;; [unrolled: 1-line block ×6, first 2 shown]
	v_fma_f32 v11, |v10|, v11, |v10|
	v_mul_f32_e32 v12, 0xbfb8aa3b, v11
	v_fma_f32 v13, v11, s35, -v12
	v_rndne_f32_e32 v14, v12
	v_fmac_f32_e32 v13, 0xb2a5705f, v11
	v_sub_f32_e32 v12, v12, v14
	v_add_f32_e32 v12, v12, v13
	v_cvt_i32_f32_e32 v13, v14
	v_exp_f32_e32 v12, v12
	v_cmp_nlt_f32_e32 vcc, s36, v11
	v_ldexp_f32 v12, v12, v13
	s_nop 0
	v_cndmask_b32_e32 v12, 0, v12, vcc
	v_cmp_ngt_f32_e32 vcc, s37, v11
	s_nop 1
	v_cndmask_b32_e32 v11, v20, v12, vcc
	v_sub_f32_e32 v11, 1.0, v11
.LBB381_23:                             ;   in Loop: Header=BB381_9 Depth=1
	s_andn2_saveexec_b64 s[14:15], s[14:15]
	s_cbranch_execz .LBB381_8
; %bb.24:                               ;   in Loop: Header=BB381_9 Depth=1
	v_mul_f32_e32 v11, v10, v10
	v_fmamk_f32 v12, v11, 0xba1345e1, v18
	v_fmaak_f32 v12, v11, v12, 0xbcdac9b8
	v_fmaak_f32 v12, v11, v12, 0x3de703be
	;; [unrolled: 1-line block ×4, first 2 shown]
	v_fma_f32 v11, |v10|, v11, |v10|
	s_branch .LBB381_8
.LBB381_25:
	s_endpgm
	.section	.rodata,"a",@progbits
	.p2align	6, 0x0
	.amdhsa_kernel _ZN5aiter23act_and_mul_bias_kernelIftafTnPFfRKT2_EXadL_ZNS_11gelu_kernelIfEEfRKT_EELi4EEEvPT0_PS8_PKT1_PS2_il
		.amdhsa_group_segment_fixed_size 0
		.amdhsa_private_segment_fixed_size 0
		.amdhsa_kernarg_size 304
		.amdhsa_user_sgpr_count 2
		.amdhsa_user_sgpr_dispatch_ptr 0
		.amdhsa_user_sgpr_queue_ptr 0
		.amdhsa_user_sgpr_kernarg_segment_ptr 1
		.amdhsa_user_sgpr_dispatch_id 0
		.amdhsa_user_sgpr_kernarg_preload_length 0
		.amdhsa_user_sgpr_kernarg_preload_offset 0
		.amdhsa_user_sgpr_private_segment_size 0
		.amdhsa_uses_dynamic_stack 0
		.amdhsa_enable_private_segment 0
		.amdhsa_system_sgpr_workgroup_id_x 1
		.amdhsa_system_sgpr_workgroup_id_y 0
		.amdhsa_system_sgpr_workgroup_id_z 0
		.amdhsa_system_sgpr_workgroup_info 0
		.amdhsa_system_vgpr_workitem_id 0
		.amdhsa_next_free_vgpr 26
		.amdhsa_next_free_sgpr 42
		.amdhsa_accum_offset 28
		.amdhsa_reserve_vcc 1
		.amdhsa_float_round_mode_32 0
		.amdhsa_float_round_mode_16_64 0
		.amdhsa_float_denorm_mode_32 3
		.amdhsa_float_denorm_mode_16_64 3
		.amdhsa_dx10_clamp 1
		.amdhsa_ieee_mode 1
		.amdhsa_fp16_overflow 0
		.amdhsa_tg_split 0
		.amdhsa_exception_fp_ieee_invalid_op 0
		.amdhsa_exception_fp_denorm_src 0
		.amdhsa_exception_fp_ieee_div_zero 0
		.amdhsa_exception_fp_ieee_overflow 0
		.amdhsa_exception_fp_ieee_underflow 0
		.amdhsa_exception_fp_ieee_inexact 0
		.amdhsa_exception_int_div_zero 0
	.end_amdhsa_kernel
	.section	.text._ZN5aiter23act_and_mul_bias_kernelIftafTnPFfRKT2_EXadL_ZNS_11gelu_kernelIfEEfRKT_EELi4EEEvPT0_PS8_PKT1_PS2_il,"axG",@progbits,_ZN5aiter23act_and_mul_bias_kernelIftafTnPFfRKT2_EXadL_ZNS_11gelu_kernelIfEEfRKT_EELi4EEEvPT0_PS8_PKT1_PS2_il,comdat
.Lfunc_end381:
	.size	_ZN5aiter23act_and_mul_bias_kernelIftafTnPFfRKT2_EXadL_ZNS_11gelu_kernelIfEEfRKT_EELi4EEEvPT0_PS8_PKT1_PS2_il, .Lfunc_end381-_ZN5aiter23act_and_mul_bias_kernelIftafTnPFfRKT2_EXadL_ZNS_11gelu_kernelIfEEfRKT_EELi4EEEvPT0_PS8_PKT1_PS2_il
                                        ; -- End function
	.section	.AMDGPU.csdata,"",@progbits
; Kernel info:
; codeLenInByte = 1772
; NumSgprs: 48
; NumVgprs: 26
; NumAgprs: 0
; TotalNumVgprs: 26
; ScratchSize: 0
; MemoryBound: 0
; FloatMode: 240
; IeeeMode: 1
; LDSByteSize: 0 bytes/workgroup (compile time only)
; SGPRBlocks: 5
; VGPRBlocks: 3
; NumSGPRsForWavesPerEU: 48
; NumVGPRsForWavesPerEU: 26
; AccumOffset: 28
; Occupancy: 8
; WaveLimiterHint : 0
; COMPUTE_PGM_RSRC2:SCRATCH_EN: 0
; COMPUTE_PGM_RSRC2:USER_SGPR: 2
; COMPUTE_PGM_RSRC2:TRAP_HANDLER: 0
; COMPUTE_PGM_RSRC2:TGID_X_EN: 1
; COMPUTE_PGM_RSRC2:TGID_Y_EN: 0
; COMPUTE_PGM_RSRC2:TGID_Z_EN: 0
; COMPUTE_PGM_RSRC2:TIDIG_COMP_CNT: 0
; COMPUTE_PGM_RSRC3_GFX90A:ACCUM_OFFSET: 6
; COMPUTE_PGM_RSRC3_GFX90A:TG_SPLIT: 0
	.section	.text._ZN5aiter23act_and_mul_bias_kernelIftafTnPFfRKT2_EXadL_ZNS_11gelu_kernelIfEEfRKT_EELi2EEEvPT0_PS8_PKT1_PS2_il,"axG",@progbits,_ZN5aiter23act_and_mul_bias_kernelIftafTnPFfRKT2_EXadL_ZNS_11gelu_kernelIfEEfRKT_EELi2EEEvPT0_PS8_PKT1_PS2_il,comdat
	.protected	_ZN5aiter23act_and_mul_bias_kernelIftafTnPFfRKT2_EXadL_ZNS_11gelu_kernelIfEEfRKT_EELi2EEEvPT0_PS8_PKT1_PS2_il ; -- Begin function _ZN5aiter23act_and_mul_bias_kernelIftafTnPFfRKT2_EXadL_ZNS_11gelu_kernelIfEEfRKT_EELi2EEEvPT0_PS8_PKT1_PS2_il
	.globl	_ZN5aiter23act_and_mul_bias_kernelIftafTnPFfRKT2_EXadL_ZNS_11gelu_kernelIfEEfRKT_EELi2EEEvPT0_PS8_PKT1_PS2_il
	.p2align	8
	.type	_ZN5aiter23act_and_mul_bias_kernelIftafTnPFfRKT2_EXadL_ZNS_11gelu_kernelIfEEfRKT_EELi2EEEvPT0_PS8_PKT1_PS2_il,@function
_ZN5aiter23act_and_mul_bias_kernelIftafTnPFfRKT2_EXadL_ZNS_11gelu_kernelIfEEfRKT_EELi2EEEvPT0_PS8_PKT1_PS2_il: ; @_ZN5aiter23act_and_mul_bias_kernelIftafTnPFfRKT2_EXadL_ZNS_11gelu_kernelIfEEfRKT_EELi2EEEvPT0_PS8_PKT1_PS2_il
; %bb.0:
	s_load_dwordx2 s[4:5], s[0:1], 0x10
	s_load_dword s24, s[0:1], 0x20
	s_load_dwordx2 s[6:7], s[0:1], 0x28
	v_mov_b32_e32 v1, s2
	s_mov_b32 s9, 0
	s_waitcnt lgkmcnt(0)
	global_load_ubyte v1, v1, s[4:5]
	s_ashr_i32 s25, s24, 31
	s_load_dwordx2 s[4:5], s[0:1], 0x0
	s_mul_hi_u32 s3, s24, s2
	v_mov_b64_e32 v[2:3], s[6:7]
	s_mul_i32 s6, s25, s2
	s_add_i32 s13, s3, s6
	s_mul_i32 s12, s24, s2
	s_lshl_b64 s[6:7], s[12:13], 1
	s_mov_b64 s[10:11], -1
	s_waitcnt vmcnt(0)
	v_readfirstlane_b32 s3, v1
	s_nop 1
	v_mov_b32_e32 v4, s3
	s_sext_i32_i8 s3, s3
	v_readfirstlane_b32 s8, v4
	s_bfe_i64 s[8:9], s[8:9], 0x80000
	s_waitcnt lgkmcnt(0)
	s_add_u32 s4, s4, s6
	s_addc_u32 s5, s5, s7
	s_add_i32 s6, s24, 1
	s_lshr_b32 s7, s6, 31
	s_add_i32 s6, s6, s7
	s_lshl_b32 s6, s6, 1
	s_and_b32 s5, s5, 0xffff
	s_and_b32 s6, s6, -4
	s_cmp_gt_i32 s3, -1
	v_cmp_lt_i64_e32 vcc, s[8:9], v[2:3]
	s_cselect_b64 s[12:13], -1, 0
	s_and_b64 s[12:13], s[12:13], vcc
	s_and_b64 vcc, exec, s[12:13]
	v_lshlrev_b32_e32 v2, 1, v0
	s_cbranch_vccnz .LBB382_5
; %bb.1:
	v_cmp_gt_i32_e32 vcc, s24, v2
	s_and_saveexec_b64 s[10:11], vcc
	s_cbranch_execz .LBB382_4
; %bb.2:
	s_load_dword s3, s[0:1], 0x3c
	v_mov_b32_e32 v3, 0
	s_mov_b32 s13, 0
	v_lshlrev_b32_e32 v4, 2, v0
	s_mov_b64 s[14:15], 0
	s_waitcnt lgkmcnt(0)
	s_and_b32 s3, s3, 0xffff
	s_lshl_b32 s12, s3, 1
	s_lshl_b32 s3, s3, 2
	s_mov_b32 s7, 0x20000
	v_mov_b64_e32 v[0:1], v[2:3]
.LBB382_3:                              ; =>This Inner Loop Header: Depth=1
	v_lshl_add_u64 v[0:1], s[12:13], 0, v[0:1]
	v_cmp_le_i64_e32 vcc, s[24:25], v[0:1]
	buffer_store_dword v3, v4, s[4:7], 0 offen
	s_or_b64 s[14:15], vcc, s[14:15]
	v_add_u32_e32 v4, s3, v4
	s_andn2_b64 exec, exec, s[14:15]
	s_cbranch_execnz .LBB382_3
.LBB382_4:
	s_or_b64 exec, exec, s[10:11]
	s_mov_b64 s[10:11], 0
.LBB382_5:
	s_andn2_b64 vcc, exec, s[10:11]
	s_cbranch_vccnz .LBB382_13
; %bb.6:
	v_cmp_gt_i32_e32 vcc, s24, v2
	s_and_saveexec_b64 s[10:11], vcc
	s_cbranch_execz .LBB382_13
; %bb.7:
	s_load_dwordx2 s[14:15], s[0:1], 0x8
	s_load_dwordx2 s[12:13], s[0:1], 0x18
	s_mul_hi_i32 s9, s24, s8
	s_mul_i32 s8, s24, s8
	s_lshl_b32 s10, s24, 2
	s_lshl_b64 s[8:9], s[8:9], 3
	s_waitcnt lgkmcnt(0)
	s_add_u32 s8, s12, s8
	s_addc_u32 s7, s13, s9
	s_lshl_b64 s[18:19], s[24:25], 2
	s_add_u32 s12, s8, s18
	s_mul_i32 s16, s2, s25
	s_mul_hi_u32 s17, s2, s24
	s_addc_u32 s13, s7, s19
	s_add_i32 s17, s17, s16
	s_mul_i32 s16, s2, s24
	s_and_b32 s9, s7, 0xffff
	s_and_b32 s13, s13, 0xffff
	s_lshl_b64 s[16:17], s[16:17], 3
	s_add_u32 s16, s14, s16
	s_addc_u32 s2, s15, s17
	s_add_u32 s20, s16, s18
	s_addc_u32 s14, s2, s19
	s_and_b32 s17, s2, 0xffff
	s_and_b32 s21, s14, 0xffff
	s_mov_b32 s7, 0x20000
	s_add_u32 s0, s0, 48
	s_mov_b32 s3, 0
	s_mov_b32 s11, s7
	v_mov_b32_e32 v3, 0
	s_addc_u32 s1, s1, 0
	s_mov_b64 s[26:27], 0
	s_mov_b32 s18, s10
	s_mov_b32 s19, s7
	s_mov_b32 s28, 0x3f3504f3
	s_mov_b32 s29, 0x378e98ab
	s_mov_b32 s30, 0x3b7cd369
	s_mov_b32 s31, 0xbcc618b2
	s_mov_b32 s33, 0x3dda74e4
	s_mov_b32 s34, 0x3f228afd
	s_mov_b32 s35, 0x3e03c728
	s_mov_b32 s36, 0xbfb8aa3b
	s_mov_b32 s37, 0x42ce8ed0
	s_mov_b32 s38, 0xc2b17218
	v_mov_b32_e32 v12, 0x3ba10414
	v_mov_b32_e32 v13, 0xb9c68948
	v_mov_b32_e32 v14, 0x7f800000
	s_brev_b32 s39, -2
	s_mov_b32 s40, 0x7060302
	s_mov_b32 s22, s10
	;; [unrolled: 1-line block ×3, first 2 shown]
                                        ; implicit-def: $vgpr0
                                        ; implicit-def: $vgpr0
	;; [unrolled: 1-line block ×4, first 2 shown]
	s_branch .LBB382_9
.LBB382_8:                              ;   in Loop: Header=BB382_9 Depth=1
	s_or_b64 exec, exec, s[14:15]
	v_fma_f32 v10, |v5|, s29, v13
	v_fma_f32 v10, |v5|, v10, s30
	;; [unrolled: 1-line block ×6, first 2 shown]
	v_fma_f32 v10, |v5|, v10, |v5|
	v_mul_f32_e32 v16, 0xbfb8aa3b, v10
	v_fma_f32 v17, v10, s36, -v16
	v_rndne_f32_e32 v18, v16
	v_fmac_f32_e32 v17, 0xb2a5705f, v10
	v_sub_f32_e32 v16, v16, v18
	v_add_f32_e32 v16, v16, v17
	v_exp_f32_e32 v16, v16
	v_cvt_i32_f32_e32 v17, v18
	s_waitcnt vmcnt(0)
	v_pk_add_f32 v[0:1], v[0:1], v[8:9]
	v_fmamk_f32 v9, v11, 0xba1345e1, v12
	v_fmaak_f32 v9, v11, v9, 0xbcdac9b8
	v_ldexp_f32 v8, v16, v17
	v_cmp_nlt_f32_e32 vcc, s37, v10
	v_fmaak_f32 v9, v11, v9, 0x3de703be
	v_fmaak_f32 v9, v11, v9, 0xbec09330
	v_cndmask_b32_e32 v8, 0, v8, vcc
	v_cmp_ngt_f32_e32 vcc, s38, v10
	v_fmaak_f32 v9, v11, v9, 0x3e0375d0
	v_fma_f32 v9, |v5|, v9, |v5|
	v_cndmask_b32_e32 v8, v14, v8, vcc
	v_sub_f32_e32 v8, 1.0, v8
	v_cmp_lt_f32_e64 vcc, |v5|, 1.0
	v_bfi_b32 v4, s39, v15, v4
	v_mul_f32_e32 v7, 0.5, v7
	v_cndmask_b32_e32 v8, v8, v9, vcc
	v_bfi_b32 v5, s39, v8, v5
	v_mul_f32_e32 v6, 0.5, v6
	v_pk_add_f32 v[4:5], v[4:5], 1.0 op_sel_hi:[1,0]
	s_nop 0
	v_pk_mul_f32 v[4:5], v[6:7], v[4:5]
	s_nop 0
	;;#ASMSTART
	v_pk_mul_f32 v[0:1], v[4:5], v[0:1]
	;;#ASMEND
	s_load_dword s2, s[0:1], 0xc
	v_perm_b32 v0, v1, v0, s40
	v_lshlrev_b32_e32 v1, 1, v2
	buffer_store_dword v0, v1, s[4:7], 0 offen
	s_waitcnt lgkmcnt(0)
	s_and_b32 s2, s2, 0xffff
	s_lshl_b32 s2, s2, 1
	v_lshl_add_u64 v[2:3], s[2:3], 0, v[2:3]
	v_cmp_le_i64_e32 vcc, s[24:25], v[2:3]
	s_or_b64 s[26:27], vcc, s[26:27]
	s_andn2_b64 exec, exec, s[26:27]
	s_cbranch_execz .LBB382_13
.LBB382_9:                              ; =>This Inner Loop Header: Depth=1
	v_lshlrev_b32_e32 v8, 2, v2
	buffer_load_dwordx2 v[4:5], v8, s[16:19], 0 offen
	buffer_load_dwordx2 v[0:1], v8, s[20:23], 0 offen
	buffer_load_dwordx2 v[6:7], v8, s[8:11], 0 offen
	s_mov_b32 s14, s10
	s_mov_b32 s15, s11
	buffer_load_dwordx2 v[8:9], v8, s[12:15], 0 offen
                                        ; implicit-def: $vgpr15
	s_waitcnt vmcnt(1)
	v_pk_add_f32 v[6:7], v[4:5], v[6:7]
	s_nop 0
	v_pk_mul_f32 v[4:5], v[6:7], s[28:29] op_sel_hi:[1,0]
	s_nop 0
	v_cmp_nlt_f32_e64 s[14:15], |v4|, 1.0
	s_and_saveexec_b64 s[42:43], s[14:15]
	s_xor_b64 s[14:15], exec, s[42:43]
	s_cbranch_execz .LBB382_11
; %bb.10:                               ;   in Loop: Header=BB382_9 Depth=1
	v_fma_f32 v10, |v4|, s29, v13
	v_fma_f32 v10, |v4|, v10, s30
	;; [unrolled: 1-line block ×6, first 2 shown]
	v_fma_f32 v10, |v4|, v10, |v4|
	v_mul_f32_e32 v11, 0xbfb8aa3b, v10
	v_fma_f32 v15, v10, s36, -v11
	v_rndne_f32_e32 v16, v11
	v_fmac_f32_e32 v15, 0xb2a5705f, v10
	v_sub_f32_e32 v11, v11, v16
	v_add_f32_e32 v11, v11, v15
	v_cvt_i32_f32_e32 v15, v16
	v_exp_f32_e32 v11, v11
	v_cmp_nlt_f32_e32 vcc, s37, v10
	v_ldexp_f32 v11, v11, v15
	s_nop 0
	v_cndmask_b32_e32 v11, 0, v11, vcc
	v_cmp_ngt_f32_e32 vcc, s38, v10
	s_nop 1
	v_cndmask_b32_e32 v10, v14, v11, vcc
	v_sub_f32_e32 v15, 1.0, v10
.LBB382_11:                             ;   in Loop: Header=BB382_9 Depth=1
	s_or_saveexec_b64 s[14:15], s[14:15]
	v_pk_mul_f32 v[10:11], v[4:5], v[4:5]
	s_xor_b64 exec, exec, s[14:15]
	s_cbranch_execz .LBB382_8
; %bb.12:                               ;   in Loop: Header=BB382_9 Depth=1
	v_fmamk_f32 v15, v10, 0xba1345e1, v12
	v_fmaak_f32 v15, v10, v15, 0xbcdac9b8
	v_fmaak_f32 v15, v10, v15, 0x3de703be
	;; [unrolled: 1-line block ×4, first 2 shown]
	v_fma_f32 v15, |v4|, v10, |v4|
	s_branch .LBB382_8
.LBB382_13:
	s_endpgm
	.section	.rodata,"a",@progbits
	.p2align	6, 0x0
	.amdhsa_kernel _ZN5aiter23act_and_mul_bias_kernelIftafTnPFfRKT2_EXadL_ZNS_11gelu_kernelIfEEfRKT_EELi2EEEvPT0_PS8_PKT1_PS2_il
		.amdhsa_group_segment_fixed_size 0
		.amdhsa_private_segment_fixed_size 0
		.amdhsa_kernarg_size 304
		.amdhsa_user_sgpr_count 2
		.amdhsa_user_sgpr_dispatch_ptr 0
		.amdhsa_user_sgpr_queue_ptr 0
		.amdhsa_user_sgpr_kernarg_segment_ptr 1
		.amdhsa_user_sgpr_dispatch_id 0
		.amdhsa_user_sgpr_kernarg_preload_length 0
		.amdhsa_user_sgpr_kernarg_preload_offset 0
		.amdhsa_user_sgpr_private_segment_size 0
		.amdhsa_uses_dynamic_stack 0
		.amdhsa_enable_private_segment 0
		.amdhsa_system_sgpr_workgroup_id_x 1
		.amdhsa_system_sgpr_workgroup_id_y 0
		.amdhsa_system_sgpr_workgroup_id_z 0
		.amdhsa_system_sgpr_workgroup_info 0
		.amdhsa_system_vgpr_workitem_id 0
		.amdhsa_next_free_vgpr 19
		.amdhsa_next_free_sgpr 44
		.amdhsa_accum_offset 20
		.amdhsa_reserve_vcc 1
		.amdhsa_float_round_mode_32 0
		.amdhsa_float_round_mode_16_64 0
		.amdhsa_float_denorm_mode_32 3
		.amdhsa_float_denorm_mode_16_64 3
		.amdhsa_dx10_clamp 1
		.amdhsa_ieee_mode 1
		.amdhsa_fp16_overflow 0
		.amdhsa_tg_split 0
		.amdhsa_exception_fp_ieee_invalid_op 0
		.amdhsa_exception_fp_denorm_src 0
		.amdhsa_exception_fp_ieee_div_zero 0
		.amdhsa_exception_fp_ieee_overflow 0
		.amdhsa_exception_fp_ieee_underflow 0
		.amdhsa_exception_fp_ieee_inexact 0
		.amdhsa_exception_int_div_zero 0
	.end_amdhsa_kernel
	.section	.text._ZN5aiter23act_and_mul_bias_kernelIftafTnPFfRKT2_EXadL_ZNS_11gelu_kernelIfEEfRKT_EELi2EEEvPT0_PS8_PKT1_PS2_il,"axG",@progbits,_ZN5aiter23act_and_mul_bias_kernelIftafTnPFfRKT2_EXadL_ZNS_11gelu_kernelIfEEfRKT_EELi2EEEvPT0_PS8_PKT1_PS2_il,comdat
.Lfunc_end382:
	.size	_ZN5aiter23act_and_mul_bias_kernelIftafTnPFfRKT2_EXadL_ZNS_11gelu_kernelIfEEfRKT_EELi2EEEvPT0_PS8_PKT1_PS2_il, .Lfunc_end382-_ZN5aiter23act_and_mul_bias_kernelIftafTnPFfRKT2_EXadL_ZNS_11gelu_kernelIfEEfRKT_EELi2EEEvPT0_PS8_PKT1_PS2_il
                                        ; -- End function
	.section	.AMDGPU.csdata,"",@progbits
; Kernel info:
; codeLenInByte = 1240
; NumSgprs: 50
; NumVgprs: 19
; NumAgprs: 0
; TotalNumVgprs: 19
; ScratchSize: 0
; MemoryBound: 0
; FloatMode: 240
; IeeeMode: 1
; LDSByteSize: 0 bytes/workgroup (compile time only)
; SGPRBlocks: 6
; VGPRBlocks: 2
; NumSGPRsForWavesPerEU: 50
; NumVGPRsForWavesPerEU: 19
; AccumOffset: 20
; Occupancy: 8
; WaveLimiterHint : 0
; COMPUTE_PGM_RSRC2:SCRATCH_EN: 0
; COMPUTE_PGM_RSRC2:USER_SGPR: 2
; COMPUTE_PGM_RSRC2:TRAP_HANDLER: 0
; COMPUTE_PGM_RSRC2:TGID_X_EN: 1
; COMPUTE_PGM_RSRC2:TGID_Y_EN: 0
; COMPUTE_PGM_RSRC2:TGID_Z_EN: 0
; COMPUTE_PGM_RSRC2:TIDIG_COMP_CNT: 0
; COMPUTE_PGM_RSRC3_GFX90A:ACCUM_OFFSET: 4
; COMPUTE_PGM_RSRC3_GFX90A:TG_SPLIT: 0
	.section	.text._ZN5aiter23act_and_mul_bias_kernelIftafTnPFfRKT2_EXadL_ZNS_11gelu_kernelIfEEfRKT_EELi1EEEvPT0_PS8_PKT1_PS2_il,"axG",@progbits,_ZN5aiter23act_and_mul_bias_kernelIftafTnPFfRKT2_EXadL_ZNS_11gelu_kernelIfEEfRKT_EELi1EEEvPT0_PS8_PKT1_PS2_il,comdat
	.protected	_ZN5aiter23act_and_mul_bias_kernelIftafTnPFfRKT2_EXadL_ZNS_11gelu_kernelIfEEfRKT_EELi1EEEvPT0_PS8_PKT1_PS2_il ; -- Begin function _ZN5aiter23act_and_mul_bias_kernelIftafTnPFfRKT2_EXadL_ZNS_11gelu_kernelIfEEfRKT_EELi1EEEvPT0_PS8_PKT1_PS2_il
	.globl	_ZN5aiter23act_and_mul_bias_kernelIftafTnPFfRKT2_EXadL_ZNS_11gelu_kernelIfEEfRKT_EELi1EEEvPT0_PS8_PKT1_PS2_il
	.p2align	8
	.type	_ZN5aiter23act_and_mul_bias_kernelIftafTnPFfRKT2_EXadL_ZNS_11gelu_kernelIfEEfRKT_EELi1EEEvPT0_PS8_PKT1_PS2_il,@function
_ZN5aiter23act_and_mul_bias_kernelIftafTnPFfRKT2_EXadL_ZNS_11gelu_kernelIfEEfRKT_EELi1EEEvPT0_PS8_PKT1_PS2_il: ; @_ZN5aiter23act_and_mul_bias_kernelIftafTnPFfRKT2_EXadL_ZNS_11gelu_kernelIfEEfRKT_EELi1EEEvPT0_PS8_PKT1_PS2_il
; %bb.0:
	s_load_dwordx2 s[4:5], s[0:1], 0x10
	s_load_dword s20, s[0:1], 0x20
	s_load_dwordx2 s[8:9], s[0:1], 0x28
	v_mov_b32_e32 v1, s2
	s_mov_b32 s11, 0
	s_waitcnt lgkmcnt(0)
	global_load_ubyte v1, v1, s[4:5]
	s_ashr_i32 s21, s20, 31
	s_load_dwordx2 s[4:5], s[0:1], 0x0
	s_mul_hi_u32 s3, s20, s2
	v_mov_b64_e32 v[2:3], s[8:9]
	s_mul_i32 s8, s21, s2
	s_add_i32 s13, s3, s8
	s_mul_i32 s12, s20, s2
	s_lshl_b64 s[8:9], s[12:13], 1
	s_mov_b64 s[6:7], -1
	s_waitcnt vmcnt(0)
	v_readfirstlane_b32 s3, v1
	s_nop 1
	v_mov_b32_e32 v4, s3
	s_sext_i32_i8 s3, s3
	v_readfirstlane_b32 s10, v4
	s_bfe_i64 s[12:13], s[10:11], 0x80000
	s_waitcnt lgkmcnt(0)
	s_add_u32 s8, s4, s8
	s_addc_u32 s4, s5, s9
	s_add_i32 s5, s20, 1
	s_lshr_b32 s10, s5, 31
	s_add_i32 s5, s5, s10
	s_and_b32 s9, s4, 0xffff
	s_lshl_b32 s4, s5, 1
	s_and_b32 s10, s4, -4
	s_cmp_gt_i32 s3, -1
	v_cmp_lt_i64_e32 vcc, s[12:13], v[2:3]
	s_cselect_b64 s[4:5], -1, 0
	s_and_b64 s[4:5], s[4:5], vcc
	s_and_b64 vcc, exec, s[4:5]
	v_cmp_gt_i32_e64 s[4:5], s20, v0
	s_cbranch_vccnz .LBB383_5
; %bb.1:
	s_and_saveexec_b64 s[6:7], s[4:5]
	s_cbranch_execz .LBB383_4
; %bb.2:
	s_load_dword s3, s[0:1], 0x3c
	v_mov_b32_e32 v1, 0
	s_mov_b32 s5, 0
	v_lshlrev_b32_e32 v4, 1, v0
	s_mov_b64 s[14:15], 0
	s_waitcnt lgkmcnt(0)
	s_and_b32 s4, s3, 0xffff
	s_lshl_b32 s3, s4, 1
	s_mov_b32 s11, 0x20000
	v_mov_b64_e32 v[2:3], v[0:1]
.LBB383_3:                              ; =>This Inner Loop Header: Depth=1
	v_lshl_add_u64 v[2:3], v[2:3], 0, s[4:5]
	v_cmp_le_i64_e32 vcc, s[20:21], v[2:3]
	buffer_store_short v1, v4, s[8:11], 0 offen
	s_or_b64 s[14:15], vcc, s[14:15]
	v_add_u32_e32 v4, s3, v4
	s_andn2_b64 exec, exec, s[14:15]
	s_cbranch_execnz .LBB383_3
.LBB383_4:
	s_or_b64 exec, exec, s[6:7]
	s_mov_b64 s[6:7], 0
.LBB383_5:
	s_andn2_b64 vcc, exec, s[6:7]
	s_cbranch_vccnz .LBB383_13
; %bb.6:
	v_cmp_gt_i32_e32 vcc, s20, v0
	s_and_saveexec_b64 s[4:5], vcc
	s_cbranch_execz .LBB383_13
; %bb.7:
	s_load_dwordx2 s[14:15], s[0:1], 0x8
	s_load_dwordx2 s[4:5], s[0:1], 0x18
	s_mul_hi_i32 s13, s20, s12
	s_mul_i32 s12, s20, s12
	s_lshl_b32 s6, s20, 2
	s_lshl_b64 s[12:13], s[12:13], 3
	s_waitcnt lgkmcnt(0)
	s_add_u32 s4, s4, s12
	s_load_dword s18, s[0:1], 0x3c
	s_addc_u32 s1, s5, s13
	s_lshl_b64 s[16:17], s[20:21], 2
	s_add_u32 s0, s4, s16
	s_addc_u32 s3, s1, s17
	s_and_b32 s5, s1, 0xffff
	s_and_b32 s1, s3, 0xffff
	s_mul_i32 s3, s2, s21
	s_mul_hi_u32 s12, s2, s20
	s_add_i32 s3, s12, s3
	s_mul_i32 s2, s2, s20
	s_lshl_b64 s[2:3], s[2:3], 3
	s_add_u32 s12, s14, s2
	s_addc_u32 s2, s15, s3
	s_add_u32 s16, s12, s16
	s_mov_b32 s11, 0x20000
	s_addc_u32 s3, s2, s17
	s_waitcnt lgkmcnt(0)
	s_and_b32 s22, s18, 0xffff
                                        ; implicit-def: $vgpr5
                                        ; implicit-def: $vgpr5
	;; [unrolled: 1-line block ×4, first 2 shown]
	s_mov_b32 s23, 0
	s_mov_b32 s7, s11
	s_and_b32 s13, s2, 0xffff
	s_and_b32 s17, s3, 0xffff
	v_mov_b32_e32 v1, 0
	v_lshlrev_b32_e32 v2, 1, v0
	s_lshl_b32 s26, s22, 1
	v_lshlrev_b32_e32 v3, 2, v0
	s_lshl_b32 s27, s22, 2
	s_mov_b64 s[24:25], 0
	s_mov_b32 s14, s6
	s_mov_b32 s15, s11
	;; [unrolled: 1-line block ×11, first 2 shown]
	v_mov_b32_e32 v4, 0x3ba10414
	s_brev_b32 s38, -2
	s_mov_b32 s18, s6
	s_mov_b32 s19, s11
	v_mov_b32_e32 v5, 0xb9c68948
	v_mov_b32_e32 v6, 0x7f800000
	s_branch .LBB383_9
.LBB383_8:                              ;   in Loop: Header=BB383_9 Depth=1
	s_or_b64 exec, exec, s[2:3]
	s_waitcnt vmcnt(0)
	v_add_f32_e32 v7, v7, v8
	v_mul_f32_e32 v8, 0.5, v9
	v_bfi_b32 v9, s38, v11, v10
	v_add_f32_e32 v9, 1.0, v9
	v_mul_f32_e32 v8, v8, v9
	v_mul_f32_e32 v7, v7, v8
	v_lshl_add_u64 v[0:1], v[0:1], 0, s[22:23]
	v_lshrrev_b32_e32 v7, 16, v7
	v_cmp_le_i64_e32 vcc, s[20:21], v[0:1]
	buffer_store_short v7, v2, s[8:11], 0 offen
	v_add_u32_e32 v2, s26, v2
	s_or_b64 s[24:25], vcc, s[24:25]
	v_add_u32_e32 v3, s27, v3
	s_andn2_b64 exec, exec, s[24:25]
	s_cbranch_execz .LBB383_13
.LBB383_9:                              ; =>This Inner Loop Header: Depth=1
	buffer_load_dword v9, v3, s[12:15], 0 offen
	buffer_load_dword v7, v3, s[16:19], 0 offen
	;; [unrolled: 1-line block ×3, first 2 shown]
	s_mov_b32 s2, s6
	s_mov_b32 s3, s7
	buffer_load_dword v8, v3, s[0:3], 0 offen
                                        ; implicit-def: $vgpr11
	s_waitcnt vmcnt(1)
	v_add_f32_e32 v9, v9, v10
	v_mul_f32_e32 v10, 0x3f3504f3, v9
	v_cmp_nlt_f32_e64 s[2:3], |v10|, 1.0
	s_and_saveexec_b64 s[40:41], s[2:3]
	s_xor_b64 s[2:3], exec, s[40:41]
	s_cbranch_execz .LBB383_11
; %bb.10:                               ;   in Loop: Header=BB383_9 Depth=1
	v_fma_f32 v11, |v10|, s28, v5
	v_fma_f32 v11, |v10|, v11, s29
	v_fma_f32 v11, |v10|, v11, s30
	v_fma_f32 v11, |v10|, v11, s31
	v_fma_f32 v11, |v10|, v11, s33
	v_fma_f32 v11, |v10|, v11, s34
	v_fma_f32 v11, |v10|, v11, |v10|
	v_mul_f32_e32 v12, 0xbfb8aa3b, v11
	v_fma_f32 v13, v11, s35, -v12
	v_rndne_f32_e32 v14, v12
	v_fmac_f32_e32 v13, 0xb2a5705f, v11
	v_sub_f32_e32 v12, v12, v14
	v_add_f32_e32 v12, v12, v13
	v_cvt_i32_f32_e32 v13, v14
	v_exp_f32_e32 v12, v12
	v_cmp_nlt_f32_e32 vcc, s36, v11
	v_ldexp_f32 v12, v12, v13
	s_nop 0
	v_cndmask_b32_e32 v12, 0, v12, vcc
	v_cmp_ngt_f32_e32 vcc, s37, v11
	s_nop 1
	v_cndmask_b32_e32 v11, v6, v12, vcc
	v_sub_f32_e32 v11, 1.0, v11
.LBB383_11:                             ;   in Loop: Header=BB383_9 Depth=1
	s_andn2_saveexec_b64 s[2:3], s[2:3]
	s_cbranch_execz .LBB383_8
; %bb.12:                               ;   in Loop: Header=BB383_9 Depth=1
	v_mul_f32_e32 v11, v10, v10
	v_fmamk_f32 v12, v11, 0xba1345e1, v4
	v_fmaak_f32 v12, v11, v12, 0xbcdac9b8
	v_fmaak_f32 v12, v11, v12, 0x3de703be
	;; [unrolled: 1-line block ×4, first 2 shown]
	v_fma_f32 v11, |v10|, v11, |v10|
	s_branch .LBB383_8
.LBB383_13:
	s_endpgm
	.section	.rodata,"a",@progbits
	.p2align	6, 0x0
	.amdhsa_kernel _ZN5aiter23act_and_mul_bias_kernelIftafTnPFfRKT2_EXadL_ZNS_11gelu_kernelIfEEfRKT_EELi1EEEvPT0_PS8_PKT1_PS2_il
		.amdhsa_group_segment_fixed_size 0
		.amdhsa_private_segment_fixed_size 0
		.amdhsa_kernarg_size 304
		.amdhsa_user_sgpr_count 2
		.amdhsa_user_sgpr_dispatch_ptr 0
		.amdhsa_user_sgpr_queue_ptr 0
		.amdhsa_user_sgpr_kernarg_segment_ptr 1
		.amdhsa_user_sgpr_dispatch_id 0
		.amdhsa_user_sgpr_kernarg_preload_length 0
		.amdhsa_user_sgpr_kernarg_preload_offset 0
		.amdhsa_user_sgpr_private_segment_size 0
		.amdhsa_uses_dynamic_stack 0
		.amdhsa_enable_private_segment 0
		.amdhsa_system_sgpr_workgroup_id_x 1
		.amdhsa_system_sgpr_workgroup_id_y 0
		.amdhsa_system_sgpr_workgroup_id_z 0
		.amdhsa_system_sgpr_workgroup_info 0
		.amdhsa_system_vgpr_workitem_id 0
		.amdhsa_next_free_vgpr 15
		.amdhsa_next_free_sgpr 42
		.amdhsa_accum_offset 16
		.amdhsa_reserve_vcc 1
		.amdhsa_float_round_mode_32 0
		.amdhsa_float_round_mode_16_64 0
		.amdhsa_float_denorm_mode_32 3
		.amdhsa_float_denorm_mode_16_64 3
		.amdhsa_dx10_clamp 1
		.amdhsa_ieee_mode 1
		.amdhsa_fp16_overflow 0
		.amdhsa_tg_split 0
		.amdhsa_exception_fp_ieee_invalid_op 0
		.amdhsa_exception_fp_denorm_src 0
		.amdhsa_exception_fp_ieee_div_zero 0
		.amdhsa_exception_fp_ieee_overflow 0
		.amdhsa_exception_fp_ieee_underflow 0
		.amdhsa_exception_fp_ieee_inexact 0
		.amdhsa_exception_int_div_zero 0
	.end_amdhsa_kernel
	.section	.text._ZN5aiter23act_and_mul_bias_kernelIftafTnPFfRKT2_EXadL_ZNS_11gelu_kernelIfEEfRKT_EELi1EEEvPT0_PS8_PKT1_PS2_il,"axG",@progbits,_ZN5aiter23act_and_mul_bias_kernelIftafTnPFfRKT2_EXadL_ZNS_11gelu_kernelIfEEfRKT_EELi1EEEvPT0_PS8_PKT1_PS2_il,comdat
.Lfunc_end383:
	.size	_ZN5aiter23act_and_mul_bias_kernelIftafTnPFfRKT2_EXadL_ZNS_11gelu_kernelIfEEfRKT_EELi1EEEvPT0_PS8_PKT1_PS2_il, .Lfunc_end383-_ZN5aiter23act_and_mul_bias_kernelIftafTnPFfRKT2_EXadL_ZNS_11gelu_kernelIfEEfRKT_EELi1EEEvPT0_PS8_PKT1_PS2_il
                                        ; -- End function
	.section	.AMDGPU.csdata,"",@progbits
; Kernel info:
; codeLenInByte = 976
; NumSgprs: 48
; NumVgprs: 15
; NumAgprs: 0
; TotalNumVgprs: 15
; ScratchSize: 0
; MemoryBound: 0
; FloatMode: 240
; IeeeMode: 1
; LDSByteSize: 0 bytes/workgroup (compile time only)
; SGPRBlocks: 5
; VGPRBlocks: 1
; NumSGPRsForWavesPerEU: 48
; NumVGPRsForWavesPerEU: 15
; AccumOffset: 16
; Occupancy: 8
; WaveLimiterHint : 0
; COMPUTE_PGM_RSRC2:SCRATCH_EN: 0
; COMPUTE_PGM_RSRC2:USER_SGPR: 2
; COMPUTE_PGM_RSRC2:TRAP_HANDLER: 0
; COMPUTE_PGM_RSRC2:TGID_X_EN: 1
; COMPUTE_PGM_RSRC2:TGID_Y_EN: 0
; COMPUTE_PGM_RSRC2:TGID_Z_EN: 0
; COMPUTE_PGM_RSRC2:TIDIG_COMP_CNT: 0
; COMPUTE_PGM_RSRC3_GFX90A:ACCUM_OFFSET: 3
; COMPUTE_PGM_RSRC3_GFX90A:TG_SPLIT: 0
	.section	.text._ZN5aiter23act_and_mul_bias_kernelIfDF16_afTnPFfRKT2_EXadL_ZNS_11gelu_kernelIfEEfRKT_EELi16EEEvPT0_PS8_PKT1_PS2_il,"axG",@progbits,_ZN5aiter23act_and_mul_bias_kernelIfDF16_afTnPFfRKT2_EXadL_ZNS_11gelu_kernelIfEEfRKT_EELi16EEEvPT0_PS8_PKT1_PS2_il,comdat
	.protected	_ZN5aiter23act_and_mul_bias_kernelIfDF16_afTnPFfRKT2_EXadL_ZNS_11gelu_kernelIfEEfRKT_EELi16EEEvPT0_PS8_PKT1_PS2_il ; -- Begin function _ZN5aiter23act_and_mul_bias_kernelIfDF16_afTnPFfRKT2_EXadL_ZNS_11gelu_kernelIfEEfRKT_EELi16EEEvPT0_PS8_PKT1_PS2_il
	.globl	_ZN5aiter23act_and_mul_bias_kernelIfDF16_afTnPFfRKT2_EXadL_ZNS_11gelu_kernelIfEEfRKT_EELi16EEEvPT0_PS8_PKT1_PS2_il
	.p2align	8
	.type	_ZN5aiter23act_and_mul_bias_kernelIfDF16_afTnPFfRKT2_EXadL_ZNS_11gelu_kernelIfEEfRKT_EELi16EEEvPT0_PS8_PKT1_PS2_il,@function
_ZN5aiter23act_and_mul_bias_kernelIfDF16_afTnPFfRKT2_EXadL_ZNS_11gelu_kernelIfEEfRKT_EELi16EEEvPT0_PS8_PKT1_PS2_il: ; @_ZN5aiter23act_and_mul_bias_kernelIfDF16_afTnPFfRKT2_EXadL_ZNS_11gelu_kernelIfEEfRKT_EELi16EEEvPT0_PS8_PKT1_PS2_il
; %bb.0:
	s_load_dwordx2 s[4:5], s[0:1], 0x10
	s_load_dword s24, s[0:1], 0x20
	s_load_dwordx2 s[6:7], s[0:1], 0x28
	v_mov_b32_e32 v1, s2
	s_mov_b32 s9, 0
	s_waitcnt lgkmcnt(0)
	global_load_ubyte v1, v1, s[4:5]
	s_ashr_i32 s25, s24, 31
	s_load_dwordx2 s[4:5], s[0:1], 0x0
	s_mul_hi_u32 s3, s24, s2
	v_mov_b64_e32 v[2:3], s[6:7]
	s_mul_i32 s6, s25, s2
	s_add_i32 s13, s3, s6
	s_mul_i32 s12, s24, s2
	s_lshl_b64 s[6:7], s[12:13], 1
	s_mov_b64 s[10:11], -1
	v_lshlrev_b32_e32 v64, 4, v0
	s_waitcnt vmcnt(0)
	v_readfirstlane_b32 s3, v1
	s_nop 1
	v_mov_b32_e32 v4, s3
	s_sext_i32_i8 s3, s3
	v_readfirstlane_b32 s8, v4
	s_bfe_i64 s[8:9], s[8:9], 0x80000
	s_waitcnt lgkmcnt(0)
	s_add_u32 s4, s4, s6
	s_addc_u32 s5, s5, s7
	s_add_i32 s6, s24, 1
	s_lshr_b32 s7, s6, 31
	s_add_i32 s6, s6, s7
	s_lshl_b32 s6, s6, 1
	s_and_b32 s5, s5, 0xffff
	s_and_b32 s6, s6, -4
	s_cmp_gt_i32 s3, -1
	v_cmp_lt_i64_e32 vcc, s[8:9], v[2:3]
	s_cselect_b64 s[12:13], -1, 0
	s_and_b64 s[12:13], s[12:13], vcc
	s_and_b64 vcc, exec, s[12:13]
	s_cbranch_vccnz .LBB384_5
; %bb.1:
	v_cmp_gt_i32_e32 vcc, s24, v64
	s_and_saveexec_b64 s[10:11], vcc
	s_cbranch_execz .LBB384_4
; %bb.2:
	s_load_dword s3, s[0:1], 0x3c
	s_mov_b32 s13, 0
	s_mov_b32 s16, s13
	;; [unrolled: 1-line block ×3, first 2 shown]
	v_mov_b32_e32 v65, 0
	v_lshlrev_b32_e32 v6, 5, v0
	s_waitcnt lgkmcnt(0)
	s_and_b32 s3, s3, 0xffff
	s_mov_b32 s18, s13
	s_mov_b32 s19, s13
	v_mov_b64_e32 v[0:1], s[16:17]
	s_lshl_b32 s12, s3, 4
	s_lshl_b32 s3, s3, 5
	s_mov_b64 s[14:15], 0
	s_mov_b32 s7, 0x20000
	v_mov_b64_e32 v[2:3], s[18:19]
	v_mov_b64_e32 v[4:5], v[64:65]
.LBB384_3:                              ; =>This Inner Loop Header: Depth=1
	v_lshl_add_u64 v[4:5], s[12:13], 0, v[4:5]
	v_cmp_le_i64_e32 vcc, s[24:25], v[4:5]
	buffer_store_dwordx4 v[0:3], v6, s[4:7], 0 offen
	buffer_store_dwordx4 v[0:3], v6, s[4:7], 16 offen
	s_or_b64 s[14:15], vcc, s[14:15]
	v_add_u32_e32 v6, s3, v6
	s_andn2_b64 exec, exec, s[14:15]
	s_cbranch_execnz .LBB384_3
.LBB384_4:
	s_or_b64 exec, exec, s[10:11]
	s_mov_b64 s[10:11], 0
.LBB384_5:
	s_andn2_b64 vcc, exec, s[10:11]
	s_cbranch_vccnz .LBB384_73
; %bb.6:
	v_cmp_gt_i32_e32 vcc, s24, v64
	s_and_saveexec_b64 s[10:11], vcc
	s_cbranch_execz .LBB384_73
; %bb.7:
	s_load_dwordx2 s[14:15], s[0:1], 0x8
	s_load_dwordx2 s[12:13], s[0:1], 0x18
	s_mul_hi_i32 s9, s24, s8
	s_mul_i32 s8, s24, s8
	s_lshl_b32 s10, s24, 2
	s_lshl_b64 s[8:9], s[8:9], 3
	s_waitcnt lgkmcnt(0)
	s_add_u32 s8, s12, s8
	s_addc_u32 s7, s13, s9
	s_lshl_b64 s[18:19], s[24:25], 2
	s_add_u32 s12, s8, s18
	s_mul_i32 s16, s2, s25
	s_mul_hi_u32 s17, s2, s24
	s_addc_u32 s13, s7, s19
	s_add_i32 s17, s17, s16
	s_mul_i32 s16, s2, s24
	s_and_b32 s9, s7, 0xffff
	s_and_b32 s13, s13, 0xffff
	s_lshl_b64 s[16:17], s[16:17], 3
	s_add_u32 s16, s14, s16
	s_addc_u32 s2, s15, s17
	s_add_u32 s20, s16, s18
	s_addc_u32 s14, s2, s19
	s_and_b32 s17, s2, 0xffff
	s_and_b32 s21, s14, 0xffff
	s_mov_b32 s7, 0x20000
	s_add_u32 s0, s0, 48
	s_mov_b32 s3, 0
	s_mov_b32 s11, s7
	v_mov_b32_e32 v65, 0
	s_addc_u32 s1, s1, 0
	s_mov_b64 s[26:27], 0
	s_mov_b32 s18, s10
	s_mov_b32 s19, s7
	;; [unrolled: 1-line block ×11, first 2 shown]
	v_mov_b32_e32 v66, 0x3ba10414
	s_brev_b32 s38, -2
	s_mov_b32 s22, s10
	s_mov_b32 s23, s7
	v_mov_b32_e32 v67, 0xb9c68948
	v_mov_b32_e32 v68, 0x7f800000
                                        ; implicit-def: $vgpr0
                                        ; implicit-def: $vgpr0
	;; [unrolled: 1-line block ×4, first 2 shown]
	s_branch .LBB384_9
.LBB384_8:                              ;   in Loop: Header=BB384_9 Depth=1
	s_or_b64 exec, exec, s[14:15]
	v_bfi_b32 v5, s38, v8, v5
	v_cvt_f16_f32_e32 v15, v1
	v_bfi_b32 v1, s38, v11, v10
	v_mul_f32_e32 v4, 0.5, v4
	v_add_f32_e32 v5, 1.0, v5
	v_cvt_f16_f32_e32 v14, v0
	v_mul_f32_e32 v0, 0.5, v9
	v_add_f32_e32 v1, 1.0, v1
	v_mul_f32_e32 v4, v4, v5
	v_add_f32_e32 v3, v3, v7
	v_add_f32_e32 v2, v2, v6
	v_mul_f32_e32 v5, v0, v1
	;;#ASMSTART
	v_pk_mul_f32 v[0:1], v[4:5], v[2:3]
	;;#ASMEND
	s_load_dword s2, s[0:1], 0xc
	v_cvt_f16_f32_e32 v7, v16
	v_cvt_f16_f32_e32 v6, v48
	;; [unrolled: 1-line block ×14, first 2 shown]
	s_waitcnt lgkmcnt(0)
	s_and_b32 s2, s2, 0xffff
	s_lshl_b32 s2, s2, 4
	v_pack_b32_f16 v0, v6, v16
	v_lshlrev_b32_e32 v6, 1, v64
	v_lshl_add_u64 v[64:65], s[2:3], 0, v[64:65]
	v_pack_b32_f16 v3, v21, v22
	v_pack_b32_f16 v2, v19, v20
	v_pack_b32_f16 v1, v17, v18
	v_cmp_le_i64_e32 vcc, s[24:25], v[64:65]
	buffer_store_dwordx4 v[0:3], v6, s[4:7], 0 offen
	s_or_b64 s[26:27], vcc, s[26:27]
	s_nop 0
	v_pack_b32_f16 v3, v4, v5
	v_pack_b32_f16 v2, v14, v15
	;; [unrolled: 1-line block ×4, first 2 shown]
	buffer_store_dwordx4 v[0:3], v6, s[4:7], 16 offen
	s_andn2_b64 exec, exec, s[26:27]
	s_cbranch_execz .LBB384_73
.LBB384_9:                              ; =>This Inner Loop Header: Depth=1
	v_lshlrev_b32_e32 v4, 2, v64
	s_mov_b32 s14, s10
	s_mov_b32 s15, s11
	buffer_load_dwordx4 v[56:59], v4, s[16:19], 0 offen
	buffer_load_dwordx4 v[40:43], v4, s[16:19], 16 offen
	;; [unrolled: 1-line block ×15, first 2 shown]
	s_nop 0
	buffer_load_dwordx4 v[4:7], v4, s[12:15], 48 offen
                                        ; implicit-def: $vgpr69
	s_waitcnt vmcnt(7)
	v_add_f32_e32 v56, v56, v60
	v_mul_f32_e32 v60, 0x3f3504f3, v56
	v_cmp_nlt_f32_e64 s[14:15], |v60|, 1.0
	s_and_saveexec_b64 s[40:41], s[14:15]
	s_xor_b64 s[14:15], exec, s[40:41]
	s_cbranch_execz .LBB384_11
; %bb.10:                               ;   in Loop: Header=BB384_9 Depth=1
	v_fma_f32 v69, |v60|, s28, v67
	v_fma_f32 v69, |v60|, v69, s29
	v_fma_f32 v69, |v60|, v69, s30
	v_fma_f32 v69, |v60|, v69, s31
	v_fma_f32 v69, |v60|, v69, s33
	v_fma_f32 v69, |v60|, v69, s34
	v_fma_f32 v69, |v60|, v69, |v60|
	v_mul_f32_e32 v70, 0xbfb8aa3b, v69
	v_fma_f32 v71, v69, s35, -v70
	v_rndne_f32_e32 v72, v70
	v_fmac_f32_e32 v71, 0xb2a5705f, v69
	v_sub_f32_e32 v70, v70, v72
	v_add_f32_e32 v70, v70, v71
	v_cvt_i32_f32_e32 v71, v72
	v_exp_f32_e32 v70, v70
	v_cmp_nlt_f32_e32 vcc, s36, v69
	v_ldexp_f32 v70, v70, v71
	s_nop 0
	v_cndmask_b32_e32 v70, 0, v70, vcc
	v_cmp_ngt_f32_e32 vcc, s37, v69
	s_nop 1
	v_cndmask_b32_e32 v69, v68, v70, vcc
	v_sub_f32_e32 v69, 1.0, v69
.LBB384_11:                             ;   in Loop: Header=BB384_9 Depth=1
	s_andn2_saveexec_b64 s[14:15], s[14:15]
; %bb.12:                               ;   in Loop: Header=BB384_9 Depth=1
	v_mul_f32_e32 v69, v60, v60
	v_fmamk_f32 v70, v69, 0xba1345e1, v66
	v_fmaak_f32 v70, v69, v70, 0xbcdac9b8
	v_fmaak_f32 v70, v69, v70, 0x3de703be
	;; [unrolled: 1-line block ×4, first 2 shown]
	v_fma_f32 v69, |v60|, v69, |v60|
; %bb.13:                               ;   in Loop: Header=BB384_9 Depth=1
	s_or_b64 exec, exec, s[14:15]
	v_add_f32_e32 v57, v57, v61
	v_mul_f32_e32 v61, 0x3f3504f3, v57
	v_cmp_nlt_f32_e64 s[14:15], |v61|, 1.0
                                        ; implicit-def: $vgpr70
	s_and_saveexec_b64 s[40:41], s[14:15]
	s_xor_b64 s[14:15], exec, s[40:41]
	s_cbranch_execz .LBB384_15
; %bb.14:                               ;   in Loop: Header=BB384_9 Depth=1
	v_fma_f32 v70, |v61|, s28, v67
	v_fma_f32 v70, |v61|, v70, s29
	;; [unrolled: 1-line block ×6, first 2 shown]
	v_fma_f32 v70, |v61|, v70, |v61|
	v_mul_f32_e32 v71, 0xbfb8aa3b, v70
	v_fma_f32 v72, v70, s35, -v71
	v_rndne_f32_e32 v73, v71
	v_fmac_f32_e32 v72, 0xb2a5705f, v70
	v_sub_f32_e32 v71, v71, v73
	v_add_f32_e32 v71, v71, v72
	v_cvt_i32_f32_e32 v72, v73
	v_exp_f32_e32 v71, v71
	v_cmp_nlt_f32_e32 vcc, s36, v70
	v_ldexp_f32 v71, v71, v72
	s_nop 0
	v_cndmask_b32_e32 v71, 0, v71, vcc
	v_cmp_ngt_f32_e32 vcc, s37, v70
	s_nop 1
	v_cndmask_b32_e32 v70, v68, v71, vcc
	v_sub_f32_e32 v70, 1.0, v70
.LBB384_15:                             ;   in Loop: Header=BB384_9 Depth=1
	s_andn2_saveexec_b64 s[14:15], s[14:15]
; %bb.16:                               ;   in Loop: Header=BB384_9 Depth=1
	v_mul_f32_e32 v70, v61, v61
	v_fmamk_f32 v71, v70, 0xba1345e1, v66
	v_fmaak_f32 v71, v70, v71, 0xbcdac9b8
	v_fmaak_f32 v71, v70, v71, 0x3de703be
	;; [unrolled: 1-line block ×4, first 2 shown]
	v_fma_f32 v70, |v61|, v70, |v61|
; %bb.17:                               ;   in Loop: Header=BB384_9 Depth=1
	s_or_b64 exec, exec, s[14:15]
	s_waitcnt vmcnt(3)
	v_add_f32_e32 v49, v49, v53
	v_bfi_b32 v53, s38, v70, v61
	v_add_f32_e32 v48, v48, v52
	v_mul_f32_e32 v52, 0.5, v57
	v_add_f32_e32 v53, 1.0, v53
	v_bfi_b32 v60, s38, v69, v60
	v_mul_f32_e32 v57, v52, v53
	v_add_f32_e32 v52, v58, v62
	v_mul_f32_e32 v56, 0.5, v56
	v_add_f32_e32 v60, 1.0, v60
	v_mul_f32_e32 v53, 0x3f3504f3, v52
	v_mul_f32_e32 v56, v56, v60
	v_cmp_nlt_f32_e64 s[14:15], |v53|, 1.0
	;;#ASMSTART
	v_pk_mul_f32 v[48:49], v[56:57], v[48:49]
	;;#ASMEND
                                        ; implicit-def: $vgpr56
	s_and_saveexec_b64 s[40:41], s[14:15]
	s_xor_b64 s[14:15], exec, s[40:41]
	s_cbranch_execz .LBB384_19
; %bb.18:                               ;   in Loop: Header=BB384_9 Depth=1
	v_fma_f32 v56, |v53|, s28, v67
	v_fma_f32 v56, |v53|, v56, s29
	;; [unrolled: 1-line block ×6, first 2 shown]
	v_fma_f32 v56, |v53|, v56, |v53|
	v_mul_f32_e32 v57, 0xbfb8aa3b, v56
	v_fma_f32 v58, v56, s35, -v57
	v_rndne_f32_e32 v60, v57
	v_fmac_f32_e32 v58, 0xb2a5705f, v56
	v_sub_f32_e32 v57, v57, v60
	v_add_f32_e32 v57, v57, v58
	v_cvt_i32_f32_e32 v58, v60
	v_exp_f32_e32 v57, v57
	v_cmp_nlt_f32_e32 vcc, s36, v56
	v_ldexp_f32 v57, v57, v58
	s_nop 0
	v_cndmask_b32_e32 v57, 0, v57, vcc
	v_cmp_ngt_f32_e32 vcc, s37, v56
	s_nop 1
	v_cndmask_b32_e32 v56, v68, v57, vcc
	v_sub_f32_e32 v56, 1.0, v56
.LBB384_19:                             ;   in Loop: Header=BB384_9 Depth=1
	s_andn2_saveexec_b64 s[14:15], s[14:15]
; %bb.20:                               ;   in Loop: Header=BB384_9 Depth=1
	v_mul_f32_e32 v56, v53, v53
	v_fmamk_f32 v57, v56, 0xba1345e1, v66
	v_fmaak_f32 v57, v56, v57, 0xbcdac9b8
	v_fmaak_f32 v57, v56, v57, 0x3de703be
	;; [unrolled: 1-line block ×4, first 2 shown]
	v_fma_f32 v56, |v53|, v56, |v53|
; %bb.21:                               ;   in Loop: Header=BB384_9 Depth=1
	s_or_b64 exec, exec, s[14:15]
	v_add_f32_e32 v57, v59, v63
	v_mul_f32_e32 v58, 0x3f3504f3, v57
	v_cmp_nlt_f32_e64 s[14:15], |v58|, 1.0
                                        ; implicit-def: $vgpr59
	s_and_saveexec_b64 s[40:41], s[14:15]
	s_xor_b64 s[14:15], exec, s[40:41]
	s_cbranch_execz .LBB384_23
; %bb.22:                               ;   in Loop: Header=BB384_9 Depth=1
	v_fma_f32 v59, |v58|, s28, v67
	v_fma_f32 v59, |v58|, v59, s29
	;; [unrolled: 1-line block ×6, first 2 shown]
	v_fma_f32 v59, |v58|, v59, |v58|
	v_mul_f32_e32 v60, 0xbfb8aa3b, v59
	v_fma_f32 v61, v59, s35, -v60
	v_rndne_f32_e32 v62, v60
	v_fmac_f32_e32 v61, 0xb2a5705f, v59
	v_sub_f32_e32 v60, v60, v62
	v_add_f32_e32 v60, v60, v61
	v_cvt_i32_f32_e32 v61, v62
	v_exp_f32_e32 v60, v60
	v_cmp_nlt_f32_e32 vcc, s36, v59
	v_ldexp_f32 v60, v60, v61
	s_nop 0
	v_cndmask_b32_e32 v60, 0, v60, vcc
	v_cmp_ngt_f32_e32 vcc, s37, v59
	s_nop 1
	v_cndmask_b32_e32 v59, v68, v60, vcc
	v_sub_f32_e32 v59, 1.0, v59
.LBB384_23:                             ;   in Loop: Header=BB384_9 Depth=1
	s_andn2_saveexec_b64 s[14:15], s[14:15]
; %bb.24:                               ;   in Loop: Header=BB384_9 Depth=1
	v_mul_f32_e32 v59, v58, v58
	v_fmamk_f32 v60, v59, 0xba1345e1, v66
	v_fmaak_f32 v60, v59, v60, 0xbcdac9b8
	v_fmaak_f32 v60, v59, v60, 0x3de703be
	;; [unrolled: 1-line block ×4, first 2 shown]
	v_fma_f32 v59, |v58|, v59, |v58|
; %bb.25:                               ;   in Loop: Header=BB384_9 Depth=1
	s_or_b64 exec, exec, s[14:15]
	v_bfi_b32 v53, s38, v56, v53
	v_add_f32_e32 v40, v40, v44
	v_mul_f32_e32 v52, 0.5, v52
	v_add_f32_e32 v53, 1.0, v53
	v_add_f32_e32 v50, v50, v54
	v_bfi_b32 v54, s38, v59, v58
	v_mul_f32_e32 v44, 0x3f3504f3, v40
	v_mul_f32_e32 v52, v52, v53
	v_add_f32_e32 v51, v51, v55
	v_mul_f32_e32 v53, 0.5, v57
	v_add_f32_e32 v54, 1.0, v54
	v_cmp_nlt_f32_e64 s[14:15], |v44|, 1.0
	v_mul_f32_e32 v53, v53, v54
	;;#ASMSTART
	v_pk_mul_f32 v[50:51], v[52:53], v[50:51]
	;;#ASMEND
                                        ; implicit-def: $vgpr52
	s_and_saveexec_b64 s[40:41], s[14:15]
	s_xor_b64 s[14:15], exec, s[40:41]
	s_cbranch_execz .LBB384_27
; %bb.26:                               ;   in Loop: Header=BB384_9 Depth=1
	v_fma_f32 v52, |v44|, s28, v67
	v_fma_f32 v52, |v44|, v52, s29
	;; [unrolled: 1-line block ×6, first 2 shown]
	v_fma_f32 v52, |v44|, v52, |v44|
	v_mul_f32_e32 v53, 0xbfb8aa3b, v52
	v_fma_f32 v54, v52, s35, -v53
	v_rndne_f32_e32 v55, v53
	v_fmac_f32_e32 v54, 0xb2a5705f, v52
	v_sub_f32_e32 v53, v53, v55
	v_add_f32_e32 v53, v53, v54
	v_cvt_i32_f32_e32 v54, v55
	v_exp_f32_e32 v53, v53
	v_cmp_nlt_f32_e32 vcc, s36, v52
	v_ldexp_f32 v53, v53, v54
	s_nop 0
	v_cndmask_b32_e32 v53, 0, v53, vcc
	v_cmp_ngt_f32_e32 vcc, s37, v52
	s_nop 1
	v_cndmask_b32_e32 v52, v68, v53, vcc
	v_sub_f32_e32 v52, 1.0, v52
.LBB384_27:                             ;   in Loop: Header=BB384_9 Depth=1
	s_andn2_saveexec_b64 s[14:15], s[14:15]
; %bb.28:                               ;   in Loop: Header=BB384_9 Depth=1
	v_mul_f32_e32 v52, v44, v44
	v_fmamk_f32 v53, v52, 0xba1345e1, v66
	v_fmaak_f32 v53, v52, v53, 0xbcdac9b8
	v_fmaak_f32 v53, v52, v53, 0x3de703be
	;; [unrolled: 1-line block ×4, first 2 shown]
	v_fma_f32 v52, |v44|, v52, |v44|
; %bb.29:                               ;   in Loop: Header=BB384_9 Depth=1
	s_or_b64 exec, exec, s[14:15]
	v_add_f32_e32 v41, v41, v45
	v_mul_f32_e32 v45, 0x3f3504f3, v41
	v_cmp_nlt_f32_e64 s[14:15], |v45|, 1.0
                                        ; implicit-def: $vgpr53
	s_and_saveexec_b64 s[40:41], s[14:15]
	s_xor_b64 s[14:15], exec, s[40:41]
	s_cbranch_execz .LBB384_31
; %bb.30:                               ;   in Loop: Header=BB384_9 Depth=1
	v_fma_f32 v53, |v45|, s28, v67
	v_fma_f32 v53, |v45|, v53, s29
	v_fma_f32 v53, |v45|, v53, s30
	v_fma_f32 v53, |v45|, v53, s31
	v_fma_f32 v53, |v45|, v53, s33
	v_fma_f32 v53, |v45|, v53, s34
	v_fma_f32 v53, |v45|, v53, |v45|
	v_mul_f32_e32 v54, 0xbfb8aa3b, v53
	v_fma_f32 v55, v53, s35, -v54
	v_rndne_f32_e32 v56, v54
	v_fmac_f32_e32 v55, 0xb2a5705f, v53
	v_sub_f32_e32 v54, v54, v56
	v_add_f32_e32 v54, v54, v55
	v_cvt_i32_f32_e32 v55, v56
	v_exp_f32_e32 v54, v54
	v_cmp_nlt_f32_e32 vcc, s36, v53
	v_ldexp_f32 v54, v54, v55
	s_nop 0
	v_cndmask_b32_e32 v54, 0, v54, vcc
	v_cmp_ngt_f32_e32 vcc, s37, v53
	s_nop 1
	v_cndmask_b32_e32 v53, v68, v54, vcc
	v_sub_f32_e32 v53, 1.0, v53
.LBB384_31:                             ;   in Loop: Header=BB384_9 Depth=1
	s_andn2_saveexec_b64 s[14:15], s[14:15]
; %bb.32:                               ;   in Loop: Header=BB384_9 Depth=1
	v_mul_f32_e32 v53, v45, v45
	v_fmamk_f32 v54, v53, 0xba1345e1, v66
	v_fmaak_f32 v54, v53, v54, 0xbcdac9b8
	v_fmaak_f32 v54, v53, v54, 0x3de703be
	;; [unrolled: 1-line block ×4, first 2 shown]
	v_fma_f32 v53, |v45|, v53, |v45|
; %bb.33:                               ;   in Loop: Header=BB384_9 Depth=1
	s_or_b64 exec, exec, s[14:15]
	s_waitcnt vmcnt(2)
	v_add_f32_e32 v33, v33, v37
	v_bfi_b32 v37, s38, v53, v45
	v_add_f32_e32 v32, v32, v36
	v_mul_f32_e32 v36, 0.5, v41
	v_add_f32_e32 v37, 1.0, v37
	v_bfi_b32 v44, s38, v52, v44
	v_mul_f32_e32 v41, v36, v37
	v_add_f32_e32 v36, v42, v46
	v_mul_f32_e32 v40, 0.5, v40
	v_add_f32_e32 v44, 1.0, v44
	v_mul_f32_e32 v37, 0x3f3504f3, v36
	v_mul_f32_e32 v40, v40, v44
	v_cmp_nlt_f32_e64 s[14:15], |v37|, 1.0
	;;#ASMSTART
	v_pk_mul_f32 v[32:33], v[40:41], v[32:33]
	;;#ASMEND
                                        ; implicit-def: $vgpr40
	s_and_saveexec_b64 s[40:41], s[14:15]
	s_xor_b64 s[14:15], exec, s[40:41]
	s_cbranch_execz .LBB384_35
; %bb.34:                               ;   in Loop: Header=BB384_9 Depth=1
	v_fma_f32 v40, |v37|, s28, v67
	v_fma_f32 v40, |v37|, v40, s29
	;; [unrolled: 1-line block ×6, first 2 shown]
	v_fma_f32 v40, |v37|, v40, |v37|
	v_mul_f32_e32 v41, 0xbfb8aa3b, v40
	v_fma_f32 v42, v40, s35, -v41
	v_rndne_f32_e32 v44, v41
	v_fmac_f32_e32 v42, 0xb2a5705f, v40
	v_sub_f32_e32 v41, v41, v44
	v_add_f32_e32 v41, v41, v42
	v_cvt_i32_f32_e32 v42, v44
	v_exp_f32_e32 v41, v41
	v_cmp_nlt_f32_e32 vcc, s36, v40
	v_ldexp_f32 v41, v41, v42
	s_nop 0
	v_cndmask_b32_e32 v41, 0, v41, vcc
	v_cmp_ngt_f32_e32 vcc, s37, v40
	s_nop 1
	v_cndmask_b32_e32 v40, v68, v41, vcc
	v_sub_f32_e32 v40, 1.0, v40
.LBB384_35:                             ;   in Loop: Header=BB384_9 Depth=1
	s_andn2_saveexec_b64 s[14:15], s[14:15]
; %bb.36:                               ;   in Loop: Header=BB384_9 Depth=1
	v_mul_f32_e32 v40, v37, v37
	v_fmamk_f32 v41, v40, 0xba1345e1, v66
	v_fmaak_f32 v41, v40, v41, 0xbcdac9b8
	v_fmaak_f32 v41, v40, v41, 0x3de703be
	;; [unrolled: 1-line block ×4, first 2 shown]
	v_fma_f32 v40, |v37|, v40, |v37|
; %bb.37:                               ;   in Loop: Header=BB384_9 Depth=1
	s_or_b64 exec, exec, s[14:15]
	v_add_f32_e32 v41, v43, v47
	v_mul_f32_e32 v42, 0x3f3504f3, v41
	v_cmp_nlt_f32_e64 s[14:15], |v42|, 1.0
                                        ; implicit-def: $vgpr43
	s_and_saveexec_b64 s[40:41], s[14:15]
	s_xor_b64 s[14:15], exec, s[40:41]
	s_cbranch_execz .LBB384_39
; %bb.38:                               ;   in Loop: Header=BB384_9 Depth=1
	v_fma_f32 v43, |v42|, s28, v67
	v_fma_f32 v43, |v42|, v43, s29
	v_fma_f32 v43, |v42|, v43, s30
	v_fma_f32 v43, |v42|, v43, s31
	v_fma_f32 v43, |v42|, v43, s33
	v_fma_f32 v43, |v42|, v43, s34
	v_fma_f32 v43, |v42|, v43, |v42|
	v_mul_f32_e32 v44, 0xbfb8aa3b, v43
	v_fma_f32 v45, v43, s35, -v44
	v_rndne_f32_e32 v46, v44
	v_fmac_f32_e32 v45, 0xb2a5705f, v43
	v_sub_f32_e32 v44, v44, v46
	v_add_f32_e32 v44, v44, v45
	v_cvt_i32_f32_e32 v45, v46
	v_exp_f32_e32 v44, v44
	v_cmp_nlt_f32_e32 vcc, s36, v43
	v_ldexp_f32 v44, v44, v45
	s_nop 0
	v_cndmask_b32_e32 v44, 0, v44, vcc
	v_cmp_ngt_f32_e32 vcc, s37, v43
	s_nop 1
	v_cndmask_b32_e32 v43, v68, v44, vcc
	v_sub_f32_e32 v43, 1.0, v43
.LBB384_39:                             ;   in Loop: Header=BB384_9 Depth=1
	s_andn2_saveexec_b64 s[14:15], s[14:15]
; %bb.40:                               ;   in Loop: Header=BB384_9 Depth=1
	v_mul_f32_e32 v43, v42, v42
	v_fmamk_f32 v44, v43, 0xba1345e1, v66
	v_fmaak_f32 v44, v43, v44, 0xbcdac9b8
	v_fmaak_f32 v44, v43, v44, 0x3de703be
	;; [unrolled: 1-line block ×4, first 2 shown]
	v_fma_f32 v43, |v42|, v43, |v42|
; %bb.41:                               ;   in Loop: Header=BB384_9 Depth=1
	s_or_b64 exec, exec, s[14:15]
	v_bfi_b32 v37, s38, v40, v37
	v_add_f32_e32 v24, v24, v28
	v_mul_f32_e32 v36, 0.5, v36
	v_add_f32_e32 v37, 1.0, v37
	v_add_f32_e32 v34, v34, v38
	v_bfi_b32 v38, s38, v43, v42
	v_mul_f32_e32 v28, 0x3f3504f3, v24
	v_mul_f32_e32 v36, v36, v37
	v_add_f32_e32 v35, v35, v39
	v_mul_f32_e32 v37, 0.5, v41
	v_add_f32_e32 v38, 1.0, v38
	v_cmp_nlt_f32_e64 s[14:15], |v28|, 1.0
	v_mul_f32_e32 v37, v37, v38
	;;#ASMSTART
	v_pk_mul_f32 v[34:35], v[36:37], v[34:35]
	;;#ASMEND
                                        ; implicit-def: $vgpr36
	s_and_saveexec_b64 s[40:41], s[14:15]
	s_xor_b64 s[14:15], exec, s[40:41]
	s_cbranch_execz .LBB384_43
; %bb.42:                               ;   in Loop: Header=BB384_9 Depth=1
	v_fma_f32 v36, |v28|, s28, v67
	v_fma_f32 v36, |v28|, v36, s29
	;; [unrolled: 1-line block ×6, first 2 shown]
	v_fma_f32 v36, |v28|, v36, |v28|
	v_mul_f32_e32 v37, 0xbfb8aa3b, v36
	v_fma_f32 v38, v36, s35, -v37
	v_rndne_f32_e32 v39, v37
	v_fmac_f32_e32 v38, 0xb2a5705f, v36
	v_sub_f32_e32 v37, v37, v39
	v_add_f32_e32 v37, v37, v38
	v_cvt_i32_f32_e32 v38, v39
	v_exp_f32_e32 v37, v37
	v_cmp_nlt_f32_e32 vcc, s36, v36
	v_ldexp_f32 v37, v37, v38
	s_nop 0
	v_cndmask_b32_e32 v37, 0, v37, vcc
	v_cmp_ngt_f32_e32 vcc, s37, v36
	s_nop 1
	v_cndmask_b32_e32 v36, v68, v37, vcc
	v_sub_f32_e32 v36, 1.0, v36
.LBB384_43:                             ;   in Loop: Header=BB384_9 Depth=1
	s_andn2_saveexec_b64 s[14:15], s[14:15]
; %bb.44:                               ;   in Loop: Header=BB384_9 Depth=1
	v_mul_f32_e32 v36, v28, v28
	v_fmamk_f32 v37, v36, 0xba1345e1, v66
	v_fmaak_f32 v37, v36, v37, 0xbcdac9b8
	v_fmaak_f32 v37, v36, v37, 0x3de703be
	;; [unrolled: 1-line block ×4, first 2 shown]
	v_fma_f32 v36, |v28|, v36, |v28|
; %bb.45:                               ;   in Loop: Header=BB384_9 Depth=1
	s_or_b64 exec, exec, s[14:15]
	v_add_f32_e32 v25, v25, v29
	v_mul_f32_e32 v29, 0x3f3504f3, v25
	v_cmp_nlt_f32_e64 s[14:15], |v29|, 1.0
                                        ; implicit-def: $vgpr37
	s_and_saveexec_b64 s[40:41], s[14:15]
	s_xor_b64 s[14:15], exec, s[40:41]
	s_cbranch_execz .LBB384_47
; %bb.46:                               ;   in Loop: Header=BB384_9 Depth=1
	v_fma_f32 v37, |v29|, s28, v67
	v_fma_f32 v37, |v29|, v37, s29
	;; [unrolled: 1-line block ×6, first 2 shown]
	v_fma_f32 v37, |v29|, v37, |v29|
	v_mul_f32_e32 v38, 0xbfb8aa3b, v37
	v_fma_f32 v39, v37, s35, -v38
	v_rndne_f32_e32 v40, v38
	v_fmac_f32_e32 v39, 0xb2a5705f, v37
	v_sub_f32_e32 v38, v38, v40
	v_add_f32_e32 v38, v38, v39
	v_cvt_i32_f32_e32 v39, v40
	v_exp_f32_e32 v38, v38
	v_cmp_nlt_f32_e32 vcc, s36, v37
	v_ldexp_f32 v38, v38, v39
	s_nop 0
	v_cndmask_b32_e32 v38, 0, v38, vcc
	v_cmp_ngt_f32_e32 vcc, s37, v37
	s_nop 1
	v_cndmask_b32_e32 v37, v68, v38, vcc
	v_sub_f32_e32 v37, 1.0, v37
.LBB384_47:                             ;   in Loop: Header=BB384_9 Depth=1
	s_andn2_saveexec_b64 s[14:15], s[14:15]
; %bb.48:                               ;   in Loop: Header=BB384_9 Depth=1
	v_mul_f32_e32 v37, v29, v29
	v_fmamk_f32 v38, v37, 0xba1345e1, v66
	v_fmaak_f32 v38, v37, v38, 0xbcdac9b8
	v_fmaak_f32 v38, v37, v38, 0x3de703be
	;; [unrolled: 1-line block ×4, first 2 shown]
	v_fma_f32 v37, |v29|, v37, |v29|
; %bb.49:                               ;   in Loop: Header=BB384_9 Depth=1
	s_or_b64 exec, exec, s[14:15]
	s_waitcnt vmcnt(1)
	v_add_f32_e32 v17, v17, v21
	v_bfi_b32 v21, s38, v37, v29
	v_add_f32_e32 v16, v16, v20
	v_mul_f32_e32 v20, 0.5, v25
	v_add_f32_e32 v21, 1.0, v21
	v_bfi_b32 v28, s38, v36, v28
	v_mul_f32_e32 v25, v20, v21
	v_add_f32_e32 v20, v26, v30
	v_mul_f32_e32 v24, 0.5, v24
	v_add_f32_e32 v28, 1.0, v28
	v_mul_f32_e32 v21, 0x3f3504f3, v20
	v_mul_f32_e32 v24, v24, v28
	v_cmp_nlt_f32_e64 s[14:15], |v21|, 1.0
	;;#ASMSTART
	v_pk_mul_f32 v[16:17], v[24:25], v[16:17]
	;;#ASMEND
                                        ; implicit-def: $vgpr24
	s_and_saveexec_b64 s[40:41], s[14:15]
	s_xor_b64 s[14:15], exec, s[40:41]
	s_cbranch_execz .LBB384_51
; %bb.50:                               ;   in Loop: Header=BB384_9 Depth=1
	v_fma_f32 v24, |v21|, s28, v67
	v_fma_f32 v24, |v21|, v24, s29
	v_fma_f32 v24, |v21|, v24, s30
	v_fma_f32 v24, |v21|, v24, s31
	v_fma_f32 v24, |v21|, v24, s33
	v_fma_f32 v24, |v21|, v24, s34
	v_fma_f32 v24, |v21|, v24, |v21|
	v_mul_f32_e32 v25, 0xbfb8aa3b, v24
	v_fma_f32 v26, v24, s35, -v25
	v_rndne_f32_e32 v28, v25
	v_fmac_f32_e32 v26, 0xb2a5705f, v24
	v_sub_f32_e32 v25, v25, v28
	v_add_f32_e32 v25, v25, v26
	v_cvt_i32_f32_e32 v26, v28
	v_exp_f32_e32 v25, v25
	v_cmp_nlt_f32_e32 vcc, s36, v24
	v_ldexp_f32 v25, v25, v26
	s_nop 0
	v_cndmask_b32_e32 v25, 0, v25, vcc
	v_cmp_ngt_f32_e32 vcc, s37, v24
	s_nop 1
	v_cndmask_b32_e32 v24, v68, v25, vcc
	v_sub_f32_e32 v24, 1.0, v24
.LBB384_51:                             ;   in Loop: Header=BB384_9 Depth=1
	s_andn2_saveexec_b64 s[14:15], s[14:15]
; %bb.52:                               ;   in Loop: Header=BB384_9 Depth=1
	v_mul_f32_e32 v24, v21, v21
	v_fmamk_f32 v25, v24, 0xba1345e1, v66
	v_fmaak_f32 v25, v24, v25, 0xbcdac9b8
	v_fmaak_f32 v25, v24, v25, 0x3de703be
	;; [unrolled: 1-line block ×4, first 2 shown]
	v_fma_f32 v24, |v21|, v24, |v21|
; %bb.53:                               ;   in Loop: Header=BB384_9 Depth=1
	s_or_b64 exec, exec, s[14:15]
	v_add_f32_e32 v25, v27, v31
	v_mul_f32_e32 v26, 0x3f3504f3, v25
	v_cmp_nlt_f32_e64 s[14:15], |v26|, 1.0
                                        ; implicit-def: $vgpr27
	s_and_saveexec_b64 s[40:41], s[14:15]
	s_xor_b64 s[14:15], exec, s[40:41]
	s_cbranch_execz .LBB384_55
; %bb.54:                               ;   in Loop: Header=BB384_9 Depth=1
	v_fma_f32 v27, |v26|, s28, v67
	v_fma_f32 v27, |v26|, v27, s29
	;; [unrolled: 1-line block ×6, first 2 shown]
	v_fma_f32 v27, |v26|, v27, |v26|
	v_mul_f32_e32 v28, 0xbfb8aa3b, v27
	v_fma_f32 v29, v27, s35, -v28
	v_rndne_f32_e32 v30, v28
	v_fmac_f32_e32 v29, 0xb2a5705f, v27
	v_sub_f32_e32 v28, v28, v30
	v_add_f32_e32 v28, v28, v29
	v_cvt_i32_f32_e32 v29, v30
	v_exp_f32_e32 v28, v28
	v_cmp_nlt_f32_e32 vcc, s36, v27
	v_ldexp_f32 v28, v28, v29
	s_nop 0
	v_cndmask_b32_e32 v28, 0, v28, vcc
	v_cmp_ngt_f32_e32 vcc, s37, v27
	s_nop 1
	v_cndmask_b32_e32 v27, v68, v28, vcc
	v_sub_f32_e32 v27, 1.0, v27
.LBB384_55:                             ;   in Loop: Header=BB384_9 Depth=1
	s_andn2_saveexec_b64 s[14:15], s[14:15]
; %bb.56:                               ;   in Loop: Header=BB384_9 Depth=1
	v_mul_f32_e32 v27, v26, v26
	v_fmamk_f32 v28, v27, 0xba1345e1, v66
	v_fmaak_f32 v28, v27, v28, 0xbcdac9b8
	v_fmaak_f32 v28, v27, v28, 0x3de703be
	;; [unrolled: 1-line block ×4, first 2 shown]
	v_fma_f32 v27, |v26|, v27, |v26|
; %bb.57:                               ;   in Loop: Header=BB384_9 Depth=1
	s_or_b64 exec, exec, s[14:15]
	v_bfi_b32 v21, s38, v24, v21
	v_add_f32_e32 v8, v8, v12
	v_mul_f32_e32 v20, 0.5, v20
	v_add_f32_e32 v21, 1.0, v21
	v_add_f32_e32 v18, v18, v22
	v_bfi_b32 v22, s38, v27, v26
	v_mul_f32_e32 v12, 0x3f3504f3, v8
	v_mul_f32_e32 v20, v20, v21
	v_add_f32_e32 v19, v19, v23
	v_mul_f32_e32 v21, 0.5, v25
	v_add_f32_e32 v22, 1.0, v22
	v_cmp_nlt_f32_e64 s[14:15], |v12|, 1.0
	v_mul_f32_e32 v21, v21, v22
	;;#ASMSTART
	v_pk_mul_f32 v[18:19], v[20:21], v[18:19]
	;;#ASMEND
                                        ; implicit-def: $vgpr20
	s_and_saveexec_b64 s[40:41], s[14:15]
	s_xor_b64 s[14:15], exec, s[40:41]
	s_cbranch_execz .LBB384_59
; %bb.58:                               ;   in Loop: Header=BB384_9 Depth=1
	v_fma_f32 v20, |v12|, s28, v67
	v_fma_f32 v20, |v12|, v20, s29
	;; [unrolled: 1-line block ×6, first 2 shown]
	v_fma_f32 v20, |v12|, v20, |v12|
	v_mul_f32_e32 v21, 0xbfb8aa3b, v20
	v_fma_f32 v22, v20, s35, -v21
	v_rndne_f32_e32 v23, v21
	v_fmac_f32_e32 v22, 0xb2a5705f, v20
	v_sub_f32_e32 v21, v21, v23
	v_add_f32_e32 v21, v21, v22
	v_cvt_i32_f32_e32 v22, v23
	v_exp_f32_e32 v21, v21
	v_cmp_nlt_f32_e32 vcc, s36, v20
	v_ldexp_f32 v21, v21, v22
	s_nop 0
	v_cndmask_b32_e32 v21, 0, v21, vcc
	v_cmp_ngt_f32_e32 vcc, s37, v20
	s_nop 1
	v_cndmask_b32_e32 v20, v68, v21, vcc
	v_sub_f32_e32 v20, 1.0, v20
.LBB384_59:                             ;   in Loop: Header=BB384_9 Depth=1
	s_andn2_saveexec_b64 s[14:15], s[14:15]
; %bb.60:                               ;   in Loop: Header=BB384_9 Depth=1
	v_mul_f32_e32 v20, v12, v12
	v_fmamk_f32 v21, v20, 0xba1345e1, v66
	v_fmaak_f32 v21, v20, v21, 0xbcdac9b8
	v_fmaak_f32 v21, v20, v21, 0x3de703be
	;; [unrolled: 1-line block ×4, first 2 shown]
	v_fma_f32 v20, |v12|, v20, |v12|
; %bb.61:                               ;   in Loop: Header=BB384_9 Depth=1
	s_or_b64 exec, exec, s[14:15]
	v_add_f32_e32 v9, v9, v13
	v_mul_f32_e32 v13, 0x3f3504f3, v9
	v_cmp_nlt_f32_e64 s[14:15], |v13|, 1.0
                                        ; implicit-def: $vgpr21
	s_and_saveexec_b64 s[40:41], s[14:15]
	s_xor_b64 s[14:15], exec, s[40:41]
	s_cbranch_execz .LBB384_63
; %bb.62:                               ;   in Loop: Header=BB384_9 Depth=1
	v_fma_f32 v21, |v13|, s28, v67
	v_fma_f32 v21, |v13|, v21, s29
	;; [unrolled: 1-line block ×6, first 2 shown]
	v_fma_f32 v21, |v13|, v21, |v13|
	v_mul_f32_e32 v22, 0xbfb8aa3b, v21
	v_fma_f32 v23, v21, s35, -v22
	v_rndne_f32_e32 v24, v22
	v_fmac_f32_e32 v23, 0xb2a5705f, v21
	v_sub_f32_e32 v22, v22, v24
	v_add_f32_e32 v22, v22, v23
	v_cvt_i32_f32_e32 v23, v24
	v_exp_f32_e32 v22, v22
	v_cmp_nlt_f32_e32 vcc, s36, v21
	v_ldexp_f32 v22, v22, v23
	s_nop 0
	v_cndmask_b32_e32 v22, 0, v22, vcc
	v_cmp_ngt_f32_e32 vcc, s37, v21
	s_nop 1
	v_cndmask_b32_e32 v21, v68, v22, vcc
	v_sub_f32_e32 v21, 1.0, v21
.LBB384_63:                             ;   in Loop: Header=BB384_9 Depth=1
	s_andn2_saveexec_b64 s[14:15], s[14:15]
; %bb.64:                               ;   in Loop: Header=BB384_9 Depth=1
	v_mul_f32_e32 v21, v13, v13
	v_fmamk_f32 v22, v21, 0xba1345e1, v66
	v_fmaak_f32 v22, v21, v22, 0xbcdac9b8
	v_fmaak_f32 v22, v21, v22, 0x3de703be
	;; [unrolled: 1-line block ×4, first 2 shown]
	v_fma_f32 v21, |v13|, v21, |v13|
; %bb.65:                               ;   in Loop: Header=BB384_9 Depth=1
	s_or_b64 exec, exec, s[14:15]
	s_waitcnt vmcnt(0)
	v_add_f32_e32 v1, v1, v5
	v_bfi_b32 v5, s38, v21, v13
	v_add_f32_e32 v0, v0, v4
	v_mul_f32_e32 v4, 0.5, v9
	v_add_f32_e32 v5, 1.0, v5
	v_bfi_b32 v12, s38, v20, v12
	v_mul_f32_e32 v9, v4, v5
	v_add_f32_e32 v4, v10, v14
	v_mul_f32_e32 v8, 0.5, v8
	v_add_f32_e32 v12, 1.0, v12
	v_mul_f32_e32 v5, 0x3f3504f3, v4
	v_mul_f32_e32 v8, v8, v12
	v_cmp_nlt_f32_e64 s[14:15], |v5|, 1.0
	;;#ASMSTART
	v_pk_mul_f32 v[0:1], v[8:9], v[0:1]
	;;#ASMEND
                                        ; implicit-def: $vgpr8
	s_and_saveexec_b64 s[40:41], s[14:15]
	s_xor_b64 s[14:15], exec, s[40:41]
	s_cbranch_execz .LBB384_67
; %bb.66:                               ;   in Loop: Header=BB384_9 Depth=1
	v_fma_f32 v8, |v5|, s28, v67
	v_fma_f32 v8, |v5|, v8, s29
	v_fma_f32 v8, |v5|, v8, s30
	v_fma_f32 v8, |v5|, v8, s31
	v_fma_f32 v8, |v5|, v8, s33
	v_fma_f32 v8, |v5|, v8, s34
	v_fma_f32 v8, |v5|, v8, |v5|
	v_mul_f32_e32 v9, 0xbfb8aa3b, v8
	v_fma_f32 v10, v8, s35, -v9
	v_rndne_f32_e32 v12, v9
	v_fmac_f32_e32 v10, 0xb2a5705f, v8
	v_sub_f32_e32 v9, v9, v12
	v_add_f32_e32 v9, v9, v10
	v_cvt_i32_f32_e32 v10, v12
	v_exp_f32_e32 v9, v9
	v_cmp_nlt_f32_e32 vcc, s36, v8
	v_ldexp_f32 v9, v9, v10
	s_nop 0
	v_cndmask_b32_e32 v9, 0, v9, vcc
	v_cmp_ngt_f32_e32 vcc, s37, v8
	s_nop 1
	v_cndmask_b32_e32 v8, v68, v9, vcc
	v_sub_f32_e32 v8, 1.0, v8
.LBB384_67:                             ;   in Loop: Header=BB384_9 Depth=1
	s_andn2_saveexec_b64 s[14:15], s[14:15]
; %bb.68:                               ;   in Loop: Header=BB384_9 Depth=1
	v_mul_f32_e32 v8, v5, v5
	v_fmamk_f32 v9, v8, 0xba1345e1, v66
	v_fmaak_f32 v9, v8, v9, 0xbcdac9b8
	v_fmaak_f32 v9, v8, v9, 0x3de703be
	;; [unrolled: 1-line block ×4, first 2 shown]
	v_fma_f32 v8, |v5|, v8, |v5|
; %bb.69:                               ;   in Loop: Header=BB384_9 Depth=1
	s_or_b64 exec, exec, s[14:15]
	v_add_f32_e32 v9, v11, v15
	v_mul_f32_e32 v10, 0x3f3504f3, v9
	v_cmp_nlt_f32_e64 s[14:15], |v10|, 1.0
                                        ; implicit-def: $vgpr11
	s_and_saveexec_b64 s[40:41], s[14:15]
	s_xor_b64 s[14:15], exec, s[40:41]
	s_cbranch_execz .LBB384_71
; %bb.70:                               ;   in Loop: Header=BB384_9 Depth=1
	v_fma_f32 v11, |v10|, s28, v67
	v_fma_f32 v11, |v10|, v11, s29
	;; [unrolled: 1-line block ×6, first 2 shown]
	v_fma_f32 v11, |v10|, v11, |v10|
	v_mul_f32_e32 v12, 0xbfb8aa3b, v11
	v_fma_f32 v13, v11, s35, -v12
	v_rndne_f32_e32 v14, v12
	v_fmac_f32_e32 v13, 0xb2a5705f, v11
	v_sub_f32_e32 v12, v12, v14
	v_add_f32_e32 v12, v12, v13
	v_cvt_i32_f32_e32 v13, v14
	v_exp_f32_e32 v12, v12
	v_cmp_nlt_f32_e32 vcc, s36, v11
	v_ldexp_f32 v12, v12, v13
	s_nop 0
	v_cndmask_b32_e32 v12, 0, v12, vcc
	v_cmp_ngt_f32_e32 vcc, s37, v11
	s_nop 1
	v_cndmask_b32_e32 v11, v68, v12, vcc
	v_sub_f32_e32 v11, 1.0, v11
.LBB384_71:                             ;   in Loop: Header=BB384_9 Depth=1
	s_andn2_saveexec_b64 s[14:15], s[14:15]
	s_cbranch_execz .LBB384_8
; %bb.72:                               ;   in Loop: Header=BB384_9 Depth=1
	v_mul_f32_e32 v11, v10, v10
	v_fmamk_f32 v12, v11, 0xba1345e1, v66
	v_fmaak_f32 v12, v11, v12, 0xbcdac9b8
	v_fmaak_f32 v12, v11, v12, 0x3de703be
	;; [unrolled: 1-line block ×4, first 2 shown]
	v_fma_f32 v11, |v10|, v11, |v10|
	s_branch .LBB384_8
.LBB384_73:
	s_endpgm
	.section	.rodata,"a",@progbits
	.p2align	6, 0x0
	.amdhsa_kernel _ZN5aiter23act_and_mul_bias_kernelIfDF16_afTnPFfRKT2_EXadL_ZNS_11gelu_kernelIfEEfRKT_EELi16EEEvPT0_PS8_PKT1_PS2_il
		.amdhsa_group_segment_fixed_size 0
		.amdhsa_private_segment_fixed_size 0
		.amdhsa_kernarg_size 304
		.amdhsa_user_sgpr_count 2
		.amdhsa_user_sgpr_dispatch_ptr 0
		.amdhsa_user_sgpr_queue_ptr 0
		.amdhsa_user_sgpr_kernarg_segment_ptr 1
		.amdhsa_user_sgpr_dispatch_id 0
		.amdhsa_user_sgpr_kernarg_preload_length 0
		.amdhsa_user_sgpr_kernarg_preload_offset 0
		.amdhsa_user_sgpr_private_segment_size 0
		.amdhsa_uses_dynamic_stack 0
		.amdhsa_enable_private_segment 0
		.amdhsa_system_sgpr_workgroup_id_x 1
		.amdhsa_system_sgpr_workgroup_id_y 0
		.amdhsa_system_sgpr_workgroup_id_z 0
		.amdhsa_system_sgpr_workgroup_info 0
		.amdhsa_system_vgpr_workitem_id 0
		.amdhsa_next_free_vgpr 74
		.amdhsa_next_free_sgpr 42
		.amdhsa_accum_offset 76
		.amdhsa_reserve_vcc 1
		.amdhsa_float_round_mode_32 0
		.amdhsa_float_round_mode_16_64 0
		.amdhsa_float_denorm_mode_32 3
		.amdhsa_float_denorm_mode_16_64 3
		.amdhsa_dx10_clamp 1
		.amdhsa_ieee_mode 1
		.amdhsa_fp16_overflow 0
		.amdhsa_tg_split 0
		.amdhsa_exception_fp_ieee_invalid_op 0
		.amdhsa_exception_fp_denorm_src 0
		.amdhsa_exception_fp_ieee_div_zero 0
		.amdhsa_exception_fp_ieee_overflow 0
		.amdhsa_exception_fp_ieee_underflow 0
		.amdhsa_exception_fp_ieee_inexact 0
		.amdhsa_exception_int_div_zero 0
	.end_amdhsa_kernel
	.section	.text._ZN5aiter23act_and_mul_bias_kernelIfDF16_afTnPFfRKT2_EXadL_ZNS_11gelu_kernelIfEEfRKT_EELi16EEEvPT0_PS8_PKT1_PS2_il,"axG",@progbits,_ZN5aiter23act_and_mul_bias_kernelIfDF16_afTnPFfRKT2_EXadL_ZNS_11gelu_kernelIfEEfRKT_EELi16EEEvPT0_PS8_PKT1_PS2_il,comdat
.Lfunc_end384:
	.size	_ZN5aiter23act_and_mul_bias_kernelIfDF16_afTnPFfRKT2_EXadL_ZNS_11gelu_kernelIfEEfRKT_EELi16EEEvPT0_PS8_PKT1_PS2_il, .Lfunc_end384-_ZN5aiter23act_and_mul_bias_kernelIfDF16_afTnPFfRKT2_EXadL_ZNS_11gelu_kernelIfEEfRKT_EELi16EEEvPT0_PS8_PKT1_PS2_il
                                        ; -- End function
	.section	.AMDGPU.csdata,"",@progbits
; Kernel info:
; codeLenInByte = 5096
; NumSgprs: 48
; NumVgprs: 74
; NumAgprs: 0
; TotalNumVgprs: 74
; ScratchSize: 0
; MemoryBound: 0
; FloatMode: 240
; IeeeMode: 1
; LDSByteSize: 0 bytes/workgroup (compile time only)
; SGPRBlocks: 5
; VGPRBlocks: 9
; NumSGPRsForWavesPerEU: 48
; NumVGPRsForWavesPerEU: 74
; AccumOffset: 76
; Occupancy: 6
; WaveLimiterHint : 0
; COMPUTE_PGM_RSRC2:SCRATCH_EN: 0
; COMPUTE_PGM_RSRC2:USER_SGPR: 2
; COMPUTE_PGM_RSRC2:TRAP_HANDLER: 0
; COMPUTE_PGM_RSRC2:TGID_X_EN: 1
; COMPUTE_PGM_RSRC2:TGID_Y_EN: 0
; COMPUTE_PGM_RSRC2:TGID_Z_EN: 0
; COMPUTE_PGM_RSRC2:TIDIG_COMP_CNT: 0
; COMPUTE_PGM_RSRC3_GFX90A:ACCUM_OFFSET: 18
; COMPUTE_PGM_RSRC3_GFX90A:TG_SPLIT: 0
	.section	.text._ZN5aiter23act_and_mul_bias_kernelIfDF16_afTnPFfRKT2_EXadL_ZNS_11gelu_kernelIfEEfRKT_EELi8EEEvPT0_PS8_PKT1_PS2_il,"axG",@progbits,_ZN5aiter23act_and_mul_bias_kernelIfDF16_afTnPFfRKT2_EXadL_ZNS_11gelu_kernelIfEEfRKT_EELi8EEEvPT0_PS8_PKT1_PS2_il,comdat
	.protected	_ZN5aiter23act_and_mul_bias_kernelIfDF16_afTnPFfRKT2_EXadL_ZNS_11gelu_kernelIfEEfRKT_EELi8EEEvPT0_PS8_PKT1_PS2_il ; -- Begin function _ZN5aiter23act_and_mul_bias_kernelIfDF16_afTnPFfRKT2_EXadL_ZNS_11gelu_kernelIfEEfRKT_EELi8EEEvPT0_PS8_PKT1_PS2_il
	.globl	_ZN5aiter23act_and_mul_bias_kernelIfDF16_afTnPFfRKT2_EXadL_ZNS_11gelu_kernelIfEEfRKT_EELi8EEEvPT0_PS8_PKT1_PS2_il
	.p2align	8
	.type	_ZN5aiter23act_and_mul_bias_kernelIfDF16_afTnPFfRKT2_EXadL_ZNS_11gelu_kernelIfEEfRKT_EELi8EEEvPT0_PS8_PKT1_PS2_il,@function
_ZN5aiter23act_and_mul_bias_kernelIfDF16_afTnPFfRKT2_EXadL_ZNS_11gelu_kernelIfEEfRKT_EELi8EEEvPT0_PS8_PKT1_PS2_il: ; @_ZN5aiter23act_and_mul_bias_kernelIfDF16_afTnPFfRKT2_EXadL_ZNS_11gelu_kernelIfEEfRKT_EELi8EEEvPT0_PS8_PKT1_PS2_il
; %bb.0:
	s_load_dwordx2 s[4:5], s[0:1], 0x10
	s_load_dword s24, s[0:1], 0x20
	s_load_dwordx2 s[6:7], s[0:1], 0x28
	v_mov_b32_e32 v1, s2
	s_mov_b32 s9, 0
	s_waitcnt lgkmcnt(0)
	global_load_ubyte v1, v1, s[4:5]
	s_ashr_i32 s25, s24, 31
	s_load_dwordx2 s[4:5], s[0:1], 0x0
	s_mul_hi_u32 s3, s24, s2
	v_mov_b64_e32 v[2:3], s[6:7]
	s_mul_i32 s6, s25, s2
	s_add_i32 s13, s3, s6
	s_mul_i32 s12, s24, s2
	s_lshl_b64 s[6:7], s[12:13], 1
	s_mov_b64 s[10:11], -1
	v_lshlrev_b32_e32 v32, 3, v0
	s_waitcnt vmcnt(0)
	v_readfirstlane_b32 s3, v1
	s_nop 1
	v_mov_b32_e32 v4, s3
	s_sext_i32_i8 s3, s3
	v_readfirstlane_b32 s8, v4
	s_bfe_i64 s[8:9], s[8:9], 0x80000
	s_waitcnt lgkmcnt(0)
	s_add_u32 s4, s4, s6
	s_addc_u32 s5, s5, s7
	s_add_i32 s6, s24, 1
	s_lshr_b32 s7, s6, 31
	s_add_i32 s6, s6, s7
	s_lshl_b32 s6, s6, 1
	s_and_b32 s5, s5, 0xffff
	s_and_b32 s6, s6, -4
	s_cmp_gt_i32 s3, -1
	v_cmp_lt_i64_e32 vcc, s[8:9], v[2:3]
	s_cselect_b64 s[12:13], -1, 0
	s_and_b64 s[12:13], s[12:13], vcc
	s_and_b64 vcc, exec, s[12:13]
	s_cbranch_vccnz .LBB385_5
; %bb.1:
	v_cmp_gt_i32_e32 vcc, s24, v32
	s_and_saveexec_b64 s[10:11], vcc
	s_cbranch_execz .LBB385_4
; %bb.2:
	s_load_dword s3, s[0:1], 0x3c
	v_mov_b32_e32 v33, 0
	s_mov_b32 s13, 0
	v_lshlrev_b32_e32 v6, 4, v0
	s_mov_b64 s[14:15], 0
	s_waitcnt lgkmcnt(0)
	s_and_b32 s3, s3, 0xffff
	s_lshl_b32 s12, s3, 3
	s_lshl_b32 s3, s3, 4
	s_mov_b32 s7, 0x20000
	v_mov_b32_e32 v0, v33
	v_mov_b32_e32 v1, v33
	;; [unrolled: 1-line block ×4, first 2 shown]
	v_mov_b64_e32 v[4:5], v[32:33]
.LBB385_3:                              ; =>This Inner Loop Header: Depth=1
	v_lshl_add_u64 v[4:5], s[12:13], 0, v[4:5]
	v_cmp_le_i64_e32 vcc, s[24:25], v[4:5]
	buffer_store_dwordx4 v[0:3], v6, s[4:7], 0 offen
	s_or_b64 s[14:15], vcc, s[14:15]
	v_add_u32_e32 v6, s3, v6
	s_andn2_b64 exec, exec, s[14:15]
	s_cbranch_execnz .LBB385_3
.LBB385_4:
	s_or_b64 exec, exec, s[10:11]
	s_mov_b64 s[10:11], 0
.LBB385_5:
	s_andn2_b64 vcc, exec, s[10:11]
	s_cbranch_vccnz .LBB385_41
; %bb.6:
	v_cmp_gt_i32_e32 vcc, s24, v32
	s_and_saveexec_b64 s[10:11], vcc
	s_cbranch_execz .LBB385_41
; %bb.7:
	s_load_dwordx2 s[14:15], s[0:1], 0x8
	s_load_dwordx2 s[12:13], s[0:1], 0x18
	s_mul_hi_i32 s9, s24, s8
	s_mul_i32 s8, s24, s8
	s_lshl_b32 s10, s24, 2
	s_lshl_b64 s[8:9], s[8:9], 3
	s_waitcnt lgkmcnt(0)
	s_add_u32 s8, s12, s8
	s_addc_u32 s7, s13, s9
	s_lshl_b64 s[18:19], s[24:25], 2
	s_add_u32 s12, s8, s18
	s_mul_i32 s16, s2, s25
	s_mul_hi_u32 s17, s2, s24
	s_addc_u32 s13, s7, s19
	s_add_i32 s17, s17, s16
	s_mul_i32 s16, s2, s24
	s_and_b32 s9, s7, 0xffff
	s_and_b32 s13, s13, 0xffff
	s_lshl_b64 s[16:17], s[16:17], 3
	s_add_u32 s16, s14, s16
	s_addc_u32 s2, s15, s17
	s_add_u32 s20, s16, s18
	s_addc_u32 s14, s2, s19
	s_and_b32 s17, s2, 0xffff
	s_and_b32 s21, s14, 0xffff
	s_mov_b32 s7, 0x20000
	s_add_u32 s0, s0, 48
	s_mov_b32 s3, 0
	s_mov_b32 s11, s7
	v_mov_b32_e32 v33, 0
	s_addc_u32 s1, s1, 0
	s_mov_b64 s[26:27], 0
	s_mov_b32 s18, s10
	s_mov_b32 s19, s7
	s_mov_b32 s28, 0x378e98ab
	s_mov_b32 s29, 0x3b7cd369
	s_mov_b32 s30, 0xbcc618b2
	s_mov_b32 s31, 0x3dda74e4
	s_mov_b32 s33, 0x3f228afd
	s_mov_b32 s34, 0x3e03c728
	s_mov_b32 s35, 0xbfb8aa3b
	s_mov_b32 s36, 0x42ce8ed0
	s_mov_b32 s37, 0xc2b17218
	v_mov_b32_e32 v34, 0x3ba10414
	s_brev_b32 s38, -2
	s_mov_b32 s22, s10
	s_mov_b32 s23, s7
	v_mov_b32_e32 v35, 0xb9c68948
	v_mov_b32_e32 v36, 0x7f800000
                                        ; implicit-def: $vgpr0
                                        ; implicit-def: $vgpr0
	;; [unrolled: 1-line block ×4, first 2 shown]
	s_branch .LBB385_9
.LBB385_8:                              ;   in Loop: Header=BB385_9 Depth=1
	s_or_b64 exec, exec, s[14:15]
	v_bfi_b32 v5, s38, v8, v5
	v_mul_f32_e32 v4, 0.5, v4
	v_add_f32_e32 v5, 1.0, v5
	v_add_f32_e32 v2, v2, v6
	v_bfi_b32 v6, s38, v11, v10
	v_mul_f32_e32 v4, v4, v5
	v_add_f32_e32 v3, v3, v7
	v_mul_f32_e32 v5, 0.5, v9
	v_add_f32_e32 v6, 1.0, v6
	v_mul_f32_e32 v5, v5, v6
	;;#ASMSTART
	v_pk_mul_f32 v[2:3], v[4:5], v[2:3]
	;;#ASMEND
	s_load_dword s2, s[0:1], 0xc
	v_cvt_f16_f32_e32 v12, v18
	v_cvt_f16_f32_e32 v2, v2
	;; [unrolled: 1-line block ×8, first 2 shown]
	s_waitcnt lgkmcnt(0)
	s_and_b32 s2, s2, 0xffff
	s_lshl_b32 s2, s2, 3
	v_pack_b32_f16 v3, v2, v3
	v_pack_b32_f16 v2, v0, v1
	;; [unrolled: 1-line block ×3, first 2 shown]
	v_lshlrev_b32_e32 v4, 1, v32
	v_lshl_add_u64 v[32:33], s[2:3], 0, v[32:33]
	v_cmp_le_i64_e32 vcc, s[24:25], v[32:33]
	v_pack_b32_f16 v0, v7, v8
	s_or_b64 s[26:27], vcc, s[26:27]
	buffer_store_dwordx4 v[0:3], v4, s[4:7], 0 offen
	s_andn2_b64 exec, exec, s[26:27]
	s_cbranch_execz .LBB385_41
.LBB385_9:                              ; =>This Inner Loop Header: Depth=1
	v_lshlrev_b32_e32 v37, 2, v32
	buffer_load_dwordx4 v[24:27], v37, s[16:19], 0 offen
	buffer_load_dwordx4 v[8:11], v37, s[16:19], 16 offen
	buffer_load_dwordx4 v[16:19], v37, s[20:23], 0 offen
	buffer_load_dwordx4 v[0:3], v37, s[20:23], 16 offen
	buffer_load_dwordx4 v[28:31], v37, s[8:11], 0 offen
	buffer_load_dwordx4 v[12:15], v37, s[8:11], 16 offen
	s_mov_b32 s14, s10
	s_mov_b32 s15, s11
	buffer_load_dwordx4 v[20:23], v37, s[12:15], 0 offen
	buffer_load_dwordx4 v[4:7], v37, s[12:15], 16 offen
                                        ; implicit-def: $vgpr37
	s_waitcnt vmcnt(3)
	v_add_f32_e32 v24, v24, v28
	v_mul_f32_e32 v28, 0x3f3504f3, v24
	v_cmp_nlt_f32_e64 s[14:15], |v28|, 1.0
	s_and_saveexec_b64 s[40:41], s[14:15]
	s_xor_b64 s[14:15], exec, s[40:41]
	s_cbranch_execz .LBB385_11
; %bb.10:                               ;   in Loop: Header=BB385_9 Depth=1
	v_fma_f32 v37, |v28|, s28, v35
	v_fma_f32 v37, |v28|, v37, s29
	;; [unrolled: 1-line block ×6, first 2 shown]
	v_fma_f32 v37, |v28|, v37, |v28|
	v_mul_f32_e32 v38, 0xbfb8aa3b, v37
	v_fma_f32 v39, v37, s35, -v38
	v_rndne_f32_e32 v40, v38
	v_fmac_f32_e32 v39, 0xb2a5705f, v37
	v_sub_f32_e32 v38, v38, v40
	v_add_f32_e32 v38, v38, v39
	v_cvt_i32_f32_e32 v39, v40
	v_exp_f32_e32 v38, v38
	v_cmp_nlt_f32_e32 vcc, s36, v37
	v_ldexp_f32 v38, v38, v39
	s_nop 0
	v_cndmask_b32_e32 v38, 0, v38, vcc
	v_cmp_ngt_f32_e32 vcc, s37, v37
	s_nop 1
	v_cndmask_b32_e32 v37, v36, v38, vcc
	v_sub_f32_e32 v37, 1.0, v37
.LBB385_11:                             ;   in Loop: Header=BB385_9 Depth=1
	s_andn2_saveexec_b64 s[14:15], s[14:15]
; %bb.12:                               ;   in Loop: Header=BB385_9 Depth=1
	v_mul_f32_e32 v37, v28, v28
	v_fmamk_f32 v38, v37, 0xba1345e1, v34
	v_fmaak_f32 v38, v37, v38, 0xbcdac9b8
	v_fmaak_f32 v38, v37, v38, 0x3de703be
	;; [unrolled: 1-line block ×4, first 2 shown]
	v_fma_f32 v37, |v28|, v37, |v28|
; %bb.13:                               ;   in Loop: Header=BB385_9 Depth=1
	s_or_b64 exec, exec, s[14:15]
	v_add_f32_e32 v25, v25, v29
	v_mul_f32_e32 v29, 0x3f3504f3, v25
	v_cmp_nlt_f32_e64 s[14:15], |v29|, 1.0
                                        ; implicit-def: $vgpr38
	s_and_saveexec_b64 s[40:41], s[14:15]
	s_xor_b64 s[14:15], exec, s[40:41]
	s_cbranch_execz .LBB385_15
; %bb.14:                               ;   in Loop: Header=BB385_9 Depth=1
	v_fma_f32 v38, |v29|, s28, v35
	v_fma_f32 v38, |v29|, v38, s29
	;; [unrolled: 1-line block ×6, first 2 shown]
	v_fma_f32 v38, |v29|, v38, |v29|
	v_mul_f32_e32 v39, 0xbfb8aa3b, v38
	v_fma_f32 v40, v38, s35, -v39
	v_rndne_f32_e32 v41, v39
	v_fmac_f32_e32 v40, 0xb2a5705f, v38
	v_sub_f32_e32 v39, v39, v41
	v_add_f32_e32 v39, v39, v40
	v_cvt_i32_f32_e32 v40, v41
	v_exp_f32_e32 v39, v39
	v_cmp_nlt_f32_e32 vcc, s36, v38
	v_ldexp_f32 v39, v39, v40
	s_nop 0
	v_cndmask_b32_e32 v39, 0, v39, vcc
	v_cmp_ngt_f32_e32 vcc, s37, v38
	s_nop 1
	v_cndmask_b32_e32 v38, v36, v39, vcc
	v_sub_f32_e32 v38, 1.0, v38
.LBB385_15:                             ;   in Loop: Header=BB385_9 Depth=1
	s_andn2_saveexec_b64 s[14:15], s[14:15]
; %bb.16:                               ;   in Loop: Header=BB385_9 Depth=1
	v_mul_f32_e32 v38, v29, v29
	v_fmamk_f32 v39, v38, 0xba1345e1, v34
	v_fmaak_f32 v39, v38, v39, 0xbcdac9b8
	v_fmaak_f32 v39, v38, v39, 0x3de703be
	;; [unrolled: 1-line block ×4, first 2 shown]
	v_fma_f32 v38, |v29|, v38, |v29|
; %bb.17:                               ;   in Loop: Header=BB385_9 Depth=1
	s_or_b64 exec, exec, s[14:15]
	s_waitcnt vmcnt(1)
	v_add_f32_e32 v17, v17, v21
	v_bfi_b32 v21, s38, v38, v29
	v_add_f32_e32 v16, v16, v20
	v_mul_f32_e32 v20, 0.5, v25
	v_add_f32_e32 v21, 1.0, v21
	v_bfi_b32 v28, s38, v37, v28
	v_mul_f32_e32 v25, v20, v21
	v_add_f32_e32 v20, v26, v30
	v_mul_f32_e32 v24, 0.5, v24
	v_add_f32_e32 v28, 1.0, v28
	v_mul_f32_e32 v21, 0x3f3504f3, v20
	v_mul_f32_e32 v24, v24, v28
	v_cmp_nlt_f32_e64 s[14:15], |v21|, 1.0
	;;#ASMSTART
	v_pk_mul_f32 v[16:17], v[24:25], v[16:17]
	;;#ASMEND
                                        ; implicit-def: $vgpr24
	s_and_saveexec_b64 s[40:41], s[14:15]
	s_xor_b64 s[14:15], exec, s[40:41]
	s_cbranch_execz .LBB385_19
; %bb.18:                               ;   in Loop: Header=BB385_9 Depth=1
	v_fma_f32 v24, |v21|, s28, v35
	v_fma_f32 v24, |v21|, v24, s29
	;; [unrolled: 1-line block ×6, first 2 shown]
	v_fma_f32 v24, |v21|, v24, |v21|
	v_mul_f32_e32 v25, 0xbfb8aa3b, v24
	v_fma_f32 v26, v24, s35, -v25
	v_rndne_f32_e32 v28, v25
	v_fmac_f32_e32 v26, 0xb2a5705f, v24
	v_sub_f32_e32 v25, v25, v28
	v_add_f32_e32 v25, v25, v26
	v_cvt_i32_f32_e32 v26, v28
	v_exp_f32_e32 v25, v25
	v_cmp_nlt_f32_e32 vcc, s36, v24
	v_ldexp_f32 v25, v25, v26
	s_nop 0
	v_cndmask_b32_e32 v25, 0, v25, vcc
	v_cmp_ngt_f32_e32 vcc, s37, v24
	s_nop 1
	v_cndmask_b32_e32 v24, v36, v25, vcc
	v_sub_f32_e32 v24, 1.0, v24
.LBB385_19:                             ;   in Loop: Header=BB385_9 Depth=1
	s_andn2_saveexec_b64 s[14:15], s[14:15]
; %bb.20:                               ;   in Loop: Header=BB385_9 Depth=1
	v_mul_f32_e32 v24, v21, v21
	v_fmamk_f32 v25, v24, 0xba1345e1, v34
	v_fmaak_f32 v25, v24, v25, 0xbcdac9b8
	v_fmaak_f32 v25, v24, v25, 0x3de703be
	;; [unrolled: 1-line block ×4, first 2 shown]
	v_fma_f32 v24, |v21|, v24, |v21|
; %bb.21:                               ;   in Loop: Header=BB385_9 Depth=1
	s_or_b64 exec, exec, s[14:15]
	v_add_f32_e32 v25, v27, v31
	v_mul_f32_e32 v26, 0x3f3504f3, v25
	v_cmp_nlt_f32_e64 s[14:15], |v26|, 1.0
                                        ; implicit-def: $vgpr27
	s_and_saveexec_b64 s[40:41], s[14:15]
	s_xor_b64 s[14:15], exec, s[40:41]
	s_cbranch_execz .LBB385_23
; %bb.22:                               ;   in Loop: Header=BB385_9 Depth=1
	v_fma_f32 v27, |v26|, s28, v35
	v_fma_f32 v27, |v26|, v27, s29
	;; [unrolled: 1-line block ×6, first 2 shown]
	v_fma_f32 v27, |v26|, v27, |v26|
	v_mul_f32_e32 v28, 0xbfb8aa3b, v27
	v_fma_f32 v29, v27, s35, -v28
	v_rndne_f32_e32 v30, v28
	v_fmac_f32_e32 v29, 0xb2a5705f, v27
	v_sub_f32_e32 v28, v28, v30
	v_add_f32_e32 v28, v28, v29
	v_cvt_i32_f32_e32 v29, v30
	v_exp_f32_e32 v28, v28
	v_cmp_nlt_f32_e32 vcc, s36, v27
	v_ldexp_f32 v28, v28, v29
	s_nop 0
	v_cndmask_b32_e32 v28, 0, v28, vcc
	v_cmp_ngt_f32_e32 vcc, s37, v27
	s_nop 1
	v_cndmask_b32_e32 v27, v36, v28, vcc
	v_sub_f32_e32 v27, 1.0, v27
.LBB385_23:                             ;   in Loop: Header=BB385_9 Depth=1
	s_andn2_saveexec_b64 s[14:15], s[14:15]
; %bb.24:                               ;   in Loop: Header=BB385_9 Depth=1
	v_mul_f32_e32 v27, v26, v26
	v_fmamk_f32 v28, v27, 0xba1345e1, v34
	v_fmaak_f32 v28, v27, v28, 0xbcdac9b8
	v_fmaak_f32 v28, v27, v28, 0x3de703be
	;; [unrolled: 1-line block ×4, first 2 shown]
	v_fma_f32 v27, |v26|, v27, |v26|
; %bb.25:                               ;   in Loop: Header=BB385_9 Depth=1
	s_or_b64 exec, exec, s[14:15]
	v_bfi_b32 v21, s38, v24, v21
	v_add_f32_e32 v8, v8, v12
	v_mul_f32_e32 v20, 0.5, v20
	v_add_f32_e32 v21, 1.0, v21
	v_add_f32_e32 v18, v18, v22
	v_bfi_b32 v22, s38, v27, v26
	v_mul_f32_e32 v12, 0x3f3504f3, v8
	v_mul_f32_e32 v20, v20, v21
	v_add_f32_e32 v19, v19, v23
	v_mul_f32_e32 v21, 0.5, v25
	v_add_f32_e32 v22, 1.0, v22
	v_cmp_nlt_f32_e64 s[14:15], |v12|, 1.0
	v_mul_f32_e32 v21, v21, v22
	;;#ASMSTART
	v_pk_mul_f32 v[18:19], v[20:21], v[18:19]
	;;#ASMEND
                                        ; implicit-def: $vgpr20
	s_and_saveexec_b64 s[40:41], s[14:15]
	s_xor_b64 s[14:15], exec, s[40:41]
	s_cbranch_execz .LBB385_27
; %bb.26:                               ;   in Loop: Header=BB385_9 Depth=1
	v_fma_f32 v20, |v12|, s28, v35
	v_fma_f32 v20, |v12|, v20, s29
	;; [unrolled: 1-line block ×6, first 2 shown]
	v_fma_f32 v20, |v12|, v20, |v12|
	v_mul_f32_e32 v21, 0xbfb8aa3b, v20
	v_fma_f32 v22, v20, s35, -v21
	v_rndne_f32_e32 v23, v21
	v_fmac_f32_e32 v22, 0xb2a5705f, v20
	v_sub_f32_e32 v21, v21, v23
	v_add_f32_e32 v21, v21, v22
	v_cvt_i32_f32_e32 v22, v23
	v_exp_f32_e32 v21, v21
	v_cmp_nlt_f32_e32 vcc, s36, v20
	v_ldexp_f32 v21, v21, v22
	s_nop 0
	v_cndmask_b32_e32 v21, 0, v21, vcc
	v_cmp_ngt_f32_e32 vcc, s37, v20
	s_nop 1
	v_cndmask_b32_e32 v20, v36, v21, vcc
	v_sub_f32_e32 v20, 1.0, v20
.LBB385_27:                             ;   in Loop: Header=BB385_9 Depth=1
	s_andn2_saveexec_b64 s[14:15], s[14:15]
; %bb.28:                               ;   in Loop: Header=BB385_9 Depth=1
	v_mul_f32_e32 v20, v12, v12
	v_fmamk_f32 v21, v20, 0xba1345e1, v34
	v_fmaak_f32 v21, v20, v21, 0xbcdac9b8
	v_fmaak_f32 v21, v20, v21, 0x3de703be
	;; [unrolled: 1-line block ×4, first 2 shown]
	v_fma_f32 v20, |v12|, v20, |v12|
; %bb.29:                               ;   in Loop: Header=BB385_9 Depth=1
	s_or_b64 exec, exec, s[14:15]
	v_add_f32_e32 v9, v9, v13
	v_mul_f32_e32 v13, 0x3f3504f3, v9
	v_cmp_nlt_f32_e64 s[14:15], |v13|, 1.0
                                        ; implicit-def: $vgpr21
	s_and_saveexec_b64 s[40:41], s[14:15]
	s_xor_b64 s[14:15], exec, s[40:41]
	s_cbranch_execz .LBB385_31
; %bb.30:                               ;   in Loop: Header=BB385_9 Depth=1
	v_fma_f32 v21, |v13|, s28, v35
	v_fma_f32 v21, |v13|, v21, s29
	;; [unrolled: 1-line block ×6, first 2 shown]
	v_fma_f32 v21, |v13|, v21, |v13|
	v_mul_f32_e32 v22, 0xbfb8aa3b, v21
	v_fma_f32 v23, v21, s35, -v22
	v_rndne_f32_e32 v24, v22
	v_fmac_f32_e32 v23, 0xb2a5705f, v21
	v_sub_f32_e32 v22, v22, v24
	v_add_f32_e32 v22, v22, v23
	v_cvt_i32_f32_e32 v23, v24
	v_exp_f32_e32 v22, v22
	v_cmp_nlt_f32_e32 vcc, s36, v21
	v_ldexp_f32 v22, v22, v23
	s_nop 0
	v_cndmask_b32_e32 v22, 0, v22, vcc
	v_cmp_ngt_f32_e32 vcc, s37, v21
	s_nop 1
	v_cndmask_b32_e32 v21, v36, v22, vcc
	v_sub_f32_e32 v21, 1.0, v21
.LBB385_31:                             ;   in Loop: Header=BB385_9 Depth=1
	s_andn2_saveexec_b64 s[14:15], s[14:15]
; %bb.32:                               ;   in Loop: Header=BB385_9 Depth=1
	v_mul_f32_e32 v21, v13, v13
	v_fmamk_f32 v22, v21, 0xba1345e1, v34
	v_fmaak_f32 v22, v21, v22, 0xbcdac9b8
	v_fmaak_f32 v22, v21, v22, 0x3de703be
	;; [unrolled: 1-line block ×4, first 2 shown]
	v_fma_f32 v21, |v13|, v21, |v13|
; %bb.33:                               ;   in Loop: Header=BB385_9 Depth=1
	s_or_b64 exec, exec, s[14:15]
	s_waitcnt vmcnt(0)
	v_add_f32_e32 v1, v1, v5
	v_bfi_b32 v5, s38, v21, v13
	v_add_f32_e32 v0, v0, v4
	v_mul_f32_e32 v4, 0.5, v9
	v_add_f32_e32 v5, 1.0, v5
	v_bfi_b32 v12, s38, v20, v12
	v_mul_f32_e32 v9, v4, v5
	v_add_f32_e32 v4, v10, v14
	v_mul_f32_e32 v8, 0.5, v8
	v_add_f32_e32 v12, 1.0, v12
	v_mul_f32_e32 v5, 0x3f3504f3, v4
	v_mul_f32_e32 v8, v8, v12
	v_cmp_nlt_f32_e64 s[14:15], |v5|, 1.0
	;;#ASMSTART
	v_pk_mul_f32 v[0:1], v[8:9], v[0:1]
	;;#ASMEND
                                        ; implicit-def: $vgpr8
	s_and_saveexec_b64 s[40:41], s[14:15]
	s_xor_b64 s[14:15], exec, s[40:41]
	s_cbranch_execz .LBB385_35
; %bb.34:                               ;   in Loop: Header=BB385_9 Depth=1
	v_fma_f32 v8, |v5|, s28, v35
	v_fma_f32 v8, |v5|, v8, s29
	;; [unrolled: 1-line block ×6, first 2 shown]
	v_fma_f32 v8, |v5|, v8, |v5|
	v_mul_f32_e32 v9, 0xbfb8aa3b, v8
	v_fma_f32 v10, v8, s35, -v9
	v_rndne_f32_e32 v12, v9
	v_fmac_f32_e32 v10, 0xb2a5705f, v8
	v_sub_f32_e32 v9, v9, v12
	v_add_f32_e32 v9, v9, v10
	v_cvt_i32_f32_e32 v10, v12
	v_exp_f32_e32 v9, v9
	v_cmp_nlt_f32_e32 vcc, s36, v8
	v_ldexp_f32 v9, v9, v10
	s_nop 0
	v_cndmask_b32_e32 v9, 0, v9, vcc
	v_cmp_ngt_f32_e32 vcc, s37, v8
	s_nop 1
	v_cndmask_b32_e32 v8, v36, v9, vcc
	v_sub_f32_e32 v8, 1.0, v8
.LBB385_35:                             ;   in Loop: Header=BB385_9 Depth=1
	s_andn2_saveexec_b64 s[14:15], s[14:15]
; %bb.36:                               ;   in Loop: Header=BB385_9 Depth=1
	v_mul_f32_e32 v8, v5, v5
	v_fmamk_f32 v9, v8, 0xba1345e1, v34
	v_fmaak_f32 v9, v8, v9, 0xbcdac9b8
	v_fmaak_f32 v9, v8, v9, 0x3de703be
	;; [unrolled: 1-line block ×4, first 2 shown]
	v_fma_f32 v8, |v5|, v8, |v5|
; %bb.37:                               ;   in Loop: Header=BB385_9 Depth=1
	s_or_b64 exec, exec, s[14:15]
	v_add_f32_e32 v9, v11, v15
	v_mul_f32_e32 v10, 0x3f3504f3, v9
	v_cmp_nlt_f32_e64 s[14:15], |v10|, 1.0
                                        ; implicit-def: $vgpr11
	s_and_saveexec_b64 s[40:41], s[14:15]
	s_xor_b64 s[14:15], exec, s[40:41]
	s_cbranch_execz .LBB385_39
; %bb.38:                               ;   in Loop: Header=BB385_9 Depth=1
	v_fma_f32 v11, |v10|, s28, v35
	v_fma_f32 v11, |v10|, v11, s29
	;; [unrolled: 1-line block ×6, first 2 shown]
	v_fma_f32 v11, |v10|, v11, |v10|
	v_mul_f32_e32 v12, 0xbfb8aa3b, v11
	v_fma_f32 v13, v11, s35, -v12
	v_rndne_f32_e32 v14, v12
	v_fmac_f32_e32 v13, 0xb2a5705f, v11
	v_sub_f32_e32 v12, v12, v14
	v_add_f32_e32 v12, v12, v13
	v_cvt_i32_f32_e32 v13, v14
	v_exp_f32_e32 v12, v12
	v_cmp_nlt_f32_e32 vcc, s36, v11
	v_ldexp_f32 v12, v12, v13
	s_nop 0
	v_cndmask_b32_e32 v12, 0, v12, vcc
	v_cmp_ngt_f32_e32 vcc, s37, v11
	s_nop 1
	v_cndmask_b32_e32 v11, v36, v12, vcc
	v_sub_f32_e32 v11, 1.0, v11
.LBB385_39:                             ;   in Loop: Header=BB385_9 Depth=1
	s_andn2_saveexec_b64 s[14:15], s[14:15]
	s_cbranch_execz .LBB385_8
; %bb.40:                               ;   in Loop: Header=BB385_9 Depth=1
	v_mul_f32_e32 v11, v10, v10
	v_fmamk_f32 v12, v11, 0xba1345e1, v34
	v_fmaak_f32 v12, v11, v12, 0xbcdac9b8
	v_fmaak_f32 v12, v11, v12, 0x3de703be
	;; [unrolled: 1-line block ×4, first 2 shown]
	v_fma_f32 v11, |v10|, v11, |v10|
	s_branch .LBB385_8
.LBB385_41:
	s_endpgm
	.section	.rodata,"a",@progbits
	.p2align	6, 0x0
	.amdhsa_kernel _ZN5aiter23act_and_mul_bias_kernelIfDF16_afTnPFfRKT2_EXadL_ZNS_11gelu_kernelIfEEfRKT_EELi8EEEvPT0_PS8_PKT1_PS2_il
		.amdhsa_group_segment_fixed_size 0
		.amdhsa_private_segment_fixed_size 0
		.amdhsa_kernarg_size 304
		.amdhsa_user_sgpr_count 2
		.amdhsa_user_sgpr_dispatch_ptr 0
		.amdhsa_user_sgpr_queue_ptr 0
		.amdhsa_user_sgpr_kernarg_segment_ptr 1
		.amdhsa_user_sgpr_dispatch_id 0
		.amdhsa_user_sgpr_kernarg_preload_length 0
		.amdhsa_user_sgpr_kernarg_preload_offset 0
		.amdhsa_user_sgpr_private_segment_size 0
		.amdhsa_uses_dynamic_stack 0
		.amdhsa_enable_private_segment 0
		.amdhsa_system_sgpr_workgroup_id_x 1
		.amdhsa_system_sgpr_workgroup_id_y 0
		.amdhsa_system_sgpr_workgroup_id_z 0
		.amdhsa_system_sgpr_workgroup_info 0
		.amdhsa_system_vgpr_workitem_id 0
		.amdhsa_next_free_vgpr 42
		.amdhsa_next_free_sgpr 42
		.amdhsa_accum_offset 44
		.amdhsa_reserve_vcc 1
		.amdhsa_float_round_mode_32 0
		.amdhsa_float_round_mode_16_64 0
		.amdhsa_float_denorm_mode_32 3
		.amdhsa_float_denorm_mode_16_64 3
		.amdhsa_dx10_clamp 1
		.amdhsa_ieee_mode 1
		.amdhsa_fp16_overflow 0
		.amdhsa_tg_split 0
		.amdhsa_exception_fp_ieee_invalid_op 0
		.amdhsa_exception_fp_denorm_src 0
		.amdhsa_exception_fp_ieee_div_zero 0
		.amdhsa_exception_fp_ieee_overflow 0
		.amdhsa_exception_fp_ieee_underflow 0
		.amdhsa_exception_fp_ieee_inexact 0
		.amdhsa_exception_int_div_zero 0
	.end_amdhsa_kernel
	.section	.text._ZN5aiter23act_and_mul_bias_kernelIfDF16_afTnPFfRKT2_EXadL_ZNS_11gelu_kernelIfEEfRKT_EELi8EEEvPT0_PS8_PKT1_PS2_il,"axG",@progbits,_ZN5aiter23act_and_mul_bias_kernelIfDF16_afTnPFfRKT2_EXadL_ZNS_11gelu_kernelIfEEfRKT_EELi8EEEvPT0_PS8_PKT1_PS2_il,comdat
.Lfunc_end385:
	.size	_ZN5aiter23act_and_mul_bias_kernelIfDF16_afTnPFfRKT2_EXadL_ZNS_11gelu_kernelIfEEfRKT_EELi8EEEvPT0_PS8_PKT1_PS2_il, .Lfunc_end385-_ZN5aiter23act_and_mul_bias_kernelIfDF16_afTnPFfRKT2_EXadL_ZNS_11gelu_kernelIfEEfRKT_EELi8EEEvPT0_PS8_PKT1_PS2_il
                                        ; -- End function
	.section	.AMDGPU.csdata,"",@progbits
; Kernel info:
; codeLenInByte = 2880
; NumSgprs: 48
; NumVgprs: 42
; NumAgprs: 0
; TotalNumVgprs: 42
; ScratchSize: 0
; MemoryBound: 0
; FloatMode: 240
; IeeeMode: 1
; LDSByteSize: 0 bytes/workgroup (compile time only)
; SGPRBlocks: 5
; VGPRBlocks: 5
; NumSGPRsForWavesPerEU: 48
; NumVGPRsForWavesPerEU: 42
; AccumOffset: 44
; Occupancy: 8
; WaveLimiterHint : 0
; COMPUTE_PGM_RSRC2:SCRATCH_EN: 0
; COMPUTE_PGM_RSRC2:USER_SGPR: 2
; COMPUTE_PGM_RSRC2:TRAP_HANDLER: 0
; COMPUTE_PGM_RSRC2:TGID_X_EN: 1
; COMPUTE_PGM_RSRC2:TGID_Y_EN: 0
; COMPUTE_PGM_RSRC2:TGID_Z_EN: 0
; COMPUTE_PGM_RSRC2:TIDIG_COMP_CNT: 0
; COMPUTE_PGM_RSRC3_GFX90A:ACCUM_OFFSET: 10
; COMPUTE_PGM_RSRC3_GFX90A:TG_SPLIT: 0
	.section	.text._ZN5aiter23act_and_mul_bias_kernelIfDF16_afTnPFfRKT2_EXadL_ZNS_11gelu_kernelIfEEfRKT_EELi4EEEvPT0_PS8_PKT1_PS2_il,"axG",@progbits,_ZN5aiter23act_and_mul_bias_kernelIfDF16_afTnPFfRKT2_EXadL_ZNS_11gelu_kernelIfEEfRKT_EELi4EEEvPT0_PS8_PKT1_PS2_il,comdat
	.protected	_ZN5aiter23act_and_mul_bias_kernelIfDF16_afTnPFfRKT2_EXadL_ZNS_11gelu_kernelIfEEfRKT_EELi4EEEvPT0_PS8_PKT1_PS2_il ; -- Begin function _ZN5aiter23act_and_mul_bias_kernelIfDF16_afTnPFfRKT2_EXadL_ZNS_11gelu_kernelIfEEfRKT_EELi4EEEvPT0_PS8_PKT1_PS2_il
	.globl	_ZN5aiter23act_and_mul_bias_kernelIfDF16_afTnPFfRKT2_EXadL_ZNS_11gelu_kernelIfEEfRKT_EELi4EEEvPT0_PS8_PKT1_PS2_il
	.p2align	8
	.type	_ZN5aiter23act_and_mul_bias_kernelIfDF16_afTnPFfRKT2_EXadL_ZNS_11gelu_kernelIfEEfRKT_EELi4EEEvPT0_PS8_PKT1_PS2_il,@function
_ZN5aiter23act_and_mul_bias_kernelIfDF16_afTnPFfRKT2_EXadL_ZNS_11gelu_kernelIfEEfRKT_EELi4EEEvPT0_PS8_PKT1_PS2_il: ; @_ZN5aiter23act_and_mul_bias_kernelIfDF16_afTnPFfRKT2_EXadL_ZNS_11gelu_kernelIfEEfRKT_EELi4EEEvPT0_PS8_PKT1_PS2_il
; %bb.0:
	s_load_dwordx2 s[4:5], s[0:1], 0x10
	s_load_dword s24, s[0:1], 0x20
	s_load_dwordx2 s[6:7], s[0:1], 0x28
	v_mov_b32_e32 v1, s2
	s_mov_b32 s9, 0
	s_waitcnt lgkmcnt(0)
	global_load_ubyte v1, v1, s[4:5]
	s_ashr_i32 s25, s24, 31
	s_load_dwordx2 s[4:5], s[0:1], 0x0
	s_mul_hi_u32 s3, s24, s2
	v_mov_b64_e32 v[2:3], s[6:7]
	s_mul_i32 s6, s25, s2
	s_add_i32 s13, s3, s6
	s_mul_i32 s12, s24, s2
	s_lshl_b64 s[6:7], s[12:13], 1
	s_mov_b64 s[10:11], -1
	v_lshlrev_b32_e32 v16, 2, v0
	s_waitcnt vmcnt(0)
	v_readfirstlane_b32 s3, v1
	s_nop 1
	v_mov_b32_e32 v4, s3
	s_sext_i32_i8 s3, s3
	v_readfirstlane_b32 s8, v4
	s_bfe_i64 s[8:9], s[8:9], 0x80000
	s_waitcnt lgkmcnt(0)
	s_add_u32 s4, s4, s6
	s_addc_u32 s5, s5, s7
	s_add_i32 s6, s24, 1
	s_lshr_b32 s7, s6, 31
	s_add_i32 s6, s6, s7
	s_lshl_b32 s6, s6, 1
	s_and_b32 s5, s5, 0xffff
	s_and_b32 s6, s6, -4
	s_cmp_gt_i32 s3, -1
	v_cmp_lt_i64_e32 vcc, s[8:9], v[2:3]
	s_cselect_b64 s[12:13], -1, 0
	s_and_b64 s[12:13], s[12:13], vcc
	s_and_b64 vcc, exec, s[12:13]
	s_cbranch_vccnz .LBB386_5
; %bb.1:
	v_cmp_gt_i32_e32 vcc, s24, v16
	s_and_saveexec_b64 s[10:11], vcc
	s_cbranch_execz .LBB386_4
; %bb.2:
	s_load_dword s3, s[0:1], 0x3c
	v_mov_b32_e32 v17, 0
	s_mov_b32 s13, 0
	v_lshlrev_b32_e32 v4, 3, v0
	s_mov_b64 s[14:15], 0
	s_waitcnt lgkmcnt(0)
	s_and_b32 s3, s3, 0xffff
	s_lshl_b32 s12, s3, 2
	s_lshl_b32 s3, s3, 3
	s_mov_b32 s7, 0x20000
	v_mov_b32_e32 v0, v17
	v_mov_b32_e32 v1, v17
	v_mov_b64_e32 v[2:3], v[16:17]
.LBB386_3:                              ; =>This Inner Loop Header: Depth=1
	v_lshl_add_u64 v[2:3], s[12:13], 0, v[2:3]
	v_cmp_le_i64_e32 vcc, s[24:25], v[2:3]
	buffer_store_dwordx2 v[0:1], v4, s[4:7], 0 offen
	s_or_b64 s[14:15], vcc, s[14:15]
	v_add_u32_e32 v4, s3, v4
	s_andn2_b64 exec, exec, s[14:15]
	s_cbranch_execnz .LBB386_3
.LBB386_4:
	s_or_b64 exec, exec, s[10:11]
	s_mov_b64 s[10:11], 0
.LBB386_5:
	s_andn2_b64 vcc, exec, s[10:11]
	s_cbranch_vccnz .LBB386_25
; %bb.6:
	v_cmp_gt_i32_e32 vcc, s24, v16
	s_and_saveexec_b64 s[10:11], vcc
	s_cbranch_execz .LBB386_25
; %bb.7:
	s_load_dwordx2 s[14:15], s[0:1], 0x8
	s_load_dwordx2 s[12:13], s[0:1], 0x18
	s_mul_hi_i32 s9, s24, s8
	s_mul_i32 s8, s24, s8
	s_lshl_b32 s10, s24, 2
	s_lshl_b64 s[8:9], s[8:9], 3
	s_waitcnt lgkmcnt(0)
	s_add_u32 s8, s12, s8
	s_addc_u32 s7, s13, s9
	s_lshl_b64 s[18:19], s[24:25], 2
	s_add_u32 s12, s8, s18
	s_mul_i32 s16, s2, s25
	s_mul_hi_u32 s17, s2, s24
	s_addc_u32 s13, s7, s19
	s_add_i32 s17, s17, s16
	s_mul_i32 s16, s2, s24
	s_and_b32 s9, s7, 0xffff
	s_and_b32 s13, s13, 0xffff
	s_lshl_b64 s[16:17], s[16:17], 3
	s_add_u32 s16, s14, s16
	s_addc_u32 s2, s15, s17
	s_add_u32 s20, s16, s18
	s_addc_u32 s14, s2, s19
	s_and_b32 s17, s2, 0xffff
	s_and_b32 s21, s14, 0xffff
	s_mov_b32 s7, 0x20000
	s_add_u32 s0, s0, 48
	s_mov_b32 s3, 0
	s_mov_b32 s11, s7
	v_mov_b32_e32 v17, 0
	s_addc_u32 s1, s1, 0
	s_mov_b64 s[26:27], 0
	s_mov_b32 s18, s10
	s_mov_b32 s19, s7
	;; [unrolled: 1-line block ×11, first 2 shown]
	v_mov_b32_e32 v18, 0x3ba10414
	s_brev_b32 s38, -2
	s_mov_b32 s22, s10
	s_mov_b32 s23, s7
	v_mov_b32_e32 v19, 0xb9c68948
	v_mov_b32_e32 v20, 0x7f800000
                                        ; implicit-def: $vgpr0
                                        ; implicit-def: $vgpr0
	;; [unrolled: 1-line block ×4, first 2 shown]
	s_branch .LBB386_9
.LBB386_8:                              ;   in Loop: Header=BB386_9 Depth=1
	s_or_b64 exec, exec, s[14:15]
	v_bfi_b32 v5, s38, v8, v5
	v_mul_f32_e32 v4, 0.5, v4
	v_add_f32_e32 v5, 1.0, v5
	v_add_f32_e32 v2, v2, v6
	v_bfi_b32 v6, s38, v11, v10
	v_mul_f32_e32 v4, v4, v5
	v_add_f32_e32 v3, v3, v7
	v_mul_f32_e32 v5, 0.5, v9
	v_add_f32_e32 v6, 1.0, v6
	v_mul_f32_e32 v5, v5, v6
	;;#ASMSTART
	v_pk_mul_f32 v[2:3], v[4:5], v[2:3]
	;;#ASMEND
	s_load_dword s2, s[0:1], 0xc
	v_cvt_f16_f32_e32 v2, v2
	v_cvt_f16_f32_e32 v3, v3
	;; [unrolled: 1-line block ×4, first 2 shown]
	s_waitcnt lgkmcnt(0)
	s_and_b32 s2, s2, 0xffff
	s_lshl_b32 s2, s2, 2
	v_pack_b32_f16 v1, v2, v3
	v_lshlrev_b32_e32 v2, 1, v16
	v_lshl_add_u64 v[16:17], s[2:3], 0, v[16:17]
	v_cmp_le_i64_e32 vcc, s[24:25], v[16:17]
	v_pack_b32_f16 v0, v0, v4
	s_or_b64 s[26:27], vcc, s[26:27]
	buffer_store_dwordx2 v[0:1], v2, s[4:7], 0 offen
	s_andn2_b64 exec, exec, s[26:27]
	s_cbranch_execz .LBB386_25
.LBB386_9:                              ; =>This Inner Loop Header: Depth=1
	v_lshlrev_b32_e32 v4, 2, v16
	buffer_load_dwordx4 v[8:11], v4, s[16:19], 0 offen
	buffer_load_dwordx4 v[0:3], v4, s[20:23], 0 offen
	;; [unrolled: 1-line block ×3, first 2 shown]
	s_mov_b32 s14, s10
	s_mov_b32 s15, s11
	buffer_load_dwordx4 v[4:7], v4, s[12:15], 0 offen
                                        ; implicit-def: $vgpr21
	s_waitcnt vmcnt(1)
	v_add_f32_e32 v8, v8, v12
	v_mul_f32_e32 v12, 0x3f3504f3, v8
	v_cmp_nlt_f32_e64 s[14:15], |v12|, 1.0
	s_and_saveexec_b64 s[40:41], s[14:15]
	s_xor_b64 s[14:15], exec, s[40:41]
	s_cbranch_execz .LBB386_11
; %bb.10:                               ;   in Loop: Header=BB386_9 Depth=1
	v_fma_f32 v21, |v12|, s28, v19
	v_fma_f32 v21, |v12|, v21, s29
	;; [unrolled: 1-line block ×6, first 2 shown]
	v_fma_f32 v21, |v12|, v21, |v12|
	v_mul_f32_e32 v22, 0xbfb8aa3b, v21
	v_fma_f32 v23, v21, s35, -v22
	v_rndne_f32_e32 v24, v22
	v_fmac_f32_e32 v23, 0xb2a5705f, v21
	v_sub_f32_e32 v22, v22, v24
	v_add_f32_e32 v22, v22, v23
	v_cvt_i32_f32_e32 v23, v24
	v_exp_f32_e32 v22, v22
	v_cmp_nlt_f32_e32 vcc, s36, v21
	v_ldexp_f32 v22, v22, v23
	s_nop 0
	v_cndmask_b32_e32 v22, 0, v22, vcc
	v_cmp_ngt_f32_e32 vcc, s37, v21
	s_nop 1
	v_cndmask_b32_e32 v21, v20, v22, vcc
	v_sub_f32_e32 v21, 1.0, v21
.LBB386_11:                             ;   in Loop: Header=BB386_9 Depth=1
	s_andn2_saveexec_b64 s[14:15], s[14:15]
; %bb.12:                               ;   in Loop: Header=BB386_9 Depth=1
	v_mul_f32_e32 v21, v12, v12
	v_fmamk_f32 v22, v21, 0xba1345e1, v18
	v_fmaak_f32 v22, v21, v22, 0xbcdac9b8
	v_fmaak_f32 v22, v21, v22, 0x3de703be
	v_fmaak_f32 v22, v21, v22, 0xbec09330
	v_fmaak_f32 v21, v21, v22, 0x3e0375d0
	v_fma_f32 v21, |v12|, v21, |v12|
; %bb.13:                               ;   in Loop: Header=BB386_9 Depth=1
	s_or_b64 exec, exec, s[14:15]
	v_add_f32_e32 v9, v9, v13
	v_mul_f32_e32 v13, 0x3f3504f3, v9
	v_cmp_nlt_f32_e64 s[14:15], |v13|, 1.0
                                        ; implicit-def: $vgpr22
	s_and_saveexec_b64 s[40:41], s[14:15]
	s_xor_b64 s[14:15], exec, s[40:41]
	s_cbranch_execz .LBB386_15
; %bb.14:                               ;   in Loop: Header=BB386_9 Depth=1
	v_fma_f32 v22, |v13|, s28, v19
	v_fma_f32 v22, |v13|, v22, s29
	;; [unrolled: 1-line block ×6, first 2 shown]
	v_fma_f32 v22, |v13|, v22, |v13|
	v_mul_f32_e32 v23, 0xbfb8aa3b, v22
	v_fma_f32 v24, v22, s35, -v23
	v_rndne_f32_e32 v25, v23
	v_fmac_f32_e32 v24, 0xb2a5705f, v22
	v_sub_f32_e32 v23, v23, v25
	v_add_f32_e32 v23, v23, v24
	v_cvt_i32_f32_e32 v24, v25
	v_exp_f32_e32 v23, v23
	v_cmp_nlt_f32_e32 vcc, s36, v22
	v_ldexp_f32 v23, v23, v24
	s_nop 0
	v_cndmask_b32_e32 v23, 0, v23, vcc
	v_cmp_ngt_f32_e32 vcc, s37, v22
	s_nop 1
	v_cndmask_b32_e32 v22, v20, v23, vcc
	v_sub_f32_e32 v22, 1.0, v22
.LBB386_15:                             ;   in Loop: Header=BB386_9 Depth=1
	s_andn2_saveexec_b64 s[14:15], s[14:15]
; %bb.16:                               ;   in Loop: Header=BB386_9 Depth=1
	v_mul_f32_e32 v22, v13, v13
	v_fmamk_f32 v23, v22, 0xba1345e1, v18
	v_fmaak_f32 v23, v22, v23, 0xbcdac9b8
	v_fmaak_f32 v23, v22, v23, 0x3de703be
	v_fmaak_f32 v23, v22, v23, 0xbec09330
	v_fmaak_f32 v22, v22, v23, 0x3e0375d0
	v_fma_f32 v22, |v13|, v22, |v13|
; %bb.17:                               ;   in Loop: Header=BB386_9 Depth=1
	s_or_b64 exec, exec, s[14:15]
	s_waitcnt vmcnt(0)
	v_add_f32_e32 v1, v1, v5
	v_bfi_b32 v5, s38, v22, v13
	v_add_f32_e32 v0, v0, v4
	v_mul_f32_e32 v4, 0.5, v9
	v_add_f32_e32 v5, 1.0, v5
	v_bfi_b32 v12, s38, v21, v12
	v_mul_f32_e32 v9, v4, v5
	v_add_f32_e32 v4, v10, v14
	v_mul_f32_e32 v8, 0.5, v8
	v_add_f32_e32 v12, 1.0, v12
	v_mul_f32_e32 v5, 0x3f3504f3, v4
	v_mul_f32_e32 v8, v8, v12
	v_cmp_nlt_f32_e64 s[14:15], |v5|, 1.0
	;;#ASMSTART
	v_pk_mul_f32 v[0:1], v[8:9], v[0:1]
	;;#ASMEND
                                        ; implicit-def: $vgpr8
	s_and_saveexec_b64 s[40:41], s[14:15]
	s_xor_b64 s[14:15], exec, s[40:41]
	s_cbranch_execz .LBB386_19
; %bb.18:                               ;   in Loop: Header=BB386_9 Depth=1
	v_fma_f32 v8, |v5|, s28, v19
	v_fma_f32 v8, |v5|, v8, s29
	;; [unrolled: 1-line block ×6, first 2 shown]
	v_fma_f32 v8, |v5|, v8, |v5|
	v_mul_f32_e32 v9, 0xbfb8aa3b, v8
	v_fma_f32 v10, v8, s35, -v9
	v_rndne_f32_e32 v12, v9
	v_fmac_f32_e32 v10, 0xb2a5705f, v8
	v_sub_f32_e32 v9, v9, v12
	v_add_f32_e32 v9, v9, v10
	v_cvt_i32_f32_e32 v10, v12
	v_exp_f32_e32 v9, v9
	v_cmp_nlt_f32_e32 vcc, s36, v8
	v_ldexp_f32 v9, v9, v10
	s_nop 0
	v_cndmask_b32_e32 v9, 0, v9, vcc
	v_cmp_ngt_f32_e32 vcc, s37, v8
	s_nop 1
	v_cndmask_b32_e32 v8, v20, v9, vcc
	v_sub_f32_e32 v8, 1.0, v8
.LBB386_19:                             ;   in Loop: Header=BB386_9 Depth=1
	s_andn2_saveexec_b64 s[14:15], s[14:15]
; %bb.20:                               ;   in Loop: Header=BB386_9 Depth=1
	v_mul_f32_e32 v8, v5, v5
	v_fmamk_f32 v9, v8, 0xba1345e1, v18
	v_fmaak_f32 v9, v8, v9, 0xbcdac9b8
	v_fmaak_f32 v9, v8, v9, 0x3de703be
	;; [unrolled: 1-line block ×4, first 2 shown]
	v_fma_f32 v8, |v5|, v8, |v5|
; %bb.21:                               ;   in Loop: Header=BB386_9 Depth=1
	s_or_b64 exec, exec, s[14:15]
	v_add_f32_e32 v9, v11, v15
	v_mul_f32_e32 v10, 0x3f3504f3, v9
	v_cmp_nlt_f32_e64 s[14:15], |v10|, 1.0
                                        ; implicit-def: $vgpr11
	s_and_saveexec_b64 s[40:41], s[14:15]
	s_xor_b64 s[14:15], exec, s[40:41]
	s_cbranch_execz .LBB386_23
; %bb.22:                               ;   in Loop: Header=BB386_9 Depth=1
	v_fma_f32 v11, |v10|, s28, v19
	v_fma_f32 v11, |v10|, v11, s29
	;; [unrolled: 1-line block ×6, first 2 shown]
	v_fma_f32 v11, |v10|, v11, |v10|
	v_mul_f32_e32 v12, 0xbfb8aa3b, v11
	v_fma_f32 v13, v11, s35, -v12
	v_rndne_f32_e32 v14, v12
	v_fmac_f32_e32 v13, 0xb2a5705f, v11
	v_sub_f32_e32 v12, v12, v14
	v_add_f32_e32 v12, v12, v13
	v_cvt_i32_f32_e32 v13, v14
	v_exp_f32_e32 v12, v12
	v_cmp_nlt_f32_e32 vcc, s36, v11
	v_ldexp_f32 v12, v12, v13
	s_nop 0
	v_cndmask_b32_e32 v12, 0, v12, vcc
	v_cmp_ngt_f32_e32 vcc, s37, v11
	s_nop 1
	v_cndmask_b32_e32 v11, v20, v12, vcc
	v_sub_f32_e32 v11, 1.0, v11
.LBB386_23:                             ;   in Loop: Header=BB386_9 Depth=1
	s_andn2_saveexec_b64 s[14:15], s[14:15]
	s_cbranch_execz .LBB386_8
; %bb.24:                               ;   in Loop: Header=BB386_9 Depth=1
	v_mul_f32_e32 v11, v10, v10
	v_fmamk_f32 v12, v11, 0xba1345e1, v18
	v_fmaak_f32 v12, v11, v12, 0xbcdac9b8
	v_fmaak_f32 v12, v11, v12, 0x3de703be
	;; [unrolled: 1-line block ×4, first 2 shown]
	v_fma_f32 v11, |v10|, v11, |v10|
	s_branch .LBB386_8
.LBB386_25:
	s_endpgm
	.section	.rodata,"a",@progbits
	.p2align	6, 0x0
	.amdhsa_kernel _ZN5aiter23act_and_mul_bias_kernelIfDF16_afTnPFfRKT2_EXadL_ZNS_11gelu_kernelIfEEfRKT_EELi4EEEvPT0_PS8_PKT1_PS2_il
		.amdhsa_group_segment_fixed_size 0
		.amdhsa_private_segment_fixed_size 0
		.amdhsa_kernarg_size 304
		.amdhsa_user_sgpr_count 2
		.amdhsa_user_sgpr_dispatch_ptr 0
		.amdhsa_user_sgpr_queue_ptr 0
		.amdhsa_user_sgpr_kernarg_segment_ptr 1
		.amdhsa_user_sgpr_dispatch_id 0
		.amdhsa_user_sgpr_kernarg_preload_length 0
		.amdhsa_user_sgpr_kernarg_preload_offset 0
		.amdhsa_user_sgpr_private_segment_size 0
		.amdhsa_uses_dynamic_stack 0
		.amdhsa_enable_private_segment 0
		.amdhsa_system_sgpr_workgroup_id_x 1
		.amdhsa_system_sgpr_workgroup_id_y 0
		.amdhsa_system_sgpr_workgroup_id_z 0
		.amdhsa_system_sgpr_workgroup_info 0
		.amdhsa_system_vgpr_workitem_id 0
		.amdhsa_next_free_vgpr 26
		.amdhsa_next_free_sgpr 42
		.amdhsa_accum_offset 28
		.amdhsa_reserve_vcc 1
		.amdhsa_float_round_mode_32 0
		.amdhsa_float_round_mode_16_64 0
		.amdhsa_float_denorm_mode_32 3
		.amdhsa_float_denorm_mode_16_64 3
		.amdhsa_dx10_clamp 1
		.amdhsa_ieee_mode 1
		.amdhsa_fp16_overflow 0
		.amdhsa_tg_split 0
		.amdhsa_exception_fp_ieee_invalid_op 0
		.amdhsa_exception_fp_denorm_src 0
		.amdhsa_exception_fp_ieee_div_zero 0
		.amdhsa_exception_fp_ieee_overflow 0
		.amdhsa_exception_fp_ieee_underflow 0
		.amdhsa_exception_fp_ieee_inexact 0
		.amdhsa_exception_int_div_zero 0
	.end_amdhsa_kernel
	.section	.text._ZN5aiter23act_and_mul_bias_kernelIfDF16_afTnPFfRKT2_EXadL_ZNS_11gelu_kernelIfEEfRKT_EELi4EEEvPT0_PS8_PKT1_PS2_il,"axG",@progbits,_ZN5aiter23act_and_mul_bias_kernelIfDF16_afTnPFfRKT2_EXadL_ZNS_11gelu_kernelIfEEfRKT_EELi4EEEvPT0_PS8_PKT1_PS2_il,comdat
.Lfunc_end386:
	.size	_ZN5aiter23act_and_mul_bias_kernelIfDF16_afTnPFfRKT2_EXadL_ZNS_11gelu_kernelIfEEfRKT_EELi4EEEvPT0_PS8_PKT1_PS2_il, .Lfunc_end386-_ZN5aiter23act_and_mul_bias_kernelIfDF16_afTnPFfRKT2_EXadL_ZNS_11gelu_kernelIfEEfRKT_EELi4EEEvPT0_PS8_PKT1_PS2_il
                                        ; -- End function
	.section	.AMDGPU.csdata,"",@progbits
; Kernel info:
; codeLenInByte = 1780
; NumSgprs: 48
; NumVgprs: 26
; NumAgprs: 0
; TotalNumVgprs: 26
; ScratchSize: 0
; MemoryBound: 0
; FloatMode: 240
; IeeeMode: 1
; LDSByteSize: 0 bytes/workgroup (compile time only)
; SGPRBlocks: 5
; VGPRBlocks: 3
; NumSGPRsForWavesPerEU: 48
; NumVGPRsForWavesPerEU: 26
; AccumOffset: 28
; Occupancy: 8
; WaveLimiterHint : 0
; COMPUTE_PGM_RSRC2:SCRATCH_EN: 0
; COMPUTE_PGM_RSRC2:USER_SGPR: 2
; COMPUTE_PGM_RSRC2:TRAP_HANDLER: 0
; COMPUTE_PGM_RSRC2:TGID_X_EN: 1
; COMPUTE_PGM_RSRC2:TGID_Y_EN: 0
; COMPUTE_PGM_RSRC2:TGID_Z_EN: 0
; COMPUTE_PGM_RSRC2:TIDIG_COMP_CNT: 0
; COMPUTE_PGM_RSRC3_GFX90A:ACCUM_OFFSET: 6
; COMPUTE_PGM_RSRC3_GFX90A:TG_SPLIT: 0
	.section	.text._ZN5aiter23act_and_mul_bias_kernelIfDF16_afTnPFfRKT2_EXadL_ZNS_11gelu_kernelIfEEfRKT_EELi2EEEvPT0_PS8_PKT1_PS2_il,"axG",@progbits,_ZN5aiter23act_and_mul_bias_kernelIfDF16_afTnPFfRKT2_EXadL_ZNS_11gelu_kernelIfEEfRKT_EELi2EEEvPT0_PS8_PKT1_PS2_il,comdat
	.protected	_ZN5aiter23act_and_mul_bias_kernelIfDF16_afTnPFfRKT2_EXadL_ZNS_11gelu_kernelIfEEfRKT_EELi2EEEvPT0_PS8_PKT1_PS2_il ; -- Begin function _ZN5aiter23act_and_mul_bias_kernelIfDF16_afTnPFfRKT2_EXadL_ZNS_11gelu_kernelIfEEfRKT_EELi2EEEvPT0_PS8_PKT1_PS2_il
	.globl	_ZN5aiter23act_and_mul_bias_kernelIfDF16_afTnPFfRKT2_EXadL_ZNS_11gelu_kernelIfEEfRKT_EELi2EEEvPT0_PS8_PKT1_PS2_il
	.p2align	8
	.type	_ZN5aiter23act_and_mul_bias_kernelIfDF16_afTnPFfRKT2_EXadL_ZNS_11gelu_kernelIfEEfRKT_EELi2EEEvPT0_PS8_PKT1_PS2_il,@function
_ZN5aiter23act_and_mul_bias_kernelIfDF16_afTnPFfRKT2_EXadL_ZNS_11gelu_kernelIfEEfRKT_EELi2EEEvPT0_PS8_PKT1_PS2_il: ; @_ZN5aiter23act_and_mul_bias_kernelIfDF16_afTnPFfRKT2_EXadL_ZNS_11gelu_kernelIfEEfRKT_EELi2EEEvPT0_PS8_PKT1_PS2_il
; %bb.0:
	s_load_dwordx2 s[4:5], s[0:1], 0x10
	s_load_dword s24, s[0:1], 0x20
	s_load_dwordx2 s[6:7], s[0:1], 0x28
	v_mov_b32_e32 v1, s2
	s_mov_b32 s9, 0
	s_waitcnt lgkmcnt(0)
	global_load_ubyte v1, v1, s[4:5]
	s_ashr_i32 s25, s24, 31
	s_load_dwordx2 s[4:5], s[0:1], 0x0
	s_mul_hi_u32 s3, s24, s2
	v_mov_b64_e32 v[2:3], s[6:7]
	s_mul_i32 s6, s25, s2
	s_add_i32 s13, s3, s6
	s_mul_i32 s12, s24, s2
	s_lshl_b64 s[6:7], s[12:13], 1
	s_mov_b64 s[10:11], -1
	s_waitcnt vmcnt(0)
	v_readfirstlane_b32 s3, v1
	s_nop 1
	v_mov_b32_e32 v4, s3
	s_sext_i32_i8 s3, s3
	v_readfirstlane_b32 s8, v4
	s_bfe_i64 s[8:9], s[8:9], 0x80000
	s_waitcnt lgkmcnt(0)
	s_add_u32 s4, s4, s6
	s_addc_u32 s5, s5, s7
	s_add_i32 s6, s24, 1
	s_lshr_b32 s7, s6, 31
	s_add_i32 s6, s6, s7
	s_lshl_b32 s6, s6, 1
	s_and_b32 s5, s5, 0xffff
	s_and_b32 s6, s6, -4
	s_cmp_gt_i32 s3, -1
	v_cmp_lt_i64_e32 vcc, s[8:9], v[2:3]
	s_cselect_b64 s[12:13], -1, 0
	s_and_b64 s[12:13], s[12:13], vcc
	s_and_b64 vcc, exec, s[12:13]
	v_lshlrev_b32_e32 v2, 1, v0
	s_cbranch_vccnz .LBB387_5
; %bb.1:
	v_cmp_gt_i32_e32 vcc, s24, v2
	s_and_saveexec_b64 s[10:11], vcc
	s_cbranch_execz .LBB387_4
; %bb.2:
	s_load_dword s3, s[0:1], 0x3c
	v_mov_b32_e32 v3, 0
	s_mov_b32 s13, 0
	v_lshlrev_b32_e32 v4, 2, v0
	s_mov_b64 s[14:15], 0
	s_waitcnt lgkmcnt(0)
	s_and_b32 s3, s3, 0xffff
	s_lshl_b32 s12, s3, 1
	s_lshl_b32 s3, s3, 2
	s_mov_b32 s7, 0x20000
	v_mov_b64_e32 v[0:1], v[2:3]
.LBB387_3:                              ; =>This Inner Loop Header: Depth=1
	v_lshl_add_u64 v[0:1], s[12:13], 0, v[0:1]
	v_cmp_le_i64_e32 vcc, s[24:25], v[0:1]
	buffer_store_dword v3, v4, s[4:7], 0 offen
	s_or_b64 s[14:15], vcc, s[14:15]
	v_add_u32_e32 v4, s3, v4
	s_andn2_b64 exec, exec, s[14:15]
	s_cbranch_execnz .LBB387_3
.LBB387_4:
	s_or_b64 exec, exec, s[10:11]
	s_mov_b64 s[10:11], 0
.LBB387_5:
	s_andn2_b64 vcc, exec, s[10:11]
	s_cbranch_vccnz .LBB387_13
; %bb.6:
	v_cmp_gt_i32_e32 vcc, s24, v2
	s_and_saveexec_b64 s[10:11], vcc
	s_cbranch_execz .LBB387_13
; %bb.7:
	s_load_dwordx2 s[14:15], s[0:1], 0x8
	s_load_dwordx2 s[12:13], s[0:1], 0x18
	s_mul_hi_i32 s9, s24, s8
	s_mul_i32 s8, s24, s8
	s_lshl_b32 s10, s24, 2
	s_lshl_b64 s[8:9], s[8:9], 3
	s_waitcnt lgkmcnt(0)
	s_add_u32 s8, s12, s8
	s_addc_u32 s7, s13, s9
	s_lshl_b64 s[18:19], s[24:25], 2
	s_add_u32 s12, s8, s18
	s_mul_i32 s16, s2, s25
	s_mul_hi_u32 s17, s2, s24
	s_addc_u32 s13, s7, s19
	s_add_i32 s17, s17, s16
	s_mul_i32 s16, s2, s24
	s_and_b32 s9, s7, 0xffff
	s_and_b32 s13, s13, 0xffff
	s_lshl_b64 s[16:17], s[16:17], 3
	s_add_u32 s16, s14, s16
	s_addc_u32 s2, s15, s17
	s_add_u32 s20, s16, s18
	s_addc_u32 s14, s2, s19
	s_and_b32 s17, s2, 0xffff
	s_and_b32 s21, s14, 0xffff
	s_mov_b32 s7, 0x20000
	s_add_u32 s0, s0, 48
	s_mov_b32 s3, 0
	s_mov_b32 s11, s7
	v_mov_b32_e32 v3, 0
	s_addc_u32 s1, s1, 0
	s_mov_b64 s[26:27], 0
	s_mov_b32 s18, s10
	s_mov_b32 s19, s7
	;; [unrolled: 1-line block ×12, first 2 shown]
	v_mov_b32_e32 v12, 0x3ba10414
	v_mov_b32_e32 v13, 0xb9c68948
	v_mov_b32_e32 v14, 0x7f800000
	s_brev_b32 s39, -2
	s_mov_b32 s22, s10
	s_mov_b32 s23, s7
                                        ; implicit-def: $vgpr0
                                        ; implicit-def: $vgpr0
	;; [unrolled: 1-line block ×4, first 2 shown]
	s_branch .LBB387_9
.LBB387_8:                              ;   in Loop: Header=BB387_9 Depth=1
	s_or_b64 exec, exec, s[14:15]
	v_fma_f32 v10, |v1|, s29, v13
	v_fma_f32 v10, |v1|, v10, s30
	;; [unrolled: 1-line block ×6, first 2 shown]
	v_fma_f32 v10, |v1|, v10, |v1|
	v_mul_f32_e32 v16, 0xbfb8aa3b, v10
	v_fma_f32 v17, v10, s36, -v16
	v_rndne_f32_e32 v18, v16
	v_fmac_f32_e32 v17, 0xb2a5705f, v10
	v_sub_f32_e32 v16, v16, v18
	v_add_f32_e32 v16, v16, v17
	v_exp_f32_e32 v16, v16
	v_cvt_i32_f32_e32 v17, v18
	s_waitcnt vmcnt(0)
	v_pk_add_f32 v[4:5], v[4:5], v[8:9]
	v_fmamk_f32 v9, v11, 0xba1345e1, v12
	v_fmaak_f32 v9, v11, v9, 0xbcdac9b8
	v_ldexp_f32 v8, v16, v17
	v_cmp_nlt_f32_e32 vcc, s37, v10
	v_fmaak_f32 v9, v11, v9, 0x3de703be
	v_fmaak_f32 v9, v11, v9, 0xbec09330
	v_cndmask_b32_e32 v8, 0, v8, vcc
	v_cmp_ngt_f32_e32 vcc, s38, v10
	v_fmaak_f32 v9, v11, v9, 0x3e0375d0
	v_fma_f32 v9, |v1|, v9, |v1|
	v_cndmask_b32_e32 v8, v14, v8, vcc
	v_sub_f32_e32 v8, 1.0, v8
	v_cmp_lt_f32_e64 vcc, |v1|, 1.0
	v_bfi_b32 v0, s39, v15, v0
	v_mul_f32_e32 v7, 0.5, v7
	v_cndmask_b32_e32 v8, v8, v9, vcc
	v_bfi_b32 v1, s39, v8, v1
	v_mul_f32_e32 v6, 0.5, v6
	v_pk_add_f32 v[0:1], v[0:1], 1.0 op_sel_hi:[1,0]
	s_nop 0
	v_pk_mul_f32 v[0:1], v[6:7], v[0:1]
	s_nop 0
	;;#ASMSTART
	v_pk_mul_f32 v[0:1], v[0:1], v[4:5]
	;;#ASMEND
	s_load_dword s2, s[0:1], 0xc
	v_cvt_f16_f32_e32 v0, v0
	v_cvt_f16_f32_e32 v1, v1
	s_waitcnt lgkmcnt(0)
	s_and_b32 s2, s2, 0xffff
	s_lshl_b32 s2, s2, 1
	v_pack_b32_f16 v0, v0, v1
	v_lshlrev_b32_e32 v1, 1, v2
	v_lshl_add_u64 v[2:3], s[2:3], 0, v[2:3]
	v_cmp_le_i64_e32 vcc, s[24:25], v[2:3]
	s_or_b64 s[26:27], vcc, s[26:27]
	buffer_store_dword v0, v1, s[4:7], 0 offen
	s_andn2_b64 exec, exec, s[26:27]
	s_cbranch_execz .LBB387_13
.LBB387_9:                              ; =>This Inner Loop Header: Depth=1
	v_lshlrev_b32_e32 v8, 2, v2
	buffer_load_dwordx2 v[0:1], v8, s[16:19], 0 offen
	buffer_load_dwordx2 v[4:5], v8, s[20:23], 0 offen
	;; [unrolled: 1-line block ×3, first 2 shown]
	s_mov_b32 s14, s10
	s_mov_b32 s15, s11
	buffer_load_dwordx2 v[8:9], v8, s[12:15], 0 offen
                                        ; implicit-def: $vgpr15
	s_waitcnt vmcnt(1)
	v_pk_add_f32 v[6:7], v[0:1], v[6:7]
	s_nop 0
	v_pk_mul_f32 v[0:1], v[6:7], s[28:29] op_sel_hi:[1,0]
	s_nop 0
	v_cmp_nlt_f32_e64 s[14:15], |v0|, 1.0
	s_and_saveexec_b64 s[40:41], s[14:15]
	s_xor_b64 s[14:15], exec, s[40:41]
	s_cbranch_execz .LBB387_11
; %bb.10:                               ;   in Loop: Header=BB387_9 Depth=1
	v_fma_f32 v10, |v0|, s29, v13
	v_fma_f32 v10, |v0|, v10, s30
	;; [unrolled: 1-line block ×6, first 2 shown]
	v_fma_f32 v10, |v0|, v10, |v0|
	v_mul_f32_e32 v11, 0xbfb8aa3b, v10
	v_fma_f32 v15, v10, s36, -v11
	v_rndne_f32_e32 v16, v11
	v_fmac_f32_e32 v15, 0xb2a5705f, v10
	v_sub_f32_e32 v11, v11, v16
	v_add_f32_e32 v11, v11, v15
	v_cvt_i32_f32_e32 v15, v16
	v_exp_f32_e32 v11, v11
	v_cmp_nlt_f32_e32 vcc, s37, v10
	v_ldexp_f32 v11, v11, v15
	s_nop 0
	v_cndmask_b32_e32 v11, 0, v11, vcc
	v_cmp_ngt_f32_e32 vcc, s38, v10
	s_nop 1
	v_cndmask_b32_e32 v10, v14, v11, vcc
	v_sub_f32_e32 v15, 1.0, v10
.LBB387_11:                             ;   in Loop: Header=BB387_9 Depth=1
	s_or_saveexec_b64 s[14:15], s[14:15]
	v_pk_mul_f32 v[10:11], v[0:1], v[0:1]
	s_xor_b64 exec, exec, s[14:15]
	s_cbranch_execz .LBB387_8
; %bb.12:                               ;   in Loop: Header=BB387_9 Depth=1
	v_fmamk_f32 v15, v10, 0xba1345e1, v12
	v_fmaak_f32 v15, v10, v15, 0xbcdac9b8
	v_fmaak_f32 v15, v10, v15, 0x3de703be
	;; [unrolled: 1-line block ×4, first 2 shown]
	v_fma_f32 v15, |v0|, v10, |v0|
	s_branch .LBB387_8
.LBB387_13:
	s_endpgm
	.section	.rodata,"a",@progbits
	.p2align	6, 0x0
	.amdhsa_kernel _ZN5aiter23act_and_mul_bias_kernelIfDF16_afTnPFfRKT2_EXadL_ZNS_11gelu_kernelIfEEfRKT_EELi2EEEvPT0_PS8_PKT1_PS2_il
		.amdhsa_group_segment_fixed_size 0
		.amdhsa_private_segment_fixed_size 0
		.amdhsa_kernarg_size 304
		.amdhsa_user_sgpr_count 2
		.amdhsa_user_sgpr_dispatch_ptr 0
		.amdhsa_user_sgpr_queue_ptr 0
		.amdhsa_user_sgpr_kernarg_segment_ptr 1
		.amdhsa_user_sgpr_dispatch_id 0
		.amdhsa_user_sgpr_kernarg_preload_length 0
		.amdhsa_user_sgpr_kernarg_preload_offset 0
		.amdhsa_user_sgpr_private_segment_size 0
		.amdhsa_uses_dynamic_stack 0
		.amdhsa_enable_private_segment 0
		.amdhsa_system_sgpr_workgroup_id_x 1
		.amdhsa_system_sgpr_workgroup_id_y 0
		.amdhsa_system_sgpr_workgroup_id_z 0
		.amdhsa_system_sgpr_workgroup_info 0
		.amdhsa_system_vgpr_workitem_id 0
		.amdhsa_next_free_vgpr 19
		.amdhsa_next_free_sgpr 42
		.amdhsa_accum_offset 20
		.amdhsa_reserve_vcc 1
		.amdhsa_float_round_mode_32 0
		.amdhsa_float_round_mode_16_64 0
		.amdhsa_float_denorm_mode_32 3
		.amdhsa_float_denorm_mode_16_64 3
		.amdhsa_dx10_clamp 1
		.amdhsa_ieee_mode 1
		.amdhsa_fp16_overflow 0
		.amdhsa_tg_split 0
		.amdhsa_exception_fp_ieee_invalid_op 0
		.amdhsa_exception_fp_denorm_src 0
		.amdhsa_exception_fp_ieee_div_zero 0
		.amdhsa_exception_fp_ieee_overflow 0
		.amdhsa_exception_fp_ieee_underflow 0
		.amdhsa_exception_fp_ieee_inexact 0
		.amdhsa_exception_int_div_zero 0
	.end_amdhsa_kernel
	.section	.text._ZN5aiter23act_and_mul_bias_kernelIfDF16_afTnPFfRKT2_EXadL_ZNS_11gelu_kernelIfEEfRKT_EELi2EEEvPT0_PS8_PKT1_PS2_il,"axG",@progbits,_ZN5aiter23act_and_mul_bias_kernelIfDF16_afTnPFfRKT2_EXadL_ZNS_11gelu_kernelIfEEfRKT_EELi2EEEvPT0_PS8_PKT1_PS2_il,comdat
.Lfunc_end387:
	.size	_ZN5aiter23act_and_mul_bias_kernelIfDF16_afTnPFfRKT2_EXadL_ZNS_11gelu_kernelIfEEfRKT_EELi2EEEvPT0_PS8_PKT1_PS2_il, .Lfunc_end387-_ZN5aiter23act_and_mul_bias_kernelIfDF16_afTnPFfRKT2_EXadL_ZNS_11gelu_kernelIfEEfRKT_EELi2EEEvPT0_PS8_PKT1_PS2_il
                                        ; -- End function
	.section	.AMDGPU.csdata,"",@progbits
; Kernel info:
; codeLenInByte = 1240
; NumSgprs: 48
; NumVgprs: 19
; NumAgprs: 0
; TotalNumVgprs: 19
; ScratchSize: 0
; MemoryBound: 0
; FloatMode: 240
; IeeeMode: 1
; LDSByteSize: 0 bytes/workgroup (compile time only)
; SGPRBlocks: 5
; VGPRBlocks: 2
; NumSGPRsForWavesPerEU: 48
; NumVGPRsForWavesPerEU: 19
; AccumOffset: 20
; Occupancy: 8
; WaveLimiterHint : 0
; COMPUTE_PGM_RSRC2:SCRATCH_EN: 0
; COMPUTE_PGM_RSRC2:USER_SGPR: 2
; COMPUTE_PGM_RSRC2:TRAP_HANDLER: 0
; COMPUTE_PGM_RSRC2:TGID_X_EN: 1
; COMPUTE_PGM_RSRC2:TGID_Y_EN: 0
; COMPUTE_PGM_RSRC2:TGID_Z_EN: 0
; COMPUTE_PGM_RSRC2:TIDIG_COMP_CNT: 0
; COMPUTE_PGM_RSRC3_GFX90A:ACCUM_OFFSET: 4
; COMPUTE_PGM_RSRC3_GFX90A:TG_SPLIT: 0
	.section	.text._ZN5aiter23act_and_mul_bias_kernelIfDF16_afTnPFfRKT2_EXadL_ZNS_11gelu_kernelIfEEfRKT_EELi1EEEvPT0_PS8_PKT1_PS2_il,"axG",@progbits,_ZN5aiter23act_and_mul_bias_kernelIfDF16_afTnPFfRKT2_EXadL_ZNS_11gelu_kernelIfEEfRKT_EELi1EEEvPT0_PS8_PKT1_PS2_il,comdat
	.protected	_ZN5aiter23act_and_mul_bias_kernelIfDF16_afTnPFfRKT2_EXadL_ZNS_11gelu_kernelIfEEfRKT_EELi1EEEvPT0_PS8_PKT1_PS2_il ; -- Begin function _ZN5aiter23act_and_mul_bias_kernelIfDF16_afTnPFfRKT2_EXadL_ZNS_11gelu_kernelIfEEfRKT_EELi1EEEvPT0_PS8_PKT1_PS2_il
	.globl	_ZN5aiter23act_and_mul_bias_kernelIfDF16_afTnPFfRKT2_EXadL_ZNS_11gelu_kernelIfEEfRKT_EELi1EEEvPT0_PS8_PKT1_PS2_il
	.p2align	8
	.type	_ZN5aiter23act_and_mul_bias_kernelIfDF16_afTnPFfRKT2_EXadL_ZNS_11gelu_kernelIfEEfRKT_EELi1EEEvPT0_PS8_PKT1_PS2_il,@function
_ZN5aiter23act_and_mul_bias_kernelIfDF16_afTnPFfRKT2_EXadL_ZNS_11gelu_kernelIfEEfRKT_EELi1EEEvPT0_PS8_PKT1_PS2_il: ; @_ZN5aiter23act_and_mul_bias_kernelIfDF16_afTnPFfRKT2_EXadL_ZNS_11gelu_kernelIfEEfRKT_EELi1EEEvPT0_PS8_PKT1_PS2_il
; %bb.0:
	s_load_dwordx2 s[4:5], s[0:1], 0x10
	s_load_dword s20, s[0:1], 0x20
	s_load_dwordx2 s[8:9], s[0:1], 0x28
	v_mov_b32_e32 v1, s2
	s_mov_b32 s11, 0
	s_waitcnt lgkmcnt(0)
	global_load_ubyte v1, v1, s[4:5]
	s_ashr_i32 s21, s20, 31
	s_load_dwordx2 s[4:5], s[0:1], 0x0
	s_mul_hi_u32 s3, s20, s2
	v_mov_b64_e32 v[2:3], s[8:9]
	s_mul_i32 s8, s21, s2
	s_add_i32 s13, s3, s8
	s_mul_i32 s12, s20, s2
	s_lshl_b64 s[8:9], s[12:13], 1
	s_mov_b64 s[6:7], -1
	s_waitcnt vmcnt(0)
	v_readfirstlane_b32 s3, v1
	s_nop 1
	v_mov_b32_e32 v4, s3
	s_sext_i32_i8 s3, s3
	v_readfirstlane_b32 s10, v4
	s_bfe_i64 s[12:13], s[10:11], 0x80000
	s_waitcnt lgkmcnt(0)
	s_add_u32 s8, s4, s8
	s_addc_u32 s4, s5, s9
	s_add_i32 s5, s20, 1
	s_lshr_b32 s10, s5, 31
	s_add_i32 s5, s5, s10
	s_and_b32 s9, s4, 0xffff
	s_lshl_b32 s4, s5, 1
	s_and_b32 s10, s4, -4
	s_cmp_gt_i32 s3, -1
	v_cmp_lt_i64_e32 vcc, s[12:13], v[2:3]
	s_cselect_b64 s[4:5], -1, 0
	s_and_b64 s[4:5], s[4:5], vcc
	s_and_b64 vcc, exec, s[4:5]
	v_cmp_gt_i32_e64 s[4:5], s20, v0
	s_cbranch_vccnz .LBB388_5
; %bb.1:
	s_and_saveexec_b64 s[6:7], s[4:5]
	s_cbranch_execz .LBB388_4
; %bb.2:
	s_load_dword s3, s[0:1], 0x3c
	v_mov_b32_e32 v1, 0
	s_mov_b32 s5, 0
	v_lshlrev_b32_e32 v4, 1, v0
	s_mov_b64 s[14:15], 0
	s_waitcnt lgkmcnt(0)
	s_and_b32 s4, s3, 0xffff
	s_lshl_b32 s3, s4, 1
	s_mov_b32 s11, 0x20000
	v_mov_b64_e32 v[2:3], v[0:1]
.LBB388_3:                              ; =>This Inner Loop Header: Depth=1
	v_lshl_add_u64 v[2:3], v[2:3], 0, s[4:5]
	v_cmp_le_i64_e32 vcc, s[20:21], v[2:3]
	buffer_store_short v1, v4, s[8:11], 0 offen
	s_or_b64 s[14:15], vcc, s[14:15]
	v_add_u32_e32 v4, s3, v4
	s_andn2_b64 exec, exec, s[14:15]
	s_cbranch_execnz .LBB388_3
.LBB388_4:
	s_or_b64 exec, exec, s[6:7]
	s_mov_b64 s[6:7], 0
.LBB388_5:
	s_andn2_b64 vcc, exec, s[6:7]
	s_cbranch_vccnz .LBB388_13
; %bb.6:
	v_cmp_gt_i32_e32 vcc, s20, v0
	s_and_saveexec_b64 s[4:5], vcc
	s_cbranch_execz .LBB388_13
; %bb.7:
	s_load_dwordx2 s[14:15], s[0:1], 0x8
	s_load_dwordx2 s[4:5], s[0:1], 0x18
	s_mul_hi_i32 s13, s20, s12
	s_mul_i32 s12, s20, s12
	s_lshl_b32 s6, s20, 2
	s_lshl_b64 s[12:13], s[12:13], 3
	s_waitcnt lgkmcnt(0)
	s_add_u32 s4, s4, s12
	s_load_dword s18, s[0:1], 0x3c
	s_addc_u32 s1, s5, s13
	s_lshl_b64 s[16:17], s[20:21], 2
	s_add_u32 s0, s4, s16
	s_addc_u32 s3, s1, s17
	s_and_b32 s5, s1, 0xffff
	s_and_b32 s1, s3, 0xffff
	s_mul_i32 s3, s2, s21
	s_mul_hi_u32 s12, s2, s20
	s_add_i32 s3, s12, s3
	s_mul_i32 s2, s2, s20
	s_lshl_b64 s[2:3], s[2:3], 3
	s_add_u32 s12, s14, s2
	s_addc_u32 s2, s15, s3
	s_add_u32 s16, s12, s16
	s_mov_b32 s11, 0x20000
	s_addc_u32 s3, s2, s17
	s_waitcnt lgkmcnt(0)
	s_and_b32 s22, s18, 0xffff
                                        ; implicit-def: $vgpr5
                                        ; implicit-def: $vgpr5
	;; [unrolled: 1-line block ×4, first 2 shown]
	s_mov_b32 s23, 0
	s_mov_b32 s7, s11
	s_and_b32 s13, s2, 0xffff
	s_and_b32 s17, s3, 0xffff
	v_mov_b32_e32 v1, 0
	v_lshlrev_b32_e32 v2, 1, v0
	s_lshl_b32 s26, s22, 1
	v_lshlrev_b32_e32 v3, 2, v0
	s_lshl_b32 s27, s22, 2
	s_mov_b64 s[24:25], 0
	s_mov_b32 s14, s6
	s_mov_b32 s15, s11
	;; [unrolled: 1-line block ×11, first 2 shown]
	v_mov_b32_e32 v4, 0x3ba10414
	s_brev_b32 s38, -2
	s_mov_b32 s18, s6
	s_mov_b32 s19, s11
	v_mov_b32_e32 v5, 0xb9c68948
	v_mov_b32_e32 v6, 0x7f800000
	s_branch .LBB388_9
.LBB388_8:                              ;   in Loop: Header=BB388_9 Depth=1
	s_or_b64 exec, exec, s[2:3]
	s_waitcnt vmcnt(0)
	v_add_f32_e32 v7, v7, v8
	v_mul_f32_e32 v8, 0.5, v9
	v_bfi_b32 v9, s38, v11, v10
	v_add_f32_e32 v9, 1.0, v9
	v_mul_f32_e32 v8, v8, v9
	v_lshl_add_u64 v[0:1], v[0:1], 0, s[22:23]
	v_fma_mixlo_f16 v7, v7, v8, 0
	v_cmp_le_i64_e32 vcc, s[20:21], v[0:1]
	buffer_store_short v7, v2, s[8:11], 0 offen
	v_add_u32_e32 v2, s26, v2
	s_or_b64 s[24:25], vcc, s[24:25]
	v_add_u32_e32 v3, s27, v3
	s_andn2_b64 exec, exec, s[24:25]
	s_cbranch_execz .LBB388_13
.LBB388_9:                              ; =>This Inner Loop Header: Depth=1
	buffer_load_dword v9, v3, s[12:15], 0 offen
	buffer_load_dword v7, v3, s[16:19], 0 offen
	;; [unrolled: 1-line block ×3, first 2 shown]
	s_mov_b32 s2, s6
	s_mov_b32 s3, s7
	buffer_load_dword v8, v3, s[0:3], 0 offen
                                        ; implicit-def: $vgpr11
	s_waitcnt vmcnt(1)
	v_add_f32_e32 v9, v9, v10
	v_mul_f32_e32 v10, 0x3f3504f3, v9
	v_cmp_nlt_f32_e64 s[2:3], |v10|, 1.0
	s_and_saveexec_b64 s[40:41], s[2:3]
	s_xor_b64 s[2:3], exec, s[40:41]
	s_cbranch_execz .LBB388_11
; %bb.10:                               ;   in Loop: Header=BB388_9 Depth=1
	v_fma_f32 v11, |v10|, s28, v5
	v_fma_f32 v11, |v10|, v11, s29
	;; [unrolled: 1-line block ×6, first 2 shown]
	v_fma_f32 v11, |v10|, v11, |v10|
	v_mul_f32_e32 v12, 0xbfb8aa3b, v11
	v_fma_f32 v13, v11, s35, -v12
	v_rndne_f32_e32 v14, v12
	v_fmac_f32_e32 v13, 0xb2a5705f, v11
	v_sub_f32_e32 v12, v12, v14
	v_add_f32_e32 v12, v12, v13
	v_cvt_i32_f32_e32 v13, v14
	v_exp_f32_e32 v12, v12
	v_cmp_nlt_f32_e32 vcc, s36, v11
	v_ldexp_f32 v12, v12, v13
	s_nop 0
	v_cndmask_b32_e32 v12, 0, v12, vcc
	v_cmp_ngt_f32_e32 vcc, s37, v11
	s_nop 1
	v_cndmask_b32_e32 v11, v6, v12, vcc
	v_sub_f32_e32 v11, 1.0, v11
.LBB388_11:                             ;   in Loop: Header=BB388_9 Depth=1
	s_andn2_saveexec_b64 s[2:3], s[2:3]
	s_cbranch_execz .LBB388_8
; %bb.12:                               ;   in Loop: Header=BB388_9 Depth=1
	v_mul_f32_e32 v11, v10, v10
	v_fmamk_f32 v12, v11, 0xba1345e1, v4
	v_fmaak_f32 v12, v11, v12, 0xbcdac9b8
	v_fmaak_f32 v12, v11, v12, 0x3de703be
	;; [unrolled: 1-line block ×4, first 2 shown]
	v_fma_f32 v11, |v10|, v11, |v10|
	s_branch .LBB388_8
.LBB388_13:
	s_endpgm
	.section	.rodata,"a",@progbits
	.p2align	6, 0x0
	.amdhsa_kernel _ZN5aiter23act_and_mul_bias_kernelIfDF16_afTnPFfRKT2_EXadL_ZNS_11gelu_kernelIfEEfRKT_EELi1EEEvPT0_PS8_PKT1_PS2_il
		.amdhsa_group_segment_fixed_size 0
		.amdhsa_private_segment_fixed_size 0
		.amdhsa_kernarg_size 304
		.amdhsa_user_sgpr_count 2
		.amdhsa_user_sgpr_dispatch_ptr 0
		.amdhsa_user_sgpr_queue_ptr 0
		.amdhsa_user_sgpr_kernarg_segment_ptr 1
		.amdhsa_user_sgpr_dispatch_id 0
		.amdhsa_user_sgpr_kernarg_preload_length 0
		.amdhsa_user_sgpr_kernarg_preload_offset 0
		.amdhsa_user_sgpr_private_segment_size 0
		.amdhsa_uses_dynamic_stack 0
		.amdhsa_enable_private_segment 0
		.amdhsa_system_sgpr_workgroup_id_x 1
		.amdhsa_system_sgpr_workgroup_id_y 0
		.amdhsa_system_sgpr_workgroup_id_z 0
		.amdhsa_system_sgpr_workgroup_info 0
		.amdhsa_system_vgpr_workitem_id 0
		.amdhsa_next_free_vgpr 15
		.amdhsa_next_free_sgpr 42
		.amdhsa_accum_offset 16
		.amdhsa_reserve_vcc 1
		.amdhsa_float_round_mode_32 0
		.amdhsa_float_round_mode_16_64 0
		.amdhsa_float_denorm_mode_32 3
		.amdhsa_float_denorm_mode_16_64 3
		.amdhsa_dx10_clamp 1
		.amdhsa_ieee_mode 1
		.amdhsa_fp16_overflow 0
		.amdhsa_tg_split 0
		.amdhsa_exception_fp_ieee_invalid_op 0
		.amdhsa_exception_fp_denorm_src 0
		.amdhsa_exception_fp_ieee_div_zero 0
		.amdhsa_exception_fp_ieee_overflow 0
		.amdhsa_exception_fp_ieee_underflow 0
		.amdhsa_exception_fp_ieee_inexact 0
		.amdhsa_exception_int_div_zero 0
	.end_amdhsa_kernel
	.section	.text._ZN5aiter23act_and_mul_bias_kernelIfDF16_afTnPFfRKT2_EXadL_ZNS_11gelu_kernelIfEEfRKT_EELi1EEEvPT0_PS8_PKT1_PS2_il,"axG",@progbits,_ZN5aiter23act_and_mul_bias_kernelIfDF16_afTnPFfRKT2_EXadL_ZNS_11gelu_kernelIfEEfRKT_EELi1EEEvPT0_PS8_PKT1_PS2_il,comdat
.Lfunc_end388:
	.size	_ZN5aiter23act_and_mul_bias_kernelIfDF16_afTnPFfRKT2_EXadL_ZNS_11gelu_kernelIfEEfRKT_EELi1EEEvPT0_PS8_PKT1_PS2_il, .Lfunc_end388-_ZN5aiter23act_and_mul_bias_kernelIfDF16_afTnPFfRKT2_EXadL_ZNS_11gelu_kernelIfEEfRKT_EELi1EEEvPT0_PS8_PKT1_PS2_il
                                        ; -- End function
	.section	.AMDGPU.csdata,"",@progbits
; Kernel info:
; codeLenInByte = 976
; NumSgprs: 48
; NumVgprs: 15
; NumAgprs: 0
; TotalNumVgprs: 15
; ScratchSize: 0
; MemoryBound: 0
; FloatMode: 240
; IeeeMode: 1
; LDSByteSize: 0 bytes/workgroup (compile time only)
; SGPRBlocks: 5
; VGPRBlocks: 1
; NumSGPRsForWavesPerEU: 48
; NumVGPRsForWavesPerEU: 15
; AccumOffset: 16
; Occupancy: 8
; WaveLimiterHint : 0
; COMPUTE_PGM_RSRC2:SCRATCH_EN: 0
; COMPUTE_PGM_RSRC2:USER_SGPR: 2
; COMPUTE_PGM_RSRC2:TRAP_HANDLER: 0
; COMPUTE_PGM_RSRC2:TGID_X_EN: 1
; COMPUTE_PGM_RSRC2:TGID_Y_EN: 0
; COMPUTE_PGM_RSRC2:TGID_Z_EN: 0
; COMPUTE_PGM_RSRC2:TIDIG_COMP_CNT: 0
; COMPUTE_PGM_RSRC3_GFX90A:ACCUM_OFFSET: 3
; COMPUTE_PGM_RSRC3_GFX90A:TG_SPLIT: 0
	.section	.text._ZN5aiter23act_and_mul_bias_kernelIffafTnPFfRKT2_EXadL_ZNS_11gelu_kernelIfEEfRKT_EELi16EEEvPT0_PS8_PKT1_PS2_il,"axG",@progbits,_ZN5aiter23act_and_mul_bias_kernelIffafTnPFfRKT2_EXadL_ZNS_11gelu_kernelIfEEfRKT_EELi16EEEvPT0_PS8_PKT1_PS2_il,comdat
	.protected	_ZN5aiter23act_and_mul_bias_kernelIffafTnPFfRKT2_EXadL_ZNS_11gelu_kernelIfEEfRKT_EELi16EEEvPT0_PS8_PKT1_PS2_il ; -- Begin function _ZN5aiter23act_and_mul_bias_kernelIffafTnPFfRKT2_EXadL_ZNS_11gelu_kernelIfEEfRKT_EELi16EEEvPT0_PS8_PKT1_PS2_il
	.globl	_ZN5aiter23act_and_mul_bias_kernelIffafTnPFfRKT2_EXadL_ZNS_11gelu_kernelIfEEfRKT_EELi16EEEvPT0_PS8_PKT1_PS2_il
	.p2align	8
	.type	_ZN5aiter23act_and_mul_bias_kernelIffafTnPFfRKT2_EXadL_ZNS_11gelu_kernelIfEEfRKT_EELi16EEEvPT0_PS8_PKT1_PS2_il,@function
_ZN5aiter23act_and_mul_bias_kernelIffafTnPFfRKT2_EXadL_ZNS_11gelu_kernelIfEEfRKT_EELi16EEEvPT0_PS8_PKT1_PS2_il: ; @_ZN5aiter23act_and_mul_bias_kernelIffafTnPFfRKT2_EXadL_ZNS_11gelu_kernelIfEEfRKT_EELi16EEEvPT0_PS8_PKT1_PS2_il
; %bb.0:
	s_load_dwordx2 s[4:5], s[0:1], 0x10
	s_load_dword s24, s[0:1], 0x20
	s_load_dwordx2 s[8:9], s[0:1], 0x28
	v_mov_b32_e32 v1, s2
	s_mov_b32 s13, 0
	s_waitcnt lgkmcnt(0)
	global_load_ubyte v1, v1, s[4:5]
	s_ashr_i32 s25, s24, 31
	s_load_dwordx2 s[4:5], s[0:1], 0x0
	s_mul_hi_u32 s3, s24, s2
	s_mul_i32 s7, s25, s2
	s_add_i32 s15, s3, s7
	s_mul_i32 s14, s24, s2
	s_lshl_b32 s6, s24, 2
	v_mov_b64_e32 v[2:3], s[8:9]
	s_lshl_b64 s[14:15], s[14:15], 2
	s_mov_b64 s[10:11], -1
	v_lshlrev_b32_e32 v64, 4, v0
	s_waitcnt vmcnt(0)
	v_readfirstlane_b32 s3, v1
	s_nop 1
	v_mov_b32_e32 v4, s3
	s_sext_i32_i8 s3, s3
	v_readfirstlane_b32 s12, v4
	s_bfe_i64 s[8:9], s[12:13], 0x80000
	s_waitcnt lgkmcnt(0)
	s_add_u32 s4, s4, s14
	s_addc_u32 s5, s5, s15
	s_and_b32 s5, s5, 0xffff
	s_cmp_gt_i32 s3, -1
	v_cmp_lt_i64_e32 vcc, s[8:9], v[2:3]
	s_cselect_b64 s[12:13], -1, 0
	s_and_b64 s[12:13], s[12:13], vcc
	s_and_b64 vcc, exec, s[12:13]
	s_cbranch_vccnz .LBB389_5
; %bb.1:
	v_cmp_gt_i32_e32 vcc, s24, v64
	s_and_saveexec_b64 s[10:11], vcc
	s_cbranch_execz .LBB389_4
; %bb.2:
	s_load_dword s3, s[0:1], 0x3c
	s_mov_b32 s13, 0
	s_mov_b32 s16, s13
	;; [unrolled: 1-line block ×3, first 2 shown]
	v_mov_b32_e32 v65, 0
	v_lshlrev_b32_e32 v6, 6, v0
	s_waitcnt lgkmcnt(0)
	s_and_b32 s3, s3, 0xffff
	s_mov_b32 s18, s13
	s_mov_b32 s19, s13
	v_mov_b64_e32 v[0:1], s[16:17]
	s_lshl_b32 s12, s3, 4
	s_lshl_b32 s3, s3, 6
	s_mov_b64 s[14:15], 0
	s_mov_b32 s7, 0x20000
	v_mov_b64_e32 v[2:3], s[18:19]
	v_mov_b64_e32 v[4:5], v[64:65]
.LBB389_3:                              ; =>This Inner Loop Header: Depth=1
	v_lshl_add_u64 v[4:5], s[12:13], 0, v[4:5]
	v_cmp_le_i64_e32 vcc, s[24:25], v[4:5]
	buffer_store_dwordx4 v[0:3], v6, s[4:7], 0 offen
	buffer_store_dwordx4 v[0:3], v6, s[4:7], 16 offen
	;; [unrolled: 1-line block ×4, first 2 shown]
	s_or_b64 s[14:15], vcc, s[14:15]
	v_add_u32_e32 v6, s3, v6
	s_andn2_b64 exec, exec, s[14:15]
	s_cbranch_execnz .LBB389_3
.LBB389_4:
	s_or_b64 exec, exec, s[10:11]
	s_mov_b64 s[10:11], 0
.LBB389_5:
	s_andn2_b64 vcc, exec, s[10:11]
	s_cbranch_vccnz .LBB389_73
; %bb.6:
	v_cmp_gt_i32_e32 vcc, s24, v64
	s_and_saveexec_b64 s[10:11], vcc
	s_cbranch_execz .LBB389_73
; %bb.7:
	s_load_dwordx2 s[10:11], s[0:1], 0x8
	s_load_dwordx2 s[12:13], s[0:1], 0x18
	s_mul_hi_i32 s9, s24, s8
	s_mul_i32 s8, s24, s8
	s_lshl_b64 s[8:9], s[8:9], 3
	s_mul_i32 s16, s2, s25
	s_waitcnt lgkmcnt(0)
	s_add_u32 s8, s12, s8
	s_addc_u32 s7, s13, s9
	s_lshl_b64 s[14:15], s[24:25], 2
	s_add_u32 s12, s8, s14
	s_mul_hi_u32 s17, s2, s24
	s_addc_u32 s13, s7, s15
	s_add_i32 s17, s17, s16
	s_mul_i32 s16, s2, s24
	s_and_b32 s9, s7, 0xffff
	s_and_b32 s13, s13, 0xffff
	s_lshl_b64 s[16:17], s[16:17], 3
	s_add_u32 s16, s10, s16
	s_addc_u32 s2, s11, s17
	s_add_u32 s20, s16, s14
	s_addc_u32 s10, s2, s15
	s_and_b32 s17, s2, 0xffff
	s_and_b32 s21, s10, 0xffff
	s_mov_b32 s7, 0x20000
	s_add_u32 s0, s0, 48
	s_mov_b32 s3, 0
	v_mov_b32_e32 v65, 0
	s_addc_u32 s1, s1, 0
	s_mov_b64 s[26:27], 0
	s_mov_b32 s11, s7
	s_mov_b32 s10, s6
	;; [unrolled: 1-line block ×13, first 2 shown]
	v_mov_b32_e32 v66, 0x3ba10414
	s_brev_b32 s38, -2
	s_mov_b32 s22, s6
	s_mov_b32 s23, s7
	v_mov_b32_e32 v67, 0xb9c68948
	v_mov_b32_e32 v68, 0x7f800000
                                        ; implicit-def: $vgpr0
                                        ; implicit-def: $vgpr0
	;; [unrolled: 1-line block ×4, first 2 shown]
	s_branch .LBB389_9
.LBB389_8:                              ;   in Loop: Header=BB389_9 Depth=1
	s_or_b64 exec, exec, s[14:15]
	v_bfi_b32 v5, s38, v8, v5
	v_mul_f32_e32 v4, 0.5, v4
	v_add_f32_e32 v5, 1.0, v5
	v_add_f32_e32 v2, v2, v6
	v_bfi_b32 v6, s38, v11, v10
	v_mul_f32_e32 v4, v4, v5
	v_add_f32_e32 v3, v3, v7
	v_mul_f32_e32 v5, 0.5, v9
	v_add_f32_e32 v6, 1.0, v6
	v_mul_f32_e32 v5, v5, v6
	;;#ASMSTART
	v_pk_mul_f32 v[2:3], v[4:5], v[2:3]
	;;#ASMEND
	s_load_dword s2, s[0:1], 0xc
	buffer_store_dwordx4 v[16:19], v69, s[4:7], 0 offen
	buffer_store_dwordx4 v[36:39], v69, s[4:7], 16 offen
	;; [unrolled: 1-line block ×4, first 2 shown]
	s_waitcnt lgkmcnt(0)
	s_and_b32 s2, s2, 0xffff
	s_lshl_b32 s2, s2, 4
	v_lshl_add_u64 v[64:65], s[2:3], 0, v[64:65]
	v_cmp_le_i64_e32 vcc, s[24:25], v[64:65]
	s_or_b64 s[26:27], vcc, s[26:27]
	s_andn2_b64 exec, exec, s[26:27]
	s_cbranch_execz .LBB389_73
.LBB389_9:                              ; =>This Inner Loop Header: Depth=1
	v_lshlrev_b32_e32 v69, 2, v64
	s_mov_b32 s14, s10
	s_mov_b32 s15, s11
	buffer_load_dwordx4 v[56:59], v69, s[16:19], 0 offen
	buffer_load_dwordx4 v[44:47], v69, s[16:19], 16 offen
	;; [unrolled: 1-line block ×16, first 2 shown]
                                        ; implicit-def: $vgpr70
	s_waitcnt vmcnt(7)
	v_add_f32_e32 v56, v56, v60
	v_mul_f32_e32 v60, 0x3f3504f3, v56
	v_cmp_nlt_f32_e64 s[14:15], |v60|, 1.0
	s_and_saveexec_b64 s[40:41], s[14:15]
	s_xor_b64 s[14:15], exec, s[40:41]
	s_cbranch_execz .LBB389_11
; %bb.10:                               ;   in Loop: Header=BB389_9 Depth=1
	v_fma_f32 v70, |v60|, s28, v67
	v_fma_f32 v70, |v60|, v70, s29
	;; [unrolled: 1-line block ×6, first 2 shown]
	v_fma_f32 v70, |v60|, v70, |v60|
	v_mul_f32_e32 v71, 0xbfb8aa3b, v70
	v_fma_f32 v72, v70, s35, -v71
	v_rndne_f32_e32 v73, v71
	v_fmac_f32_e32 v72, 0xb2a5705f, v70
	v_sub_f32_e32 v71, v71, v73
	v_add_f32_e32 v71, v71, v72
	v_cvt_i32_f32_e32 v72, v73
	v_exp_f32_e32 v71, v71
	v_cmp_nlt_f32_e32 vcc, s36, v70
	v_ldexp_f32 v71, v71, v72
	s_nop 0
	v_cndmask_b32_e32 v71, 0, v71, vcc
	v_cmp_ngt_f32_e32 vcc, s37, v70
	s_nop 1
	v_cndmask_b32_e32 v70, v68, v71, vcc
	v_sub_f32_e32 v70, 1.0, v70
.LBB389_11:                             ;   in Loop: Header=BB389_9 Depth=1
	s_andn2_saveexec_b64 s[14:15], s[14:15]
; %bb.12:                               ;   in Loop: Header=BB389_9 Depth=1
	v_mul_f32_e32 v70, v60, v60
	v_fmamk_f32 v71, v70, 0xba1345e1, v66
	v_fmaak_f32 v71, v70, v71, 0xbcdac9b8
	v_fmaak_f32 v71, v70, v71, 0x3de703be
	;; [unrolled: 1-line block ×4, first 2 shown]
	v_fma_f32 v70, |v60|, v70, |v60|
; %bb.13:                               ;   in Loop: Header=BB389_9 Depth=1
	s_or_b64 exec, exec, s[14:15]
	v_add_f32_e32 v57, v57, v61
	v_mul_f32_e32 v61, 0x3f3504f3, v57
	v_cmp_nlt_f32_e64 s[14:15], |v61|, 1.0
                                        ; implicit-def: $vgpr71
	s_and_saveexec_b64 s[40:41], s[14:15]
	s_xor_b64 s[14:15], exec, s[40:41]
	s_cbranch_execz .LBB389_15
; %bb.14:                               ;   in Loop: Header=BB389_9 Depth=1
	v_fma_f32 v71, |v61|, s28, v67
	v_fma_f32 v71, |v61|, v71, s29
	;; [unrolled: 1-line block ×6, first 2 shown]
	v_fma_f32 v71, |v61|, v71, |v61|
	v_mul_f32_e32 v72, 0xbfb8aa3b, v71
	v_fma_f32 v73, v71, s35, -v72
	v_rndne_f32_e32 v74, v72
	v_fmac_f32_e32 v73, 0xb2a5705f, v71
	v_sub_f32_e32 v72, v72, v74
	v_add_f32_e32 v72, v72, v73
	v_cvt_i32_f32_e32 v73, v74
	v_exp_f32_e32 v72, v72
	v_cmp_nlt_f32_e32 vcc, s36, v71
	v_ldexp_f32 v72, v72, v73
	s_nop 0
	v_cndmask_b32_e32 v72, 0, v72, vcc
	v_cmp_ngt_f32_e32 vcc, s37, v71
	s_nop 1
	v_cndmask_b32_e32 v71, v68, v72, vcc
	v_sub_f32_e32 v71, 1.0, v71
.LBB389_15:                             ;   in Loop: Header=BB389_9 Depth=1
	s_andn2_saveexec_b64 s[14:15], s[14:15]
; %bb.16:                               ;   in Loop: Header=BB389_9 Depth=1
	v_mul_f32_e32 v71, v61, v61
	v_fmamk_f32 v72, v71, 0xba1345e1, v66
	v_fmaak_f32 v72, v71, v72, 0xbcdac9b8
	v_fmaak_f32 v72, v71, v72, 0x3de703be
	;; [unrolled: 1-line block ×4, first 2 shown]
	v_fma_f32 v71, |v61|, v71, |v61|
; %bb.17:                               ;   in Loop: Header=BB389_9 Depth=1
	s_or_b64 exec, exec, s[14:15]
	s_waitcnt vmcnt(3)
	v_add_f32_e32 v17, v17, v53
	v_bfi_b32 v53, s38, v71, v61
	v_add_f32_e32 v16, v16, v52
	v_mul_f32_e32 v52, 0.5, v57
	v_add_f32_e32 v53, 1.0, v53
	v_bfi_b32 v60, s38, v70, v60
	v_mul_f32_e32 v57, v52, v53
	v_add_f32_e32 v52, v58, v62
	v_mul_f32_e32 v56, 0.5, v56
	v_add_f32_e32 v60, 1.0, v60
	v_mul_f32_e32 v53, 0x3f3504f3, v52
	v_mul_f32_e32 v56, v56, v60
	v_cmp_nlt_f32_e64 s[14:15], |v53|, 1.0
	;;#ASMSTART
	v_pk_mul_f32 v[16:17], v[56:57], v[16:17]
	;;#ASMEND
                                        ; implicit-def: $vgpr56
	s_and_saveexec_b64 s[40:41], s[14:15]
	s_xor_b64 s[14:15], exec, s[40:41]
	s_cbranch_execz .LBB389_19
; %bb.18:                               ;   in Loop: Header=BB389_9 Depth=1
	v_fma_f32 v56, |v53|, s28, v67
	v_fma_f32 v56, |v53|, v56, s29
	;; [unrolled: 1-line block ×6, first 2 shown]
	v_fma_f32 v56, |v53|, v56, |v53|
	v_mul_f32_e32 v57, 0xbfb8aa3b, v56
	v_fma_f32 v58, v56, s35, -v57
	v_rndne_f32_e32 v60, v57
	v_fmac_f32_e32 v58, 0xb2a5705f, v56
	v_sub_f32_e32 v57, v57, v60
	v_add_f32_e32 v57, v57, v58
	v_cvt_i32_f32_e32 v58, v60
	v_exp_f32_e32 v57, v57
	v_cmp_nlt_f32_e32 vcc, s36, v56
	v_ldexp_f32 v57, v57, v58
	s_nop 0
	v_cndmask_b32_e32 v57, 0, v57, vcc
	v_cmp_ngt_f32_e32 vcc, s37, v56
	s_nop 1
	v_cndmask_b32_e32 v56, v68, v57, vcc
	v_sub_f32_e32 v56, 1.0, v56
.LBB389_19:                             ;   in Loop: Header=BB389_9 Depth=1
	s_andn2_saveexec_b64 s[14:15], s[14:15]
; %bb.20:                               ;   in Loop: Header=BB389_9 Depth=1
	v_mul_f32_e32 v56, v53, v53
	v_fmamk_f32 v57, v56, 0xba1345e1, v66
	v_fmaak_f32 v57, v56, v57, 0xbcdac9b8
	v_fmaak_f32 v57, v56, v57, 0x3de703be
	;; [unrolled: 1-line block ×4, first 2 shown]
	v_fma_f32 v56, |v53|, v56, |v53|
; %bb.21:                               ;   in Loop: Header=BB389_9 Depth=1
	s_or_b64 exec, exec, s[14:15]
	v_add_f32_e32 v57, v59, v63
	v_mul_f32_e32 v58, 0x3f3504f3, v57
	v_cmp_nlt_f32_e64 s[14:15], |v58|, 1.0
                                        ; implicit-def: $vgpr59
	s_and_saveexec_b64 s[40:41], s[14:15]
	s_xor_b64 s[14:15], exec, s[40:41]
	s_cbranch_execz .LBB389_23
; %bb.22:                               ;   in Loop: Header=BB389_9 Depth=1
	v_fma_f32 v59, |v58|, s28, v67
	v_fma_f32 v59, |v58|, v59, s29
	;; [unrolled: 1-line block ×6, first 2 shown]
	v_fma_f32 v59, |v58|, v59, |v58|
	v_mul_f32_e32 v60, 0xbfb8aa3b, v59
	v_fma_f32 v61, v59, s35, -v60
	v_rndne_f32_e32 v62, v60
	v_fmac_f32_e32 v61, 0xb2a5705f, v59
	v_sub_f32_e32 v60, v60, v62
	v_add_f32_e32 v60, v60, v61
	v_cvt_i32_f32_e32 v61, v62
	v_exp_f32_e32 v60, v60
	v_cmp_nlt_f32_e32 vcc, s36, v59
	v_ldexp_f32 v60, v60, v61
	s_nop 0
	v_cndmask_b32_e32 v60, 0, v60, vcc
	v_cmp_ngt_f32_e32 vcc, s37, v59
	s_nop 1
	v_cndmask_b32_e32 v59, v68, v60, vcc
	v_sub_f32_e32 v59, 1.0, v59
.LBB389_23:                             ;   in Loop: Header=BB389_9 Depth=1
	s_andn2_saveexec_b64 s[14:15], s[14:15]
; %bb.24:                               ;   in Loop: Header=BB389_9 Depth=1
	v_mul_f32_e32 v59, v58, v58
	v_fmamk_f32 v60, v59, 0xba1345e1, v66
	v_fmaak_f32 v60, v59, v60, 0xbcdac9b8
	v_fmaak_f32 v60, v59, v60, 0x3de703be
	;; [unrolled: 1-line block ×4, first 2 shown]
	v_fma_f32 v59, |v58|, v59, |v58|
; %bb.25:                               ;   in Loop: Header=BB389_9 Depth=1
	s_or_b64 exec, exec, s[14:15]
	v_bfi_b32 v53, s38, v56, v53
	v_add_f32_e32 v44, v44, v48
	v_mul_f32_e32 v52, 0.5, v52
	v_add_f32_e32 v53, 1.0, v53
	v_add_f32_e32 v18, v18, v54
	v_bfi_b32 v54, s38, v59, v58
	v_mul_f32_e32 v48, 0x3f3504f3, v44
	v_mul_f32_e32 v52, v52, v53
	v_add_f32_e32 v19, v19, v55
	v_mul_f32_e32 v53, 0.5, v57
	v_add_f32_e32 v54, 1.0, v54
	v_cmp_nlt_f32_e64 s[14:15], |v48|, 1.0
	v_mul_f32_e32 v53, v53, v54
	;;#ASMSTART
	v_pk_mul_f32 v[18:19], v[52:53], v[18:19]
	;;#ASMEND
                                        ; implicit-def: $vgpr52
	s_and_saveexec_b64 s[40:41], s[14:15]
	s_xor_b64 s[14:15], exec, s[40:41]
	s_cbranch_execz .LBB389_27
; %bb.26:                               ;   in Loop: Header=BB389_9 Depth=1
	v_fma_f32 v52, |v48|, s28, v67
	v_fma_f32 v52, |v48|, v52, s29
	;; [unrolled: 1-line block ×6, first 2 shown]
	v_fma_f32 v52, |v48|, v52, |v48|
	v_mul_f32_e32 v53, 0xbfb8aa3b, v52
	v_fma_f32 v54, v52, s35, -v53
	v_rndne_f32_e32 v55, v53
	v_fmac_f32_e32 v54, 0xb2a5705f, v52
	v_sub_f32_e32 v53, v53, v55
	v_add_f32_e32 v53, v53, v54
	v_cvt_i32_f32_e32 v54, v55
	v_exp_f32_e32 v53, v53
	v_cmp_nlt_f32_e32 vcc, s36, v52
	v_ldexp_f32 v53, v53, v54
	s_nop 0
	v_cndmask_b32_e32 v53, 0, v53, vcc
	v_cmp_ngt_f32_e32 vcc, s37, v52
	s_nop 1
	v_cndmask_b32_e32 v52, v68, v53, vcc
	v_sub_f32_e32 v52, 1.0, v52
.LBB389_27:                             ;   in Loop: Header=BB389_9 Depth=1
	s_andn2_saveexec_b64 s[14:15], s[14:15]
; %bb.28:                               ;   in Loop: Header=BB389_9 Depth=1
	v_mul_f32_e32 v52, v48, v48
	v_fmamk_f32 v53, v52, 0xba1345e1, v66
	v_fmaak_f32 v53, v52, v53, 0xbcdac9b8
	v_fmaak_f32 v53, v52, v53, 0x3de703be
	;; [unrolled: 1-line block ×4, first 2 shown]
	v_fma_f32 v52, |v48|, v52, |v48|
; %bb.29:                               ;   in Loop: Header=BB389_9 Depth=1
	s_or_b64 exec, exec, s[14:15]
	v_add_f32_e32 v45, v45, v49
	v_mul_f32_e32 v49, 0x3f3504f3, v45
	v_cmp_nlt_f32_e64 s[14:15], |v49|, 1.0
                                        ; implicit-def: $vgpr53
	s_and_saveexec_b64 s[40:41], s[14:15]
	s_xor_b64 s[14:15], exec, s[40:41]
	s_cbranch_execz .LBB389_31
; %bb.30:                               ;   in Loop: Header=BB389_9 Depth=1
	v_fma_f32 v53, |v49|, s28, v67
	v_fma_f32 v53, |v49|, v53, s29
	v_fma_f32 v53, |v49|, v53, s30
	v_fma_f32 v53, |v49|, v53, s31
	v_fma_f32 v53, |v49|, v53, s33
	v_fma_f32 v53, |v49|, v53, s34
	v_fma_f32 v53, |v49|, v53, |v49|
	v_mul_f32_e32 v54, 0xbfb8aa3b, v53
	v_fma_f32 v55, v53, s35, -v54
	v_rndne_f32_e32 v56, v54
	v_fmac_f32_e32 v55, 0xb2a5705f, v53
	v_sub_f32_e32 v54, v54, v56
	v_add_f32_e32 v54, v54, v55
	v_cvt_i32_f32_e32 v55, v56
	v_exp_f32_e32 v54, v54
	v_cmp_nlt_f32_e32 vcc, s36, v53
	v_ldexp_f32 v54, v54, v55
	s_nop 0
	v_cndmask_b32_e32 v54, 0, v54, vcc
	v_cmp_ngt_f32_e32 vcc, s37, v53
	s_nop 1
	v_cndmask_b32_e32 v53, v68, v54, vcc
	v_sub_f32_e32 v53, 1.0, v53
.LBB389_31:                             ;   in Loop: Header=BB389_9 Depth=1
	s_andn2_saveexec_b64 s[14:15], s[14:15]
; %bb.32:                               ;   in Loop: Header=BB389_9 Depth=1
	v_mul_f32_e32 v53, v49, v49
	v_fmamk_f32 v54, v53, 0xba1345e1, v66
	v_fmaak_f32 v54, v53, v54, 0xbcdac9b8
	v_fmaak_f32 v54, v53, v54, 0x3de703be
	;; [unrolled: 1-line block ×4, first 2 shown]
	v_fma_f32 v53, |v49|, v53, |v49|
; %bb.33:                               ;   in Loop: Header=BB389_9 Depth=1
	s_or_b64 exec, exec, s[14:15]
	s_waitcnt vmcnt(2)
	v_add_f32_e32 v37, v37, v41
	v_bfi_b32 v41, s38, v53, v49
	v_add_f32_e32 v36, v36, v40
	v_mul_f32_e32 v40, 0.5, v45
	v_add_f32_e32 v41, 1.0, v41
	v_bfi_b32 v48, s38, v52, v48
	v_mul_f32_e32 v45, v40, v41
	v_add_f32_e32 v40, v46, v50
	v_mul_f32_e32 v44, 0.5, v44
	v_add_f32_e32 v48, 1.0, v48
	v_mul_f32_e32 v41, 0x3f3504f3, v40
	v_mul_f32_e32 v44, v44, v48
	v_cmp_nlt_f32_e64 s[14:15], |v41|, 1.0
	;;#ASMSTART
	v_pk_mul_f32 v[36:37], v[44:45], v[36:37]
	;;#ASMEND
                                        ; implicit-def: $vgpr44
	s_and_saveexec_b64 s[40:41], s[14:15]
	s_xor_b64 s[14:15], exec, s[40:41]
	s_cbranch_execz .LBB389_35
; %bb.34:                               ;   in Loop: Header=BB389_9 Depth=1
	v_fma_f32 v44, |v41|, s28, v67
	v_fma_f32 v44, |v41|, v44, s29
	v_fma_f32 v44, |v41|, v44, s30
	v_fma_f32 v44, |v41|, v44, s31
	v_fma_f32 v44, |v41|, v44, s33
	v_fma_f32 v44, |v41|, v44, s34
	v_fma_f32 v44, |v41|, v44, |v41|
	v_mul_f32_e32 v45, 0xbfb8aa3b, v44
	v_fma_f32 v46, v44, s35, -v45
	v_rndne_f32_e32 v48, v45
	v_fmac_f32_e32 v46, 0xb2a5705f, v44
	v_sub_f32_e32 v45, v45, v48
	v_add_f32_e32 v45, v45, v46
	v_cvt_i32_f32_e32 v46, v48
	v_exp_f32_e32 v45, v45
	v_cmp_nlt_f32_e32 vcc, s36, v44
	v_ldexp_f32 v45, v45, v46
	s_nop 0
	v_cndmask_b32_e32 v45, 0, v45, vcc
	v_cmp_ngt_f32_e32 vcc, s37, v44
	s_nop 1
	v_cndmask_b32_e32 v44, v68, v45, vcc
	v_sub_f32_e32 v44, 1.0, v44
.LBB389_35:                             ;   in Loop: Header=BB389_9 Depth=1
	s_andn2_saveexec_b64 s[14:15], s[14:15]
; %bb.36:                               ;   in Loop: Header=BB389_9 Depth=1
	v_mul_f32_e32 v44, v41, v41
	v_fmamk_f32 v45, v44, 0xba1345e1, v66
	v_fmaak_f32 v45, v44, v45, 0xbcdac9b8
	v_fmaak_f32 v45, v44, v45, 0x3de703be
	;; [unrolled: 1-line block ×4, first 2 shown]
	v_fma_f32 v44, |v41|, v44, |v41|
; %bb.37:                               ;   in Loop: Header=BB389_9 Depth=1
	s_or_b64 exec, exec, s[14:15]
	v_add_f32_e32 v45, v47, v51
	v_mul_f32_e32 v46, 0x3f3504f3, v45
	v_cmp_nlt_f32_e64 s[14:15], |v46|, 1.0
                                        ; implicit-def: $vgpr47
	s_and_saveexec_b64 s[40:41], s[14:15]
	s_xor_b64 s[14:15], exec, s[40:41]
	s_cbranch_execz .LBB389_39
; %bb.38:                               ;   in Loop: Header=BB389_9 Depth=1
	v_fma_f32 v47, |v46|, s28, v67
	v_fma_f32 v47, |v46|, v47, s29
	;; [unrolled: 1-line block ×6, first 2 shown]
	v_fma_f32 v47, |v46|, v47, |v46|
	v_mul_f32_e32 v48, 0xbfb8aa3b, v47
	v_fma_f32 v49, v47, s35, -v48
	v_rndne_f32_e32 v50, v48
	v_fmac_f32_e32 v49, 0xb2a5705f, v47
	v_sub_f32_e32 v48, v48, v50
	v_add_f32_e32 v48, v48, v49
	v_cvt_i32_f32_e32 v49, v50
	v_exp_f32_e32 v48, v48
	v_cmp_nlt_f32_e32 vcc, s36, v47
	v_ldexp_f32 v48, v48, v49
	s_nop 0
	v_cndmask_b32_e32 v48, 0, v48, vcc
	v_cmp_ngt_f32_e32 vcc, s37, v47
	s_nop 1
	v_cndmask_b32_e32 v47, v68, v48, vcc
	v_sub_f32_e32 v47, 1.0, v47
.LBB389_39:                             ;   in Loop: Header=BB389_9 Depth=1
	s_andn2_saveexec_b64 s[14:15], s[14:15]
; %bb.40:                               ;   in Loop: Header=BB389_9 Depth=1
	v_mul_f32_e32 v47, v46, v46
	v_fmamk_f32 v48, v47, 0xba1345e1, v66
	v_fmaak_f32 v48, v47, v48, 0xbcdac9b8
	v_fmaak_f32 v48, v47, v48, 0x3de703be
	;; [unrolled: 1-line block ×4, first 2 shown]
	v_fma_f32 v47, |v46|, v47, |v46|
; %bb.41:                               ;   in Loop: Header=BB389_9 Depth=1
	s_or_b64 exec, exec, s[14:15]
	v_bfi_b32 v41, s38, v44, v41
	v_add_f32_e32 v28, v28, v32
	v_mul_f32_e32 v40, 0.5, v40
	v_add_f32_e32 v41, 1.0, v41
	v_add_f32_e32 v38, v38, v42
	v_bfi_b32 v42, s38, v47, v46
	v_mul_f32_e32 v32, 0x3f3504f3, v28
	v_mul_f32_e32 v40, v40, v41
	v_add_f32_e32 v39, v39, v43
	v_mul_f32_e32 v41, 0.5, v45
	v_add_f32_e32 v42, 1.0, v42
	v_cmp_nlt_f32_e64 s[14:15], |v32|, 1.0
	v_mul_f32_e32 v41, v41, v42
	;;#ASMSTART
	v_pk_mul_f32 v[38:39], v[40:41], v[38:39]
	;;#ASMEND
                                        ; implicit-def: $vgpr40
	s_and_saveexec_b64 s[40:41], s[14:15]
	s_xor_b64 s[14:15], exec, s[40:41]
	s_cbranch_execz .LBB389_43
; %bb.42:                               ;   in Loop: Header=BB389_9 Depth=1
	v_fma_f32 v40, |v32|, s28, v67
	v_fma_f32 v40, |v32|, v40, s29
	;; [unrolled: 1-line block ×6, first 2 shown]
	v_fma_f32 v40, |v32|, v40, |v32|
	v_mul_f32_e32 v41, 0xbfb8aa3b, v40
	v_fma_f32 v42, v40, s35, -v41
	v_rndne_f32_e32 v43, v41
	v_fmac_f32_e32 v42, 0xb2a5705f, v40
	v_sub_f32_e32 v41, v41, v43
	v_add_f32_e32 v41, v41, v42
	v_cvt_i32_f32_e32 v42, v43
	v_exp_f32_e32 v41, v41
	v_cmp_nlt_f32_e32 vcc, s36, v40
	v_ldexp_f32 v41, v41, v42
	s_nop 0
	v_cndmask_b32_e32 v41, 0, v41, vcc
	v_cmp_ngt_f32_e32 vcc, s37, v40
	s_nop 1
	v_cndmask_b32_e32 v40, v68, v41, vcc
	v_sub_f32_e32 v40, 1.0, v40
.LBB389_43:                             ;   in Loop: Header=BB389_9 Depth=1
	s_andn2_saveexec_b64 s[14:15], s[14:15]
; %bb.44:                               ;   in Loop: Header=BB389_9 Depth=1
	v_mul_f32_e32 v40, v32, v32
	v_fmamk_f32 v41, v40, 0xba1345e1, v66
	v_fmaak_f32 v41, v40, v41, 0xbcdac9b8
	v_fmaak_f32 v41, v40, v41, 0x3de703be
	;; [unrolled: 1-line block ×4, first 2 shown]
	v_fma_f32 v40, |v32|, v40, |v32|
; %bb.45:                               ;   in Loop: Header=BB389_9 Depth=1
	s_or_b64 exec, exec, s[14:15]
	v_add_f32_e32 v29, v29, v33
	v_mul_f32_e32 v33, 0x3f3504f3, v29
	v_cmp_nlt_f32_e64 s[14:15], |v33|, 1.0
                                        ; implicit-def: $vgpr41
	s_and_saveexec_b64 s[40:41], s[14:15]
	s_xor_b64 s[14:15], exec, s[40:41]
	s_cbranch_execz .LBB389_47
; %bb.46:                               ;   in Loop: Header=BB389_9 Depth=1
	v_fma_f32 v41, |v33|, s28, v67
	v_fma_f32 v41, |v33|, v41, s29
	;; [unrolled: 1-line block ×6, first 2 shown]
	v_fma_f32 v41, |v33|, v41, |v33|
	v_mul_f32_e32 v42, 0xbfb8aa3b, v41
	v_fma_f32 v43, v41, s35, -v42
	v_rndne_f32_e32 v44, v42
	v_fmac_f32_e32 v43, 0xb2a5705f, v41
	v_sub_f32_e32 v42, v42, v44
	v_add_f32_e32 v42, v42, v43
	v_cvt_i32_f32_e32 v43, v44
	v_exp_f32_e32 v42, v42
	v_cmp_nlt_f32_e32 vcc, s36, v41
	v_ldexp_f32 v42, v42, v43
	s_nop 0
	v_cndmask_b32_e32 v42, 0, v42, vcc
	v_cmp_ngt_f32_e32 vcc, s37, v41
	s_nop 1
	v_cndmask_b32_e32 v41, v68, v42, vcc
	v_sub_f32_e32 v41, 1.0, v41
.LBB389_47:                             ;   in Loop: Header=BB389_9 Depth=1
	s_andn2_saveexec_b64 s[14:15], s[14:15]
; %bb.48:                               ;   in Loop: Header=BB389_9 Depth=1
	v_mul_f32_e32 v41, v33, v33
	v_fmamk_f32 v42, v41, 0xba1345e1, v66
	v_fmaak_f32 v42, v41, v42, 0xbcdac9b8
	v_fmaak_f32 v42, v41, v42, 0x3de703be
	;; [unrolled: 1-line block ×4, first 2 shown]
	v_fma_f32 v41, |v33|, v41, |v33|
; %bb.49:                               ;   in Loop: Header=BB389_9 Depth=1
	s_or_b64 exec, exec, s[14:15]
	s_waitcnt vmcnt(1)
	v_add_f32_e32 v21, v21, v25
	v_bfi_b32 v25, s38, v41, v33
	v_add_f32_e32 v20, v20, v24
	v_mul_f32_e32 v24, 0.5, v29
	v_add_f32_e32 v25, 1.0, v25
	v_bfi_b32 v32, s38, v40, v32
	v_mul_f32_e32 v29, v24, v25
	v_add_f32_e32 v24, v30, v34
	v_mul_f32_e32 v28, 0.5, v28
	v_add_f32_e32 v32, 1.0, v32
	v_mul_f32_e32 v25, 0x3f3504f3, v24
	v_mul_f32_e32 v28, v28, v32
	v_cmp_nlt_f32_e64 s[14:15], |v25|, 1.0
	;;#ASMSTART
	v_pk_mul_f32 v[20:21], v[28:29], v[20:21]
	;;#ASMEND
                                        ; implicit-def: $vgpr28
	s_and_saveexec_b64 s[40:41], s[14:15]
	s_xor_b64 s[14:15], exec, s[40:41]
	s_cbranch_execz .LBB389_51
; %bb.50:                               ;   in Loop: Header=BB389_9 Depth=1
	v_fma_f32 v28, |v25|, s28, v67
	v_fma_f32 v28, |v25|, v28, s29
	;; [unrolled: 1-line block ×6, first 2 shown]
	v_fma_f32 v28, |v25|, v28, |v25|
	v_mul_f32_e32 v29, 0xbfb8aa3b, v28
	v_fma_f32 v30, v28, s35, -v29
	v_rndne_f32_e32 v32, v29
	v_fmac_f32_e32 v30, 0xb2a5705f, v28
	v_sub_f32_e32 v29, v29, v32
	v_add_f32_e32 v29, v29, v30
	v_cvt_i32_f32_e32 v30, v32
	v_exp_f32_e32 v29, v29
	v_cmp_nlt_f32_e32 vcc, s36, v28
	v_ldexp_f32 v29, v29, v30
	s_nop 0
	v_cndmask_b32_e32 v29, 0, v29, vcc
	v_cmp_ngt_f32_e32 vcc, s37, v28
	s_nop 1
	v_cndmask_b32_e32 v28, v68, v29, vcc
	v_sub_f32_e32 v28, 1.0, v28
.LBB389_51:                             ;   in Loop: Header=BB389_9 Depth=1
	s_andn2_saveexec_b64 s[14:15], s[14:15]
; %bb.52:                               ;   in Loop: Header=BB389_9 Depth=1
	v_mul_f32_e32 v28, v25, v25
	v_fmamk_f32 v29, v28, 0xba1345e1, v66
	v_fmaak_f32 v29, v28, v29, 0xbcdac9b8
	v_fmaak_f32 v29, v28, v29, 0x3de703be
	;; [unrolled: 1-line block ×4, first 2 shown]
	v_fma_f32 v28, |v25|, v28, |v25|
; %bb.53:                               ;   in Loop: Header=BB389_9 Depth=1
	s_or_b64 exec, exec, s[14:15]
	v_add_f32_e32 v29, v31, v35
	v_mul_f32_e32 v30, 0x3f3504f3, v29
	v_cmp_nlt_f32_e64 s[14:15], |v30|, 1.0
                                        ; implicit-def: $vgpr31
	s_and_saveexec_b64 s[40:41], s[14:15]
	s_xor_b64 s[14:15], exec, s[40:41]
	s_cbranch_execz .LBB389_55
; %bb.54:                               ;   in Loop: Header=BB389_9 Depth=1
	v_fma_f32 v31, |v30|, s28, v67
	v_fma_f32 v31, |v30|, v31, s29
	;; [unrolled: 1-line block ×6, first 2 shown]
	v_fma_f32 v31, |v30|, v31, |v30|
	v_mul_f32_e32 v32, 0xbfb8aa3b, v31
	v_fma_f32 v33, v31, s35, -v32
	v_rndne_f32_e32 v34, v32
	v_fmac_f32_e32 v33, 0xb2a5705f, v31
	v_sub_f32_e32 v32, v32, v34
	v_add_f32_e32 v32, v32, v33
	v_cvt_i32_f32_e32 v33, v34
	v_exp_f32_e32 v32, v32
	v_cmp_nlt_f32_e32 vcc, s36, v31
	v_ldexp_f32 v32, v32, v33
	s_nop 0
	v_cndmask_b32_e32 v32, 0, v32, vcc
	v_cmp_ngt_f32_e32 vcc, s37, v31
	s_nop 1
	v_cndmask_b32_e32 v31, v68, v32, vcc
	v_sub_f32_e32 v31, 1.0, v31
.LBB389_55:                             ;   in Loop: Header=BB389_9 Depth=1
	s_andn2_saveexec_b64 s[14:15], s[14:15]
; %bb.56:                               ;   in Loop: Header=BB389_9 Depth=1
	v_mul_f32_e32 v31, v30, v30
	v_fmamk_f32 v32, v31, 0xba1345e1, v66
	v_fmaak_f32 v32, v31, v32, 0xbcdac9b8
	v_fmaak_f32 v32, v31, v32, 0x3de703be
	;; [unrolled: 1-line block ×4, first 2 shown]
	v_fma_f32 v31, |v30|, v31, |v30|
; %bb.57:                               ;   in Loop: Header=BB389_9 Depth=1
	s_or_b64 exec, exec, s[14:15]
	v_bfi_b32 v25, s38, v28, v25
	v_add_f32_e32 v8, v8, v12
	v_mul_f32_e32 v24, 0.5, v24
	v_add_f32_e32 v25, 1.0, v25
	v_add_f32_e32 v22, v22, v26
	v_bfi_b32 v26, s38, v31, v30
	v_mul_f32_e32 v12, 0x3f3504f3, v8
	v_mul_f32_e32 v24, v24, v25
	v_add_f32_e32 v23, v23, v27
	v_mul_f32_e32 v25, 0.5, v29
	v_add_f32_e32 v26, 1.0, v26
	v_cmp_nlt_f32_e64 s[14:15], |v12|, 1.0
	v_mul_f32_e32 v25, v25, v26
	;;#ASMSTART
	v_pk_mul_f32 v[22:23], v[24:25], v[22:23]
	;;#ASMEND
                                        ; implicit-def: $vgpr24
	s_and_saveexec_b64 s[40:41], s[14:15]
	s_xor_b64 s[14:15], exec, s[40:41]
	s_cbranch_execz .LBB389_59
; %bb.58:                               ;   in Loop: Header=BB389_9 Depth=1
	v_fma_f32 v24, |v12|, s28, v67
	v_fma_f32 v24, |v12|, v24, s29
	;; [unrolled: 1-line block ×6, first 2 shown]
	v_fma_f32 v24, |v12|, v24, |v12|
	v_mul_f32_e32 v25, 0xbfb8aa3b, v24
	v_fma_f32 v26, v24, s35, -v25
	v_rndne_f32_e32 v27, v25
	v_fmac_f32_e32 v26, 0xb2a5705f, v24
	v_sub_f32_e32 v25, v25, v27
	v_add_f32_e32 v25, v25, v26
	v_cvt_i32_f32_e32 v26, v27
	v_exp_f32_e32 v25, v25
	v_cmp_nlt_f32_e32 vcc, s36, v24
	v_ldexp_f32 v25, v25, v26
	s_nop 0
	v_cndmask_b32_e32 v25, 0, v25, vcc
	v_cmp_ngt_f32_e32 vcc, s37, v24
	s_nop 1
	v_cndmask_b32_e32 v24, v68, v25, vcc
	v_sub_f32_e32 v24, 1.0, v24
.LBB389_59:                             ;   in Loop: Header=BB389_9 Depth=1
	s_andn2_saveexec_b64 s[14:15], s[14:15]
; %bb.60:                               ;   in Loop: Header=BB389_9 Depth=1
	v_mul_f32_e32 v24, v12, v12
	v_fmamk_f32 v25, v24, 0xba1345e1, v66
	v_fmaak_f32 v25, v24, v25, 0xbcdac9b8
	v_fmaak_f32 v25, v24, v25, 0x3de703be
	;; [unrolled: 1-line block ×4, first 2 shown]
	v_fma_f32 v24, |v12|, v24, |v12|
; %bb.61:                               ;   in Loop: Header=BB389_9 Depth=1
	s_or_b64 exec, exec, s[14:15]
	v_add_f32_e32 v9, v9, v13
	v_mul_f32_e32 v13, 0x3f3504f3, v9
	v_cmp_nlt_f32_e64 s[14:15], |v13|, 1.0
                                        ; implicit-def: $vgpr25
	s_and_saveexec_b64 s[40:41], s[14:15]
	s_xor_b64 s[14:15], exec, s[40:41]
	s_cbranch_execz .LBB389_63
; %bb.62:                               ;   in Loop: Header=BB389_9 Depth=1
	v_fma_f32 v25, |v13|, s28, v67
	v_fma_f32 v25, |v13|, v25, s29
	;; [unrolled: 1-line block ×6, first 2 shown]
	v_fma_f32 v25, |v13|, v25, |v13|
	v_mul_f32_e32 v26, 0xbfb8aa3b, v25
	v_fma_f32 v27, v25, s35, -v26
	v_rndne_f32_e32 v28, v26
	v_fmac_f32_e32 v27, 0xb2a5705f, v25
	v_sub_f32_e32 v26, v26, v28
	v_add_f32_e32 v26, v26, v27
	v_cvt_i32_f32_e32 v27, v28
	v_exp_f32_e32 v26, v26
	v_cmp_nlt_f32_e32 vcc, s36, v25
	v_ldexp_f32 v26, v26, v27
	s_nop 0
	v_cndmask_b32_e32 v26, 0, v26, vcc
	v_cmp_ngt_f32_e32 vcc, s37, v25
	s_nop 1
	v_cndmask_b32_e32 v25, v68, v26, vcc
	v_sub_f32_e32 v25, 1.0, v25
.LBB389_63:                             ;   in Loop: Header=BB389_9 Depth=1
	s_andn2_saveexec_b64 s[14:15], s[14:15]
; %bb.64:                               ;   in Loop: Header=BB389_9 Depth=1
	v_mul_f32_e32 v25, v13, v13
	v_fmamk_f32 v26, v25, 0xba1345e1, v66
	v_fmaak_f32 v26, v25, v26, 0xbcdac9b8
	v_fmaak_f32 v26, v25, v26, 0x3de703be
	v_fmaak_f32 v26, v25, v26, 0xbec09330
	v_fmaak_f32 v25, v25, v26, 0x3e0375d0
	v_fma_f32 v25, |v13|, v25, |v13|
; %bb.65:                               ;   in Loop: Header=BB389_9 Depth=1
	s_or_b64 exec, exec, s[14:15]
	s_waitcnt vmcnt(0)
	v_add_f32_e32 v1, v1, v5
	v_bfi_b32 v5, s38, v25, v13
	v_add_f32_e32 v0, v0, v4
	v_mul_f32_e32 v4, 0.5, v9
	v_add_f32_e32 v5, 1.0, v5
	v_bfi_b32 v12, s38, v24, v12
	v_mul_f32_e32 v9, v4, v5
	v_add_f32_e32 v4, v10, v14
	v_mul_f32_e32 v8, 0.5, v8
	v_add_f32_e32 v12, 1.0, v12
	v_mul_f32_e32 v5, 0x3f3504f3, v4
	v_mul_f32_e32 v8, v8, v12
	v_cmp_nlt_f32_e64 s[14:15], |v5|, 1.0
	;;#ASMSTART
	v_pk_mul_f32 v[0:1], v[8:9], v[0:1]
	;;#ASMEND
                                        ; implicit-def: $vgpr8
	s_and_saveexec_b64 s[40:41], s[14:15]
	s_xor_b64 s[14:15], exec, s[40:41]
	s_cbranch_execz .LBB389_67
; %bb.66:                               ;   in Loop: Header=BB389_9 Depth=1
	v_fma_f32 v8, |v5|, s28, v67
	v_fma_f32 v8, |v5|, v8, s29
	;; [unrolled: 1-line block ×6, first 2 shown]
	v_fma_f32 v8, |v5|, v8, |v5|
	v_mul_f32_e32 v9, 0xbfb8aa3b, v8
	v_fma_f32 v10, v8, s35, -v9
	v_rndne_f32_e32 v12, v9
	v_fmac_f32_e32 v10, 0xb2a5705f, v8
	v_sub_f32_e32 v9, v9, v12
	v_add_f32_e32 v9, v9, v10
	v_cvt_i32_f32_e32 v10, v12
	v_exp_f32_e32 v9, v9
	v_cmp_nlt_f32_e32 vcc, s36, v8
	v_ldexp_f32 v9, v9, v10
	s_nop 0
	v_cndmask_b32_e32 v9, 0, v9, vcc
	v_cmp_ngt_f32_e32 vcc, s37, v8
	s_nop 1
	v_cndmask_b32_e32 v8, v68, v9, vcc
	v_sub_f32_e32 v8, 1.0, v8
.LBB389_67:                             ;   in Loop: Header=BB389_9 Depth=1
	s_andn2_saveexec_b64 s[14:15], s[14:15]
; %bb.68:                               ;   in Loop: Header=BB389_9 Depth=1
	v_mul_f32_e32 v8, v5, v5
	v_fmamk_f32 v9, v8, 0xba1345e1, v66
	v_fmaak_f32 v9, v8, v9, 0xbcdac9b8
	v_fmaak_f32 v9, v8, v9, 0x3de703be
	;; [unrolled: 1-line block ×4, first 2 shown]
	v_fma_f32 v8, |v5|, v8, |v5|
; %bb.69:                               ;   in Loop: Header=BB389_9 Depth=1
	s_or_b64 exec, exec, s[14:15]
	v_add_f32_e32 v9, v11, v15
	v_mul_f32_e32 v10, 0x3f3504f3, v9
	v_cmp_nlt_f32_e64 s[14:15], |v10|, 1.0
                                        ; implicit-def: $vgpr11
	s_and_saveexec_b64 s[40:41], s[14:15]
	s_xor_b64 s[14:15], exec, s[40:41]
	s_cbranch_execz .LBB389_71
; %bb.70:                               ;   in Loop: Header=BB389_9 Depth=1
	v_fma_f32 v11, |v10|, s28, v67
	v_fma_f32 v11, |v10|, v11, s29
	;; [unrolled: 1-line block ×6, first 2 shown]
	v_fma_f32 v11, |v10|, v11, |v10|
	v_mul_f32_e32 v12, 0xbfb8aa3b, v11
	v_fma_f32 v13, v11, s35, -v12
	v_rndne_f32_e32 v14, v12
	v_fmac_f32_e32 v13, 0xb2a5705f, v11
	v_sub_f32_e32 v12, v12, v14
	v_add_f32_e32 v12, v12, v13
	v_cvt_i32_f32_e32 v13, v14
	v_exp_f32_e32 v12, v12
	v_cmp_nlt_f32_e32 vcc, s36, v11
	v_ldexp_f32 v12, v12, v13
	s_nop 0
	v_cndmask_b32_e32 v12, 0, v12, vcc
	v_cmp_ngt_f32_e32 vcc, s37, v11
	s_nop 1
	v_cndmask_b32_e32 v11, v68, v12, vcc
	v_sub_f32_e32 v11, 1.0, v11
.LBB389_71:                             ;   in Loop: Header=BB389_9 Depth=1
	s_andn2_saveexec_b64 s[14:15], s[14:15]
	s_cbranch_execz .LBB389_8
; %bb.72:                               ;   in Loop: Header=BB389_9 Depth=1
	v_mul_f32_e32 v11, v10, v10
	v_fmamk_f32 v12, v11, 0xba1345e1, v66
	v_fmaak_f32 v12, v11, v12, 0xbcdac9b8
	v_fmaak_f32 v12, v11, v12, 0x3de703be
	;; [unrolled: 1-line block ×4, first 2 shown]
	v_fma_f32 v11, |v10|, v11, |v10|
	s_branch .LBB389_8
.LBB389_73:
	s_endpgm
	.section	.rodata,"a",@progbits
	.p2align	6, 0x0
	.amdhsa_kernel _ZN5aiter23act_and_mul_bias_kernelIffafTnPFfRKT2_EXadL_ZNS_11gelu_kernelIfEEfRKT_EELi16EEEvPT0_PS8_PKT1_PS2_il
		.amdhsa_group_segment_fixed_size 0
		.amdhsa_private_segment_fixed_size 0
		.amdhsa_kernarg_size 304
		.amdhsa_user_sgpr_count 2
		.amdhsa_user_sgpr_dispatch_ptr 0
		.amdhsa_user_sgpr_queue_ptr 0
		.amdhsa_user_sgpr_kernarg_segment_ptr 1
		.amdhsa_user_sgpr_dispatch_id 0
		.amdhsa_user_sgpr_kernarg_preload_length 0
		.amdhsa_user_sgpr_kernarg_preload_offset 0
		.amdhsa_user_sgpr_private_segment_size 0
		.amdhsa_uses_dynamic_stack 0
		.amdhsa_enable_private_segment 0
		.amdhsa_system_sgpr_workgroup_id_x 1
		.amdhsa_system_sgpr_workgroup_id_y 0
		.amdhsa_system_sgpr_workgroup_id_z 0
		.amdhsa_system_sgpr_workgroup_info 0
		.amdhsa_system_vgpr_workitem_id 0
		.amdhsa_next_free_vgpr 75
		.amdhsa_next_free_sgpr 42
		.amdhsa_accum_offset 76
		.amdhsa_reserve_vcc 1
		.amdhsa_float_round_mode_32 0
		.amdhsa_float_round_mode_16_64 0
		.amdhsa_float_denorm_mode_32 3
		.amdhsa_float_denorm_mode_16_64 3
		.amdhsa_dx10_clamp 1
		.amdhsa_ieee_mode 1
		.amdhsa_fp16_overflow 0
		.amdhsa_tg_split 0
		.amdhsa_exception_fp_ieee_invalid_op 0
		.amdhsa_exception_fp_denorm_src 0
		.amdhsa_exception_fp_ieee_div_zero 0
		.amdhsa_exception_fp_ieee_overflow 0
		.amdhsa_exception_fp_ieee_underflow 0
		.amdhsa_exception_fp_ieee_inexact 0
		.amdhsa_exception_int_div_zero 0
	.end_amdhsa_kernel
	.section	.text._ZN5aiter23act_and_mul_bias_kernelIffafTnPFfRKT2_EXadL_ZNS_11gelu_kernelIfEEfRKT_EELi16EEEvPT0_PS8_PKT1_PS2_il,"axG",@progbits,_ZN5aiter23act_and_mul_bias_kernelIffafTnPFfRKT2_EXadL_ZNS_11gelu_kernelIfEEfRKT_EELi16EEEvPT0_PS8_PKT1_PS2_il,comdat
.Lfunc_end389:
	.size	_ZN5aiter23act_and_mul_bias_kernelIffafTnPFfRKT2_EXadL_ZNS_11gelu_kernelIfEEfRKT_EELi16EEEvPT0_PS8_PKT1_PS2_il, .Lfunc_end389-_ZN5aiter23act_and_mul_bias_kernelIffafTnPFfRKT2_EXadL_ZNS_11gelu_kernelIfEEfRKT_EELi16EEEvPT0_PS8_PKT1_PS2_il
                                        ; -- End function
	.section	.AMDGPU.csdata,"",@progbits
; Kernel info:
; codeLenInByte = 4972
; NumSgprs: 48
; NumVgprs: 75
; NumAgprs: 0
; TotalNumVgprs: 75
; ScratchSize: 0
; MemoryBound: 0
; FloatMode: 240
; IeeeMode: 1
; LDSByteSize: 0 bytes/workgroup (compile time only)
; SGPRBlocks: 5
; VGPRBlocks: 9
; NumSGPRsForWavesPerEU: 48
; NumVGPRsForWavesPerEU: 75
; AccumOffset: 76
; Occupancy: 6
; WaveLimiterHint : 0
; COMPUTE_PGM_RSRC2:SCRATCH_EN: 0
; COMPUTE_PGM_RSRC2:USER_SGPR: 2
; COMPUTE_PGM_RSRC2:TRAP_HANDLER: 0
; COMPUTE_PGM_RSRC2:TGID_X_EN: 1
; COMPUTE_PGM_RSRC2:TGID_Y_EN: 0
; COMPUTE_PGM_RSRC2:TGID_Z_EN: 0
; COMPUTE_PGM_RSRC2:TIDIG_COMP_CNT: 0
; COMPUTE_PGM_RSRC3_GFX90A:ACCUM_OFFSET: 18
; COMPUTE_PGM_RSRC3_GFX90A:TG_SPLIT: 0
	.section	.text._ZN5aiter23act_and_mul_bias_kernelIffafTnPFfRKT2_EXadL_ZNS_11gelu_kernelIfEEfRKT_EELi8EEEvPT0_PS8_PKT1_PS2_il,"axG",@progbits,_ZN5aiter23act_and_mul_bias_kernelIffafTnPFfRKT2_EXadL_ZNS_11gelu_kernelIfEEfRKT_EELi8EEEvPT0_PS8_PKT1_PS2_il,comdat
	.protected	_ZN5aiter23act_and_mul_bias_kernelIffafTnPFfRKT2_EXadL_ZNS_11gelu_kernelIfEEfRKT_EELi8EEEvPT0_PS8_PKT1_PS2_il ; -- Begin function _ZN5aiter23act_and_mul_bias_kernelIffafTnPFfRKT2_EXadL_ZNS_11gelu_kernelIfEEfRKT_EELi8EEEvPT0_PS8_PKT1_PS2_il
	.globl	_ZN5aiter23act_and_mul_bias_kernelIffafTnPFfRKT2_EXadL_ZNS_11gelu_kernelIfEEfRKT_EELi8EEEvPT0_PS8_PKT1_PS2_il
	.p2align	8
	.type	_ZN5aiter23act_and_mul_bias_kernelIffafTnPFfRKT2_EXadL_ZNS_11gelu_kernelIfEEfRKT_EELi8EEEvPT0_PS8_PKT1_PS2_il,@function
_ZN5aiter23act_and_mul_bias_kernelIffafTnPFfRKT2_EXadL_ZNS_11gelu_kernelIfEEfRKT_EELi8EEEvPT0_PS8_PKT1_PS2_il: ; @_ZN5aiter23act_and_mul_bias_kernelIffafTnPFfRKT2_EXadL_ZNS_11gelu_kernelIfEEfRKT_EELi8EEEvPT0_PS8_PKT1_PS2_il
; %bb.0:
	s_load_dwordx2 s[4:5], s[0:1], 0x10
	s_load_dword s24, s[0:1], 0x20
	s_load_dwordx2 s[8:9], s[0:1], 0x28
	v_mov_b32_e32 v1, s2
	s_mov_b32 s13, 0
	s_waitcnt lgkmcnt(0)
	global_load_ubyte v1, v1, s[4:5]
	s_ashr_i32 s25, s24, 31
	s_load_dwordx2 s[4:5], s[0:1], 0x0
	s_mul_hi_u32 s3, s24, s2
	s_mul_i32 s7, s25, s2
	s_add_i32 s15, s3, s7
	s_mul_i32 s14, s24, s2
	s_lshl_b32 s6, s24, 2
	v_mov_b64_e32 v[2:3], s[8:9]
	s_lshl_b64 s[14:15], s[14:15], 2
	s_mov_b64 s[10:11], -1
	v_lshlrev_b32_e32 v32, 3, v0
	s_waitcnt vmcnt(0)
	v_readfirstlane_b32 s3, v1
	s_nop 1
	v_mov_b32_e32 v4, s3
	s_sext_i32_i8 s3, s3
	v_readfirstlane_b32 s12, v4
	s_bfe_i64 s[8:9], s[12:13], 0x80000
	s_waitcnt lgkmcnt(0)
	s_add_u32 s4, s4, s14
	s_addc_u32 s5, s5, s15
	s_and_b32 s5, s5, 0xffff
	s_cmp_gt_i32 s3, -1
	v_cmp_lt_i64_e32 vcc, s[8:9], v[2:3]
	s_cselect_b64 s[12:13], -1, 0
	s_and_b64 s[12:13], s[12:13], vcc
	s_and_b64 vcc, exec, s[12:13]
	s_cbranch_vccnz .LBB390_5
; %bb.1:
	v_cmp_gt_i32_e32 vcc, s24, v32
	s_and_saveexec_b64 s[10:11], vcc
	s_cbranch_execz .LBB390_4
; %bb.2:
	s_load_dword s3, s[0:1], 0x3c
	s_mov_b32 s13, 0
	s_mov_b32 s16, s13
	;; [unrolled: 1-line block ×3, first 2 shown]
	v_mov_b32_e32 v33, 0
	v_lshlrev_b32_e32 v6, 5, v0
	s_waitcnt lgkmcnt(0)
	s_and_b32 s3, s3, 0xffff
	s_mov_b32 s18, s13
	s_mov_b32 s19, s13
	v_mov_b64_e32 v[0:1], s[16:17]
	s_lshl_b32 s12, s3, 3
	s_lshl_b32 s3, s3, 5
	s_mov_b64 s[14:15], 0
	s_mov_b32 s7, 0x20000
	v_mov_b64_e32 v[2:3], s[18:19]
	v_mov_b64_e32 v[4:5], v[32:33]
.LBB390_3:                              ; =>This Inner Loop Header: Depth=1
	v_lshl_add_u64 v[4:5], s[12:13], 0, v[4:5]
	v_cmp_le_i64_e32 vcc, s[24:25], v[4:5]
	buffer_store_dwordx4 v[0:3], v6, s[4:7], 0 offen
	buffer_store_dwordx4 v[0:3], v6, s[4:7], 16 offen
	s_or_b64 s[14:15], vcc, s[14:15]
	v_add_u32_e32 v6, s3, v6
	s_andn2_b64 exec, exec, s[14:15]
	s_cbranch_execnz .LBB390_3
.LBB390_4:
	s_or_b64 exec, exec, s[10:11]
	s_mov_b64 s[10:11], 0
.LBB390_5:
	s_andn2_b64 vcc, exec, s[10:11]
	s_cbranch_vccnz .LBB390_41
; %bb.6:
	v_cmp_gt_i32_e32 vcc, s24, v32
	s_and_saveexec_b64 s[10:11], vcc
	s_cbranch_execz .LBB390_41
; %bb.7:
	s_load_dwordx2 s[10:11], s[0:1], 0x8
	s_load_dwordx2 s[12:13], s[0:1], 0x18
	s_mul_hi_i32 s9, s24, s8
	s_mul_i32 s8, s24, s8
	s_lshl_b64 s[8:9], s[8:9], 3
	s_mul_i32 s16, s2, s25
	s_waitcnt lgkmcnt(0)
	s_add_u32 s8, s12, s8
	s_addc_u32 s7, s13, s9
	s_lshl_b64 s[14:15], s[24:25], 2
	s_add_u32 s12, s8, s14
	s_mul_hi_u32 s17, s2, s24
	s_addc_u32 s13, s7, s15
	s_add_i32 s17, s17, s16
	s_mul_i32 s16, s2, s24
	s_and_b32 s9, s7, 0xffff
	s_and_b32 s13, s13, 0xffff
	s_lshl_b64 s[16:17], s[16:17], 3
	s_add_u32 s16, s10, s16
	s_addc_u32 s2, s11, s17
	s_add_u32 s20, s16, s14
	s_addc_u32 s10, s2, s15
	s_and_b32 s17, s2, 0xffff
	s_and_b32 s21, s10, 0xffff
	s_mov_b32 s7, 0x20000
	s_add_u32 s0, s0, 48
	s_mov_b32 s3, 0
	v_mov_b32_e32 v33, 0
	s_addc_u32 s1, s1, 0
	s_mov_b64 s[26:27], 0
	s_mov_b32 s11, s7
	s_mov_b32 s10, s6
	;; [unrolled: 1-line block ×13, first 2 shown]
	v_mov_b32_e32 v34, 0x3ba10414
	s_brev_b32 s38, -2
	s_mov_b32 s22, s6
	s_mov_b32 s23, s7
	v_mov_b32_e32 v35, 0xb9c68948
	v_mov_b32_e32 v36, 0x7f800000
                                        ; implicit-def: $vgpr0
                                        ; implicit-def: $vgpr0
                                        ; implicit-def: $vgpr0
                                        ; implicit-def: $vgpr0
	s_branch .LBB390_9
.LBB390_8:                              ;   in Loop: Header=BB390_9 Depth=1
	s_or_b64 exec, exec, s[14:15]
	v_bfi_b32 v5, s38, v8, v5
	v_mul_f32_e32 v4, 0.5, v4
	v_add_f32_e32 v5, 1.0, v5
	v_add_f32_e32 v2, v2, v6
	v_bfi_b32 v6, s38, v11, v10
	v_mul_f32_e32 v4, v4, v5
	v_add_f32_e32 v3, v3, v7
	v_mul_f32_e32 v5, 0.5, v9
	v_add_f32_e32 v6, 1.0, v6
	v_mul_f32_e32 v5, v5, v6
	;;#ASMSTART
	v_pk_mul_f32 v[2:3], v[4:5], v[2:3]
	;;#ASMEND
	s_load_dword s2, s[0:1], 0xc
	buffer_store_dwordx4 v[16:19], v37, s[4:7], 0 offen
	buffer_store_dwordx4 v[0:3], v37, s[4:7], 16 offen
	s_waitcnt lgkmcnt(0)
	s_and_b32 s2, s2, 0xffff
	s_lshl_b32 s2, s2, 3
	v_lshl_add_u64 v[32:33], s[2:3], 0, v[32:33]
	v_cmp_le_i64_e32 vcc, s[24:25], v[32:33]
	s_or_b64 s[26:27], vcc, s[26:27]
	s_andn2_b64 exec, exec, s[26:27]
	s_cbranch_execz .LBB390_41
.LBB390_9:                              ; =>This Inner Loop Header: Depth=1
	v_lshlrev_b32_e32 v37, 2, v32
	buffer_load_dwordx4 v[24:27], v37, s[16:19], 0 offen
	buffer_load_dwordx4 v[8:11], v37, s[16:19], 16 offen
	;; [unrolled: 1-line block ×6, first 2 shown]
	s_mov_b32 s14, s10
	s_mov_b32 s15, s11
	buffer_load_dwordx4 v[20:23], v37, s[12:15], 0 offen
	buffer_load_dwordx4 v[4:7], v37, s[12:15], 16 offen
                                        ; implicit-def: $vgpr38
	s_waitcnt vmcnt(3)
	v_add_f32_e32 v24, v24, v28
	v_mul_f32_e32 v28, 0x3f3504f3, v24
	v_cmp_nlt_f32_e64 s[14:15], |v28|, 1.0
	s_and_saveexec_b64 s[40:41], s[14:15]
	s_xor_b64 s[14:15], exec, s[40:41]
	s_cbranch_execz .LBB390_11
; %bb.10:                               ;   in Loop: Header=BB390_9 Depth=1
	v_fma_f32 v38, |v28|, s28, v35
	v_fma_f32 v38, |v28|, v38, s29
	;; [unrolled: 1-line block ×6, first 2 shown]
	v_fma_f32 v38, |v28|, v38, |v28|
	v_mul_f32_e32 v39, 0xbfb8aa3b, v38
	v_fma_f32 v40, v38, s35, -v39
	v_rndne_f32_e32 v41, v39
	v_fmac_f32_e32 v40, 0xb2a5705f, v38
	v_sub_f32_e32 v39, v39, v41
	v_add_f32_e32 v39, v39, v40
	v_cvt_i32_f32_e32 v40, v41
	v_exp_f32_e32 v39, v39
	v_cmp_nlt_f32_e32 vcc, s36, v38
	v_ldexp_f32 v39, v39, v40
	s_nop 0
	v_cndmask_b32_e32 v39, 0, v39, vcc
	v_cmp_ngt_f32_e32 vcc, s37, v38
	s_nop 1
	v_cndmask_b32_e32 v38, v36, v39, vcc
	v_sub_f32_e32 v38, 1.0, v38
.LBB390_11:                             ;   in Loop: Header=BB390_9 Depth=1
	s_andn2_saveexec_b64 s[14:15], s[14:15]
; %bb.12:                               ;   in Loop: Header=BB390_9 Depth=1
	v_mul_f32_e32 v38, v28, v28
	v_fmamk_f32 v39, v38, 0xba1345e1, v34
	v_fmaak_f32 v39, v38, v39, 0xbcdac9b8
	v_fmaak_f32 v39, v38, v39, 0x3de703be
	;; [unrolled: 1-line block ×4, first 2 shown]
	v_fma_f32 v38, |v28|, v38, |v28|
; %bb.13:                               ;   in Loop: Header=BB390_9 Depth=1
	s_or_b64 exec, exec, s[14:15]
	v_add_f32_e32 v25, v25, v29
	v_mul_f32_e32 v29, 0x3f3504f3, v25
	v_cmp_nlt_f32_e64 s[14:15], |v29|, 1.0
                                        ; implicit-def: $vgpr39
	s_and_saveexec_b64 s[40:41], s[14:15]
	s_xor_b64 s[14:15], exec, s[40:41]
	s_cbranch_execz .LBB390_15
; %bb.14:                               ;   in Loop: Header=BB390_9 Depth=1
	v_fma_f32 v39, |v29|, s28, v35
	v_fma_f32 v39, |v29|, v39, s29
	;; [unrolled: 1-line block ×6, first 2 shown]
	v_fma_f32 v39, |v29|, v39, |v29|
	v_mul_f32_e32 v40, 0xbfb8aa3b, v39
	v_fma_f32 v41, v39, s35, -v40
	v_rndne_f32_e32 v42, v40
	v_fmac_f32_e32 v41, 0xb2a5705f, v39
	v_sub_f32_e32 v40, v40, v42
	v_add_f32_e32 v40, v40, v41
	v_cvt_i32_f32_e32 v41, v42
	v_exp_f32_e32 v40, v40
	v_cmp_nlt_f32_e32 vcc, s36, v39
	v_ldexp_f32 v40, v40, v41
	s_nop 0
	v_cndmask_b32_e32 v40, 0, v40, vcc
	v_cmp_ngt_f32_e32 vcc, s37, v39
	s_nop 1
	v_cndmask_b32_e32 v39, v36, v40, vcc
	v_sub_f32_e32 v39, 1.0, v39
.LBB390_15:                             ;   in Loop: Header=BB390_9 Depth=1
	s_andn2_saveexec_b64 s[14:15], s[14:15]
; %bb.16:                               ;   in Loop: Header=BB390_9 Depth=1
	v_mul_f32_e32 v39, v29, v29
	v_fmamk_f32 v40, v39, 0xba1345e1, v34
	v_fmaak_f32 v40, v39, v40, 0xbcdac9b8
	v_fmaak_f32 v40, v39, v40, 0x3de703be
	;; [unrolled: 1-line block ×4, first 2 shown]
	v_fma_f32 v39, |v29|, v39, |v29|
; %bb.17:                               ;   in Loop: Header=BB390_9 Depth=1
	s_or_b64 exec, exec, s[14:15]
	s_waitcnt vmcnt(1)
	v_add_f32_e32 v17, v17, v21
	v_bfi_b32 v21, s38, v39, v29
	v_add_f32_e32 v16, v16, v20
	v_mul_f32_e32 v20, 0.5, v25
	v_add_f32_e32 v21, 1.0, v21
	v_bfi_b32 v28, s38, v38, v28
	v_mul_f32_e32 v25, v20, v21
	v_add_f32_e32 v20, v26, v30
	v_mul_f32_e32 v24, 0.5, v24
	v_add_f32_e32 v28, 1.0, v28
	v_mul_f32_e32 v21, 0x3f3504f3, v20
	v_mul_f32_e32 v24, v24, v28
	v_cmp_nlt_f32_e64 s[14:15], |v21|, 1.0
	;;#ASMSTART
	v_pk_mul_f32 v[16:17], v[24:25], v[16:17]
	;;#ASMEND
                                        ; implicit-def: $vgpr24
	s_and_saveexec_b64 s[40:41], s[14:15]
	s_xor_b64 s[14:15], exec, s[40:41]
	s_cbranch_execz .LBB390_19
; %bb.18:                               ;   in Loop: Header=BB390_9 Depth=1
	v_fma_f32 v24, |v21|, s28, v35
	v_fma_f32 v24, |v21|, v24, s29
	;; [unrolled: 1-line block ×6, first 2 shown]
	v_fma_f32 v24, |v21|, v24, |v21|
	v_mul_f32_e32 v25, 0xbfb8aa3b, v24
	v_fma_f32 v26, v24, s35, -v25
	v_rndne_f32_e32 v28, v25
	v_fmac_f32_e32 v26, 0xb2a5705f, v24
	v_sub_f32_e32 v25, v25, v28
	v_add_f32_e32 v25, v25, v26
	v_cvt_i32_f32_e32 v26, v28
	v_exp_f32_e32 v25, v25
	v_cmp_nlt_f32_e32 vcc, s36, v24
	v_ldexp_f32 v25, v25, v26
	s_nop 0
	v_cndmask_b32_e32 v25, 0, v25, vcc
	v_cmp_ngt_f32_e32 vcc, s37, v24
	s_nop 1
	v_cndmask_b32_e32 v24, v36, v25, vcc
	v_sub_f32_e32 v24, 1.0, v24
.LBB390_19:                             ;   in Loop: Header=BB390_9 Depth=1
	s_andn2_saveexec_b64 s[14:15], s[14:15]
; %bb.20:                               ;   in Loop: Header=BB390_9 Depth=1
	v_mul_f32_e32 v24, v21, v21
	v_fmamk_f32 v25, v24, 0xba1345e1, v34
	v_fmaak_f32 v25, v24, v25, 0xbcdac9b8
	v_fmaak_f32 v25, v24, v25, 0x3de703be
	;; [unrolled: 1-line block ×4, first 2 shown]
	v_fma_f32 v24, |v21|, v24, |v21|
; %bb.21:                               ;   in Loop: Header=BB390_9 Depth=1
	s_or_b64 exec, exec, s[14:15]
	v_add_f32_e32 v25, v27, v31
	v_mul_f32_e32 v26, 0x3f3504f3, v25
	v_cmp_nlt_f32_e64 s[14:15], |v26|, 1.0
                                        ; implicit-def: $vgpr27
	s_and_saveexec_b64 s[40:41], s[14:15]
	s_xor_b64 s[14:15], exec, s[40:41]
	s_cbranch_execz .LBB390_23
; %bb.22:                               ;   in Loop: Header=BB390_9 Depth=1
	v_fma_f32 v27, |v26|, s28, v35
	v_fma_f32 v27, |v26|, v27, s29
	;; [unrolled: 1-line block ×6, first 2 shown]
	v_fma_f32 v27, |v26|, v27, |v26|
	v_mul_f32_e32 v28, 0xbfb8aa3b, v27
	v_fma_f32 v29, v27, s35, -v28
	v_rndne_f32_e32 v30, v28
	v_fmac_f32_e32 v29, 0xb2a5705f, v27
	v_sub_f32_e32 v28, v28, v30
	v_add_f32_e32 v28, v28, v29
	v_cvt_i32_f32_e32 v29, v30
	v_exp_f32_e32 v28, v28
	v_cmp_nlt_f32_e32 vcc, s36, v27
	v_ldexp_f32 v28, v28, v29
	s_nop 0
	v_cndmask_b32_e32 v28, 0, v28, vcc
	v_cmp_ngt_f32_e32 vcc, s37, v27
	s_nop 1
	v_cndmask_b32_e32 v27, v36, v28, vcc
	v_sub_f32_e32 v27, 1.0, v27
.LBB390_23:                             ;   in Loop: Header=BB390_9 Depth=1
	s_andn2_saveexec_b64 s[14:15], s[14:15]
; %bb.24:                               ;   in Loop: Header=BB390_9 Depth=1
	v_mul_f32_e32 v27, v26, v26
	v_fmamk_f32 v28, v27, 0xba1345e1, v34
	v_fmaak_f32 v28, v27, v28, 0xbcdac9b8
	v_fmaak_f32 v28, v27, v28, 0x3de703be
	;; [unrolled: 1-line block ×4, first 2 shown]
	v_fma_f32 v27, |v26|, v27, |v26|
; %bb.25:                               ;   in Loop: Header=BB390_9 Depth=1
	s_or_b64 exec, exec, s[14:15]
	v_bfi_b32 v21, s38, v24, v21
	v_add_f32_e32 v8, v8, v12
	v_mul_f32_e32 v20, 0.5, v20
	v_add_f32_e32 v21, 1.0, v21
	v_add_f32_e32 v18, v18, v22
	v_bfi_b32 v22, s38, v27, v26
	v_mul_f32_e32 v12, 0x3f3504f3, v8
	v_mul_f32_e32 v20, v20, v21
	v_add_f32_e32 v19, v19, v23
	v_mul_f32_e32 v21, 0.5, v25
	v_add_f32_e32 v22, 1.0, v22
	v_cmp_nlt_f32_e64 s[14:15], |v12|, 1.0
	v_mul_f32_e32 v21, v21, v22
	;;#ASMSTART
	v_pk_mul_f32 v[18:19], v[20:21], v[18:19]
	;;#ASMEND
                                        ; implicit-def: $vgpr20
	s_and_saveexec_b64 s[40:41], s[14:15]
	s_xor_b64 s[14:15], exec, s[40:41]
	s_cbranch_execz .LBB390_27
; %bb.26:                               ;   in Loop: Header=BB390_9 Depth=1
	v_fma_f32 v20, |v12|, s28, v35
	v_fma_f32 v20, |v12|, v20, s29
	;; [unrolled: 1-line block ×6, first 2 shown]
	v_fma_f32 v20, |v12|, v20, |v12|
	v_mul_f32_e32 v21, 0xbfb8aa3b, v20
	v_fma_f32 v22, v20, s35, -v21
	v_rndne_f32_e32 v23, v21
	v_fmac_f32_e32 v22, 0xb2a5705f, v20
	v_sub_f32_e32 v21, v21, v23
	v_add_f32_e32 v21, v21, v22
	v_cvt_i32_f32_e32 v22, v23
	v_exp_f32_e32 v21, v21
	v_cmp_nlt_f32_e32 vcc, s36, v20
	v_ldexp_f32 v21, v21, v22
	s_nop 0
	v_cndmask_b32_e32 v21, 0, v21, vcc
	v_cmp_ngt_f32_e32 vcc, s37, v20
	s_nop 1
	v_cndmask_b32_e32 v20, v36, v21, vcc
	v_sub_f32_e32 v20, 1.0, v20
.LBB390_27:                             ;   in Loop: Header=BB390_9 Depth=1
	s_andn2_saveexec_b64 s[14:15], s[14:15]
; %bb.28:                               ;   in Loop: Header=BB390_9 Depth=1
	v_mul_f32_e32 v20, v12, v12
	v_fmamk_f32 v21, v20, 0xba1345e1, v34
	v_fmaak_f32 v21, v20, v21, 0xbcdac9b8
	v_fmaak_f32 v21, v20, v21, 0x3de703be
	;; [unrolled: 1-line block ×4, first 2 shown]
	v_fma_f32 v20, |v12|, v20, |v12|
; %bb.29:                               ;   in Loop: Header=BB390_9 Depth=1
	s_or_b64 exec, exec, s[14:15]
	v_add_f32_e32 v9, v9, v13
	v_mul_f32_e32 v13, 0x3f3504f3, v9
	v_cmp_nlt_f32_e64 s[14:15], |v13|, 1.0
                                        ; implicit-def: $vgpr21
	s_and_saveexec_b64 s[40:41], s[14:15]
	s_xor_b64 s[14:15], exec, s[40:41]
	s_cbranch_execz .LBB390_31
; %bb.30:                               ;   in Loop: Header=BB390_9 Depth=1
	v_fma_f32 v21, |v13|, s28, v35
	v_fma_f32 v21, |v13|, v21, s29
	v_fma_f32 v21, |v13|, v21, s30
	v_fma_f32 v21, |v13|, v21, s31
	v_fma_f32 v21, |v13|, v21, s33
	v_fma_f32 v21, |v13|, v21, s34
	v_fma_f32 v21, |v13|, v21, |v13|
	v_mul_f32_e32 v22, 0xbfb8aa3b, v21
	v_fma_f32 v23, v21, s35, -v22
	v_rndne_f32_e32 v24, v22
	v_fmac_f32_e32 v23, 0xb2a5705f, v21
	v_sub_f32_e32 v22, v22, v24
	v_add_f32_e32 v22, v22, v23
	v_cvt_i32_f32_e32 v23, v24
	v_exp_f32_e32 v22, v22
	v_cmp_nlt_f32_e32 vcc, s36, v21
	v_ldexp_f32 v22, v22, v23
	s_nop 0
	v_cndmask_b32_e32 v22, 0, v22, vcc
	v_cmp_ngt_f32_e32 vcc, s37, v21
	s_nop 1
	v_cndmask_b32_e32 v21, v36, v22, vcc
	v_sub_f32_e32 v21, 1.0, v21
.LBB390_31:                             ;   in Loop: Header=BB390_9 Depth=1
	s_andn2_saveexec_b64 s[14:15], s[14:15]
; %bb.32:                               ;   in Loop: Header=BB390_9 Depth=1
	v_mul_f32_e32 v21, v13, v13
	v_fmamk_f32 v22, v21, 0xba1345e1, v34
	v_fmaak_f32 v22, v21, v22, 0xbcdac9b8
	v_fmaak_f32 v22, v21, v22, 0x3de703be
	;; [unrolled: 1-line block ×4, first 2 shown]
	v_fma_f32 v21, |v13|, v21, |v13|
; %bb.33:                               ;   in Loop: Header=BB390_9 Depth=1
	s_or_b64 exec, exec, s[14:15]
	s_waitcnt vmcnt(0)
	v_add_f32_e32 v1, v1, v5
	v_bfi_b32 v5, s38, v21, v13
	v_add_f32_e32 v0, v0, v4
	v_mul_f32_e32 v4, 0.5, v9
	v_add_f32_e32 v5, 1.0, v5
	v_bfi_b32 v12, s38, v20, v12
	v_mul_f32_e32 v9, v4, v5
	v_add_f32_e32 v4, v10, v14
	v_mul_f32_e32 v8, 0.5, v8
	v_add_f32_e32 v12, 1.0, v12
	v_mul_f32_e32 v5, 0x3f3504f3, v4
	v_mul_f32_e32 v8, v8, v12
	v_cmp_nlt_f32_e64 s[14:15], |v5|, 1.0
	;;#ASMSTART
	v_pk_mul_f32 v[0:1], v[8:9], v[0:1]
	;;#ASMEND
                                        ; implicit-def: $vgpr8
	s_and_saveexec_b64 s[40:41], s[14:15]
	s_xor_b64 s[14:15], exec, s[40:41]
	s_cbranch_execz .LBB390_35
; %bb.34:                               ;   in Loop: Header=BB390_9 Depth=1
	v_fma_f32 v8, |v5|, s28, v35
	v_fma_f32 v8, |v5|, v8, s29
	;; [unrolled: 1-line block ×6, first 2 shown]
	v_fma_f32 v8, |v5|, v8, |v5|
	v_mul_f32_e32 v9, 0xbfb8aa3b, v8
	v_fma_f32 v10, v8, s35, -v9
	v_rndne_f32_e32 v12, v9
	v_fmac_f32_e32 v10, 0xb2a5705f, v8
	v_sub_f32_e32 v9, v9, v12
	v_add_f32_e32 v9, v9, v10
	v_cvt_i32_f32_e32 v10, v12
	v_exp_f32_e32 v9, v9
	v_cmp_nlt_f32_e32 vcc, s36, v8
	v_ldexp_f32 v9, v9, v10
	s_nop 0
	v_cndmask_b32_e32 v9, 0, v9, vcc
	v_cmp_ngt_f32_e32 vcc, s37, v8
	s_nop 1
	v_cndmask_b32_e32 v8, v36, v9, vcc
	v_sub_f32_e32 v8, 1.0, v8
.LBB390_35:                             ;   in Loop: Header=BB390_9 Depth=1
	s_andn2_saveexec_b64 s[14:15], s[14:15]
; %bb.36:                               ;   in Loop: Header=BB390_9 Depth=1
	v_mul_f32_e32 v8, v5, v5
	v_fmamk_f32 v9, v8, 0xba1345e1, v34
	v_fmaak_f32 v9, v8, v9, 0xbcdac9b8
	v_fmaak_f32 v9, v8, v9, 0x3de703be
	;; [unrolled: 1-line block ×4, first 2 shown]
	v_fma_f32 v8, |v5|, v8, |v5|
; %bb.37:                               ;   in Loop: Header=BB390_9 Depth=1
	s_or_b64 exec, exec, s[14:15]
	v_add_f32_e32 v9, v11, v15
	v_mul_f32_e32 v10, 0x3f3504f3, v9
	v_cmp_nlt_f32_e64 s[14:15], |v10|, 1.0
                                        ; implicit-def: $vgpr11
	s_and_saveexec_b64 s[40:41], s[14:15]
	s_xor_b64 s[14:15], exec, s[40:41]
	s_cbranch_execz .LBB390_39
; %bb.38:                               ;   in Loop: Header=BB390_9 Depth=1
	v_fma_f32 v11, |v10|, s28, v35
	v_fma_f32 v11, |v10|, v11, s29
	;; [unrolled: 1-line block ×6, first 2 shown]
	v_fma_f32 v11, |v10|, v11, |v10|
	v_mul_f32_e32 v12, 0xbfb8aa3b, v11
	v_fma_f32 v13, v11, s35, -v12
	v_rndne_f32_e32 v14, v12
	v_fmac_f32_e32 v13, 0xb2a5705f, v11
	v_sub_f32_e32 v12, v12, v14
	v_add_f32_e32 v12, v12, v13
	v_cvt_i32_f32_e32 v13, v14
	v_exp_f32_e32 v12, v12
	v_cmp_nlt_f32_e32 vcc, s36, v11
	v_ldexp_f32 v12, v12, v13
	s_nop 0
	v_cndmask_b32_e32 v12, 0, v12, vcc
	v_cmp_ngt_f32_e32 vcc, s37, v11
	s_nop 1
	v_cndmask_b32_e32 v11, v36, v12, vcc
	v_sub_f32_e32 v11, 1.0, v11
.LBB390_39:                             ;   in Loop: Header=BB390_9 Depth=1
	s_andn2_saveexec_b64 s[14:15], s[14:15]
	s_cbranch_execz .LBB390_8
; %bb.40:                               ;   in Loop: Header=BB390_9 Depth=1
	v_mul_f32_e32 v11, v10, v10
	v_fmamk_f32 v12, v11, 0xba1345e1, v34
	v_fmaak_f32 v12, v11, v12, 0xbcdac9b8
	v_fmaak_f32 v12, v11, v12, 0x3de703be
	;; [unrolled: 1-line block ×4, first 2 shown]
	v_fma_f32 v11, |v10|, v11, |v10|
	s_branch .LBB390_8
.LBB390_41:
	s_endpgm
	.section	.rodata,"a",@progbits
	.p2align	6, 0x0
	.amdhsa_kernel _ZN5aiter23act_and_mul_bias_kernelIffafTnPFfRKT2_EXadL_ZNS_11gelu_kernelIfEEfRKT_EELi8EEEvPT0_PS8_PKT1_PS2_il
		.amdhsa_group_segment_fixed_size 0
		.amdhsa_private_segment_fixed_size 0
		.amdhsa_kernarg_size 304
		.amdhsa_user_sgpr_count 2
		.amdhsa_user_sgpr_dispatch_ptr 0
		.amdhsa_user_sgpr_queue_ptr 0
		.amdhsa_user_sgpr_kernarg_segment_ptr 1
		.amdhsa_user_sgpr_dispatch_id 0
		.amdhsa_user_sgpr_kernarg_preload_length 0
		.amdhsa_user_sgpr_kernarg_preload_offset 0
		.amdhsa_user_sgpr_private_segment_size 0
		.amdhsa_uses_dynamic_stack 0
		.amdhsa_enable_private_segment 0
		.amdhsa_system_sgpr_workgroup_id_x 1
		.amdhsa_system_sgpr_workgroup_id_y 0
		.amdhsa_system_sgpr_workgroup_id_z 0
		.amdhsa_system_sgpr_workgroup_info 0
		.amdhsa_system_vgpr_workitem_id 0
		.amdhsa_next_free_vgpr 43
		.amdhsa_next_free_sgpr 42
		.amdhsa_accum_offset 44
		.amdhsa_reserve_vcc 1
		.amdhsa_float_round_mode_32 0
		.amdhsa_float_round_mode_16_64 0
		.amdhsa_float_denorm_mode_32 3
		.amdhsa_float_denorm_mode_16_64 3
		.amdhsa_dx10_clamp 1
		.amdhsa_ieee_mode 1
		.amdhsa_fp16_overflow 0
		.amdhsa_tg_split 0
		.amdhsa_exception_fp_ieee_invalid_op 0
		.amdhsa_exception_fp_denorm_src 0
		.amdhsa_exception_fp_ieee_div_zero 0
		.amdhsa_exception_fp_ieee_overflow 0
		.amdhsa_exception_fp_ieee_underflow 0
		.amdhsa_exception_fp_ieee_inexact 0
		.amdhsa_exception_int_div_zero 0
	.end_amdhsa_kernel
	.section	.text._ZN5aiter23act_and_mul_bias_kernelIffafTnPFfRKT2_EXadL_ZNS_11gelu_kernelIfEEfRKT_EELi8EEEvPT0_PS8_PKT1_PS2_il,"axG",@progbits,_ZN5aiter23act_and_mul_bias_kernelIffafTnPFfRKT2_EXadL_ZNS_11gelu_kernelIfEEfRKT_EELi8EEEvPT0_PS8_PKT1_PS2_il,comdat
.Lfunc_end390:
	.size	_ZN5aiter23act_and_mul_bias_kernelIffafTnPFfRKT2_EXadL_ZNS_11gelu_kernelIfEEfRKT_EELi8EEEvPT0_PS8_PKT1_PS2_il, .Lfunc_end390-_ZN5aiter23act_and_mul_bias_kernelIffafTnPFfRKT2_EXadL_ZNS_11gelu_kernelIfEEfRKT_EELi8EEEvPT0_PS8_PKT1_PS2_il
                                        ; -- End function
	.section	.AMDGPU.csdata,"",@progbits
; Kernel info:
; codeLenInByte = 2820
; NumSgprs: 48
; NumVgprs: 43
; NumAgprs: 0
; TotalNumVgprs: 43
; ScratchSize: 0
; MemoryBound: 0
; FloatMode: 240
; IeeeMode: 1
; LDSByteSize: 0 bytes/workgroup (compile time only)
; SGPRBlocks: 5
; VGPRBlocks: 5
; NumSGPRsForWavesPerEU: 48
; NumVGPRsForWavesPerEU: 43
; AccumOffset: 44
; Occupancy: 8
; WaveLimiterHint : 0
; COMPUTE_PGM_RSRC2:SCRATCH_EN: 0
; COMPUTE_PGM_RSRC2:USER_SGPR: 2
; COMPUTE_PGM_RSRC2:TRAP_HANDLER: 0
; COMPUTE_PGM_RSRC2:TGID_X_EN: 1
; COMPUTE_PGM_RSRC2:TGID_Y_EN: 0
; COMPUTE_PGM_RSRC2:TGID_Z_EN: 0
; COMPUTE_PGM_RSRC2:TIDIG_COMP_CNT: 0
; COMPUTE_PGM_RSRC3_GFX90A:ACCUM_OFFSET: 10
; COMPUTE_PGM_RSRC3_GFX90A:TG_SPLIT: 0
	.section	.text._ZN5aiter23act_and_mul_bias_kernelIffafTnPFfRKT2_EXadL_ZNS_11gelu_kernelIfEEfRKT_EELi4EEEvPT0_PS8_PKT1_PS2_il,"axG",@progbits,_ZN5aiter23act_and_mul_bias_kernelIffafTnPFfRKT2_EXadL_ZNS_11gelu_kernelIfEEfRKT_EELi4EEEvPT0_PS8_PKT1_PS2_il,comdat
	.protected	_ZN5aiter23act_and_mul_bias_kernelIffafTnPFfRKT2_EXadL_ZNS_11gelu_kernelIfEEfRKT_EELi4EEEvPT0_PS8_PKT1_PS2_il ; -- Begin function _ZN5aiter23act_and_mul_bias_kernelIffafTnPFfRKT2_EXadL_ZNS_11gelu_kernelIfEEfRKT_EELi4EEEvPT0_PS8_PKT1_PS2_il
	.globl	_ZN5aiter23act_and_mul_bias_kernelIffafTnPFfRKT2_EXadL_ZNS_11gelu_kernelIfEEfRKT_EELi4EEEvPT0_PS8_PKT1_PS2_il
	.p2align	8
	.type	_ZN5aiter23act_and_mul_bias_kernelIffafTnPFfRKT2_EXadL_ZNS_11gelu_kernelIfEEfRKT_EELi4EEEvPT0_PS8_PKT1_PS2_il,@function
_ZN5aiter23act_and_mul_bias_kernelIffafTnPFfRKT2_EXadL_ZNS_11gelu_kernelIfEEfRKT_EELi4EEEvPT0_PS8_PKT1_PS2_il: ; @_ZN5aiter23act_and_mul_bias_kernelIffafTnPFfRKT2_EXadL_ZNS_11gelu_kernelIfEEfRKT_EELi4EEEvPT0_PS8_PKT1_PS2_il
; %bb.0:
	s_load_dwordx2 s[4:5], s[0:1], 0x10
	s_load_dword s24, s[0:1], 0x20
	s_load_dwordx2 s[8:9], s[0:1], 0x28
	v_mov_b32_e32 v1, s2
	s_mov_b32 s13, 0
	s_waitcnt lgkmcnt(0)
	global_load_ubyte v1, v1, s[4:5]
	s_ashr_i32 s25, s24, 31
	s_load_dwordx2 s[4:5], s[0:1], 0x0
	s_mul_hi_u32 s3, s24, s2
	s_mul_i32 s7, s25, s2
	s_add_i32 s15, s3, s7
	s_mul_i32 s14, s24, s2
	s_lshl_b32 s6, s24, 2
	v_mov_b64_e32 v[2:3], s[8:9]
	s_lshl_b64 s[14:15], s[14:15], 2
	s_mov_b64 s[10:11], -1
	v_lshlrev_b32_e32 v16, 2, v0
	s_waitcnt vmcnt(0)
	v_readfirstlane_b32 s3, v1
	s_nop 1
	v_mov_b32_e32 v4, s3
	s_sext_i32_i8 s3, s3
	v_readfirstlane_b32 s12, v4
	s_bfe_i64 s[8:9], s[12:13], 0x80000
	s_waitcnt lgkmcnt(0)
	s_add_u32 s4, s4, s14
	s_addc_u32 s5, s5, s15
	s_and_b32 s5, s5, 0xffff
	s_cmp_gt_i32 s3, -1
	v_cmp_lt_i64_e32 vcc, s[8:9], v[2:3]
	s_cselect_b64 s[12:13], -1, 0
	s_and_b64 s[12:13], s[12:13], vcc
	s_and_b64 vcc, exec, s[12:13]
	s_cbranch_vccnz .LBB391_5
; %bb.1:
	v_cmp_gt_i32_e32 vcc, s24, v16
	s_and_saveexec_b64 s[10:11], vcc
	s_cbranch_execz .LBB391_4
; %bb.2:
	s_load_dword s3, s[0:1], 0x3c
	v_mov_b32_e32 v17, 0
	s_mov_b32 s13, 0
	v_lshlrev_b32_e32 v6, 4, v0
	s_mov_b64 s[14:15], 0
	s_waitcnt lgkmcnt(0)
	s_and_b32 s3, s3, 0xffff
	s_lshl_b32 s12, s3, 2
	s_lshl_b32 s3, s3, 4
	s_mov_b32 s7, 0x20000
	v_mov_b32_e32 v0, v17
	v_mov_b32_e32 v1, v17
	;; [unrolled: 1-line block ×4, first 2 shown]
	v_mov_b64_e32 v[4:5], v[16:17]
.LBB391_3:                              ; =>This Inner Loop Header: Depth=1
	v_lshl_add_u64 v[4:5], s[12:13], 0, v[4:5]
	v_cmp_le_i64_e32 vcc, s[24:25], v[4:5]
	buffer_store_dwordx4 v[0:3], v6, s[4:7], 0 offen
	s_or_b64 s[14:15], vcc, s[14:15]
	v_add_u32_e32 v6, s3, v6
	s_andn2_b64 exec, exec, s[14:15]
	s_cbranch_execnz .LBB391_3
.LBB391_4:
	s_or_b64 exec, exec, s[10:11]
	s_mov_b64 s[10:11], 0
.LBB391_5:
	s_andn2_b64 vcc, exec, s[10:11]
	s_cbranch_vccnz .LBB391_25
; %bb.6:
	v_cmp_gt_i32_e32 vcc, s24, v16
	s_and_saveexec_b64 s[10:11], vcc
	s_cbranch_execz .LBB391_25
; %bb.7:
	s_load_dwordx2 s[14:15], s[0:1], 0x8
	s_load_dwordx2 s[10:11], s[0:1], 0x18
	s_mul_hi_i32 s9, s24, s8
	s_mul_i32 s8, s24, s8
	s_lshl_b64 s[8:9], s[8:9], 3
	s_mul_i32 s16, s2, s25
	s_waitcnt lgkmcnt(0)
	s_add_u32 s8, s10, s8
	s_addc_u32 s7, s11, s9
	s_lshl_b64 s[18:19], s[24:25], 2
	s_add_u32 s12, s8, s18
	s_mul_hi_u32 s17, s2, s24
	s_addc_u32 s13, s7, s19
	s_add_i32 s17, s17, s16
	s_mul_i32 s16, s2, s24
	s_and_b32 s9, s7, 0xffff
	s_and_b32 s13, s13, 0xffff
	s_lshl_b64 s[16:17], s[16:17], 3
	s_add_u32 s16, s14, s16
	s_addc_u32 s2, s15, s17
	s_add_u32 s20, s16, s18
	s_addc_u32 s14, s2, s19
	s_and_b32 s17, s2, 0xffff
	s_and_b32 s21, s14, 0xffff
	s_mov_b32 s7, 0x20000
	s_add_u32 s0, s0, 48
	s_mov_b32 s3, 0
	s_mov_b64 s[10:11], s[6:7]
	v_mov_b32_e32 v17, 0
	s_addc_u32 s1, s1, 0
	s_mov_b64 s[26:27], 0
	s_mov_b32 s18, s6
	s_mov_b32 s19, s7
	;; [unrolled: 1-line block ×11, first 2 shown]
	v_mov_b32_e32 v18, 0x3ba10414
	s_brev_b32 s38, -2
	s_mov_b32 s22, s6
	s_mov_b32 s23, s7
	v_mov_b32_e32 v19, 0xb9c68948
	v_mov_b32_e32 v20, 0x7f800000
                                        ; implicit-def: $vgpr0
                                        ; implicit-def: $vgpr0
	;; [unrolled: 1-line block ×4, first 2 shown]
	s_branch .LBB391_9
.LBB391_8:                              ;   in Loop: Header=BB391_9 Depth=1
	s_or_b64 exec, exec, s[14:15]
	v_bfi_b32 v5, s38, v8, v5
	v_mul_f32_e32 v4, 0.5, v4
	v_add_f32_e32 v5, 1.0, v5
	v_add_f32_e32 v2, v2, v6
	v_bfi_b32 v6, s38, v11, v10
	v_mul_f32_e32 v4, v4, v5
	v_add_f32_e32 v3, v3, v7
	v_mul_f32_e32 v5, 0.5, v9
	v_add_f32_e32 v6, 1.0, v6
	v_mul_f32_e32 v5, v5, v6
	;;#ASMSTART
	v_pk_mul_f32 v[2:3], v[4:5], v[2:3]
	;;#ASMEND
	s_load_dword s2, s[0:1], 0xc
	buffer_store_dwordx4 v[0:3], v21, s[4:7], 0 offen
	s_waitcnt lgkmcnt(0)
	s_and_b32 s2, s2, 0xffff
	s_lshl_b32 s2, s2, 2
	v_lshl_add_u64 v[16:17], s[2:3], 0, v[16:17]
	v_cmp_le_i64_e32 vcc, s[24:25], v[16:17]
	s_or_b64 s[26:27], vcc, s[26:27]
	s_andn2_b64 exec, exec, s[26:27]
	s_cbranch_execz .LBB391_25
.LBB391_9:                              ; =>This Inner Loop Header: Depth=1
	v_lshlrev_b32_e32 v21, 2, v16
	buffer_load_dwordx4 v[8:11], v21, s[16:19], 0 offen
	buffer_load_dwordx4 v[0:3], v21, s[20:23], 0 offen
	;; [unrolled: 1-line block ×3, first 2 shown]
	s_mov_b32 s14, s10
	s_mov_b32 s15, s11
	buffer_load_dwordx4 v[4:7], v21, s[12:15], 0 offen
                                        ; implicit-def: $vgpr22
	s_waitcnt vmcnt(1)
	v_add_f32_e32 v8, v8, v12
	v_mul_f32_e32 v12, 0x3f3504f3, v8
	v_cmp_nlt_f32_e64 s[14:15], |v12|, 1.0
	s_and_saveexec_b64 s[40:41], s[14:15]
	s_xor_b64 s[14:15], exec, s[40:41]
	s_cbranch_execz .LBB391_11
; %bb.10:                               ;   in Loop: Header=BB391_9 Depth=1
	v_fma_f32 v22, |v12|, s28, v19
	v_fma_f32 v22, |v12|, v22, s29
	;; [unrolled: 1-line block ×6, first 2 shown]
	v_fma_f32 v22, |v12|, v22, |v12|
	v_mul_f32_e32 v23, 0xbfb8aa3b, v22
	v_fma_f32 v24, v22, s35, -v23
	v_rndne_f32_e32 v25, v23
	v_fmac_f32_e32 v24, 0xb2a5705f, v22
	v_sub_f32_e32 v23, v23, v25
	v_add_f32_e32 v23, v23, v24
	v_cvt_i32_f32_e32 v24, v25
	v_exp_f32_e32 v23, v23
	v_cmp_nlt_f32_e32 vcc, s36, v22
	v_ldexp_f32 v23, v23, v24
	s_nop 0
	v_cndmask_b32_e32 v23, 0, v23, vcc
	v_cmp_ngt_f32_e32 vcc, s37, v22
	s_nop 1
	v_cndmask_b32_e32 v22, v20, v23, vcc
	v_sub_f32_e32 v22, 1.0, v22
.LBB391_11:                             ;   in Loop: Header=BB391_9 Depth=1
	s_andn2_saveexec_b64 s[14:15], s[14:15]
; %bb.12:                               ;   in Loop: Header=BB391_9 Depth=1
	v_mul_f32_e32 v22, v12, v12
	v_fmamk_f32 v23, v22, 0xba1345e1, v18
	v_fmaak_f32 v23, v22, v23, 0xbcdac9b8
	v_fmaak_f32 v23, v22, v23, 0x3de703be
	;; [unrolled: 1-line block ×4, first 2 shown]
	v_fma_f32 v22, |v12|, v22, |v12|
; %bb.13:                               ;   in Loop: Header=BB391_9 Depth=1
	s_or_b64 exec, exec, s[14:15]
	v_add_f32_e32 v9, v9, v13
	v_mul_f32_e32 v13, 0x3f3504f3, v9
	v_cmp_nlt_f32_e64 s[14:15], |v13|, 1.0
                                        ; implicit-def: $vgpr23
	s_and_saveexec_b64 s[40:41], s[14:15]
	s_xor_b64 s[14:15], exec, s[40:41]
	s_cbranch_execz .LBB391_15
; %bb.14:                               ;   in Loop: Header=BB391_9 Depth=1
	v_fma_f32 v23, |v13|, s28, v19
	v_fma_f32 v23, |v13|, v23, s29
	;; [unrolled: 1-line block ×6, first 2 shown]
	v_fma_f32 v23, |v13|, v23, |v13|
	v_mul_f32_e32 v24, 0xbfb8aa3b, v23
	v_fma_f32 v25, v23, s35, -v24
	v_rndne_f32_e32 v26, v24
	v_fmac_f32_e32 v25, 0xb2a5705f, v23
	v_sub_f32_e32 v24, v24, v26
	v_add_f32_e32 v24, v24, v25
	v_cvt_i32_f32_e32 v25, v26
	v_exp_f32_e32 v24, v24
	v_cmp_nlt_f32_e32 vcc, s36, v23
	v_ldexp_f32 v24, v24, v25
	s_nop 0
	v_cndmask_b32_e32 v24, 0, v24, vcc
	v_cmp_ngt_f32_e32 vcc, s37, v23
	s_nop 1
	v_cndmask_b32_e32 v23, v20, v24, vcc
	v_sub_f32_e32 v23, 1.0, v23
.LBB391_15:                             ;   in Loop: Header=BB391_9 Depth=1
	s_andn2_saveexec_b64 s[14:15], s[14:15]
; %bb.16:                               ;   in Loop: Header=BB391_9 Depth=1
	v_mul_f32_e32 v23, v13, v13
	v_fmamk_f32 v24, v23, 0xba1345e1, v18
	v_fmaak_f32 v24, v23, v24, 0xbcdac9b8
	v_fmaak_f32 v24, v23, v24, 0x3de703be
	;; [unrolled: 1-line block ×4, first 2 shown]
	v_fma_f32 v23, |v13|, v23, |v13|
; %bb.17:                               ;   in Loop: Header=BB391_9 Depth=1
	s_or_b64 exec, exec, s[14:15]
	s_waitcnt vmcnt(0)
	v_add_f32_e32 v1, v1, v5
	v_bfi_b32 v5, s38, v23, v13
	v_add_f32_e32 v0, v0, v4
	v_mul_f32_e32 v4, 0.5, v9
	v_add_f32_e32 v5, 1.0, v5
	v_bfi_b32 v12, s38, v22, v12
	v_mul_f32_e32 v9, v4, v5
	v_add_f32_e32 v4, v10, v14
	v_mul_f32_e32 v8, 0.5, v8
	v_add_f32_e32 v12, 1.0, v12
	v_mul_f32_e32 v5, 0x3f3504f3, v4
	v_mul_f32_e32 v8, v8, v12
	v_cmp_nlt_f32_e64 s[14:15], |v5|, 1.0
	;;#ASMSTART
	v_pk_mul_f32 v[0:1], v[8:9], v[0:1]
	;;#ASMEND
                                        ; implicit-def: $vgpr8
	s_and_saveexec_b64 s[40:41], s[14:15]
	s_xor_b64 s[14:15], exec, s[40:41]
	s_cbranch_execz .LBB391_19
; %bb.18:                               ;   in Loop: Header=BB391_9 Depth=1
	v_fma_f32 v8, |v5|, s28, v19
	v_fma_f32 v8, |v5|, v8, s29
	;; [unrolled: 1-line block ×6, first 2 shown]
	v_fma_f32 v8, |v5|, v8, |v5|
	v_mul_f32_e32 v9, 0xbfb8aa3b, v8
	v_fma_f32 v10, v8, s35, -v9
	v_rndne_f32_e32 v12, v9
	v_fmac_f32_e32 v10, 0xb2a5705f, v8
	v_sub_f32_e32 v9, v9, v12
	v_add_f32_e32 v9, v9, v10
	v_cvt_i32_f32_e32 v10, v12
	v_exp_f32_e32 v9, v9
	v_cmp_nlt_f32_e32 vcc, s36, v8
	v_ldexp_f32 v9, v9, v10
	s_nop 0
	v_cndmask_b32_e32 v9, 0, v9, vcc
	v_cmp_ngt_f32_e32 vcc, s37, v8
	s_nop 1
	v_cndmask_b32_e32 v8, v20, v9, vcc
	v_sub_f32_e32 v8, 1.0, v8
.LBB391_19:                             ;   in Loop: Header=BB391_9 Depth=1
	s_andn2_saveexec_b64 s[14:15], s[14:15]
; %bb.20:                               ;   in Loop: Header=BB391_9 Depth=1
	v_mul_f32_e32 v8, v5, v5
	v_fmamk_f32 v9, v8, 0xba1345e1, v18
	v_fmaak_f32 v9, v8, v9, 0xbcdac9b8
	v_fmaak_f32 v9, v8, v9, 0x3de703be
	;; [unrolled: 1-line block ×4, first 2 shown]
	v_fma_f32 v8, |v5|, v8, |v5|
; %bb.21:                               ;   in Loop: Header=BB391_9 Depth=1
	s_or_b64 exec, exec, s[14:15]
	v_add_f32_e32 v9, v11, v15
	v_mul_f32_e32 v10, 0x3f3504f3, v9
	v_cmp_nlt_f32_e64 s[14:15], |v10|, 1.0
                                        ; implicit-def: $vgpr11
	s_and_saveexec_b64 s[40:41], s[14:15]
	s_xor_b64 s[14:15], exec, s[40:41]
	s_cbranch_execz .LBB391_23
; %bb.22:                               ;   in Loop: Header=BB391_9 Depth=1
	v_fma_f32 v11, |v10|, s28, v19
	v_fma_f32 v11, |v10|, v11, s29
	v_fma_f32 v11, |v10|, v11, s30
	v_fma_f32 v11, |v10|, v11, s31
	v_fma_f32 v11, |v10|, v11, s33
	v_fma_f32 v11, |v10|, v11, s34
	v_fma_f32 v11, |v10|, v11, |v10|
	v_mul_f32_e32 v12, 0xbfb8aa3b, v11
	v_fma_f32 v13, v11, s35, -v12
	v_rndne_f32_e32 v14, v12
	v_fmac_f32_e32 v13, 0xb2a5705f, v11
	v_sub_f32_e32 v12, v12, v14
	v_add_f32_e32 v12, v12, v13
	v_cvt_i32_f32_e32 v13, v14
	v_exp_f32_e32 v12, v12
	v_cmp_nlt_f32_e32 vcc, s36, v11
	v_ldexp_f32 v12, v12, v13
	s_nop 0
	v_cndmask_b32_e32 v12, 0, v12, vcc
	v_cmp_ngt_f32_e32 vcc, s37, v11
	s_nop 1
	v_cndmask_b32_e32 v11, v20, v12, vcc
	v_sub_f32_e32 v11, 1.0, v11
.LBB391_23:                             ;   in Loop: Header=BB391_9 Depth=1
	s_andn2_saveexec_b64 s[14:15], s[14:15]
	s_cbranch_execz .LBB391_8
; %bb.24:                               ;   in Loop: Header=BB391_9 Depth=1
	v_mul_f32_e32 v11, v10, v10
	v_fmamk_f32 v12, v11, 0xba1345e1, v18
	v_fmaak_f32 v12, v11, v12, 0xbcdac9b8
	v_fmaak_f32 v12, v11, v12, 0x3de703be
	;; [unrolled: 1-line block ×4, first 2 shown]
	v_fma_f32 v11, |v10|, v11, |v10|
	s_branch .LBB391_8
.LBB391_25:
	s_endpgm
	.section	.rodata,"a",@progbits
	.p2align	6, 0x0
	.amdhsa_kernel _ZN5aiter23act_and_mul_bias_kernelIffafTnPFfRKT2_EXadL_ZNS_11gelu_kernelIfEEfRKT_EELi4EEEvPT0_PS8_PKT1_PS2_il
		.amdhsa_group_segment_fixed_size 0
		.amdhsa_private_segment_fixed_size 0
		.amdhsa_kernarg_size 304
		.amdhsa_user_sgpr_count 2
		.amdhsa_user_sgpr_dispatch_ptr 0
		.amdhsa_user_sgpr_queue_ptr 0
		.amdhsa_user_sgpr_kernarg_segment_ptr 1
		.amdhsa_user_sgpr_dispatch_id 0
		.amdhsa_user_sgpr_kernarg_preload_length 0
		.amdhsa_user_sgpr_kernarg_preload_offset 0
		.amdhsa_user_sgpr_private_segment_size 0
		.amdhsa_uses_dynamic_stack 0
		.amdhsa_enable_private_segment 0
		.amdhsa_system_sgpr_workgroup_id_x 1
		.amdhsa_system_sgpr_workgroup_id_y 0
		.amdhsa_system_sgpr_workgroup_id_z 0
		.amdhsa_system_sgpr_workgroup_info 0
		.amdhsa_system_vgpr_workitem_id 0
		.amdhsa_next_free_vgpr 27
		.amdhsa_next_free_sgpr 42
		.amdhsa_accum_offset 28
		.amdhsa_reserve_vcc 1
		.amdhsa_float_round_mode_32 0
		.amdhsa_float_round_mode_16_64 0
		.amdhsa_float_denorm_mode_32 3
		.amdhsa_float_denorm_mode_16_64 3
		.amdhsa_dx10_clamp 1
		.amdhsa_ieee_mode 1
		.amdhsa_fp16_overflow 0
		.amdhsa_tg_split 0
		.amdhsa_exception_fp_ieee_invalid_op 0
		.amdhsa_exception_fp_denorm_src 0
		.amdhsa_exception_fp_ieee_div_zero 0
		.amdhsa_exception_fp_ieee_overflow 0
		.amdhsa_exception_fp_ieee_underflow 0
		.amdhsa_exception_fp_ieee_inexact 0
		.amdhsa_exception_int_div_zero 0
	.end_amdhsa_kernel
	.section	.text._ZN5aiter23act_and_mul_bias_kernelIffafTnPFfRKT2_EXadL_ZNS_11gelu_kernelIfEEfRKT_EELi4EEEvPT0_PS8_PKT1_PS2_il,"axG",@progbits,_ZN5aiter23act_and_mul_bias_kernelIffafTnPFfRKT2_EXadL_ZNS_11gelu_kernelIfEEfRKT_EELi4EEEvPT0_PS8_PKT1_PS2_il,comdat
.Lfunc_end391:
	.size	_ZN5aiter23act_and_mul_bias_kernelIffafTnPFfRKT2_EXadL_ZNS_11gelu_kernelIfEEfRKT_EELi4EEEvPT0_PS8_PKT1_PS2_il, .Lfunc_end391-_ZN5aiter23act_and_mul_bias_kernelIffafTnPFfRKT2_EXadL_ZNS_11gelu_kernelIfEEfRKT_EELi4EEEvPT0_PS8_PKT1_PS2_il
                                        ; -- End function
	.section	.AMDGPU.csdata,"",@progbits
; Kernel info:
; codeLenInByte = 1732
; NumSgprs: 48
; NumVgprs: 27
; NumAgprs: 0
; TotalNumVgprs: 27
; ScratchSize: 0
; MemoryBound: 0
; FloatMode: 240
; IeeeMode: 1
; LDSByteSize: 0 bytes/workgroup (compile time only)
; SGPRBlocks: 5
; VGPRBlocks: 3
; NumSGPRsForWavesPerEU: 48
; NumVGPRsForWavesPerEU: 27
; AccumOffset: 28
; Occupancy: 8
; WaveLimiterHint : 0
; COMPUTE_PGM_RSRC2:SCRATCH_EN: 0
; COMPUTE_PGM_RSRC2:USER_SGPR: 2
; COMPUTE_PGM_RSRC2:TRAP_HANDLER: 0
; COMPUTE_PGM_RSRC2:TGID_X_EN: 1
; COMPUTE_PGM_RSRC2:TGID_Y_EN: 0
; COMPUTE_PGM_RSRC2:TGID_Z_EN: 0
; COMPUTE_PGM_RSRC2:TIDIG_COMP_CNT: 0
; COMPUTE_PGM_RSRC3_GFX90A:ACCUM_OFFSET: 6
; COMPUTE_PGM_RSRC3_GFX90A:TG_SPLIT: 0
	.section	.text._ZN5aiter23act_and_mul_bias_kernelIffafTnPFfRKT2_EXadL_ZNS_11gelu_kernelIfEEfRKT_EELi2EEEvPT0_PS8_PKT1_PS2_il,"axG",@progbits,_ZN5aiter23act_and_mul_bias_kernelIffafTnPFfRKT2_EXadL_ZNS_11gelu_kernelIfEEfRKT_EELi2EEEvPT0_PS8_PKT1_PS2_il,comdat
	.protected	_ZN5aiter23act_and_mul_bias_kernelIffafTnPFfRKT2_EXadL_ZNS_11gelu_kernelIfEEfRKT_EELi2EEEvPT0_PS8_PKT1_PS2_il ; -- Begin function _ZN5aiter23act_and_mul_bias_kernelIffafTnPFfRKT2_EXadL_ZNS_11gelu_kernelIfEEfRKT_EELi2EEEvPT0_PS8_PKT1_PS2_il
	.globl	_ZN5aiter23act_and_mul_bias_kernelIffafTnPFfRKT2_EXadL_ZNS_11gelu_kernelIfEEfRKT_EELi2EEEvPT0_PS8_PKT1_PS2_il
	.p2align	8
	.type	_ZN5aiter23act_and_mul_bias_kernelIffafTnPFfRKT2_EXadL_ZNS_11gelu_kernelIfEEfRKT_EELi2EEEvPT0_PS8_PKT1_PS2_il,@function
_ZN5aiter23act_and_mul_bias_kernelIffafTnPFfRKT2_EXadL_ZNS_11gelu_kernelIfEEfRKT_EELi2EEEvPT0_PS8_PKT1_PS2_il: ; @_ZN5aiter23act_and_mul_bias_kernelIffafTnPFfRKT2_EXadL_ZNS_11gelu_kernelIfEEfRKT_EELi2EEEvPT0_PS8_PKT1_PS2_il
; %bb.0:
	s_load_dwordx2 s[4:5], s[0:1], 0x10
	s_load_dword s24, s[0:1], 0x20
	s_load_dwordx2 s[8:9], s[0:1], 0x28
	v_mov_b32_e32 v1, s2
	s_mov_b32 s13, 0
	s_waitcnt lgkmcnt(0)
	global_load_ubyte v1, v1, s[4:5]
	s_ashr_i32 s25, s24, 31
	s_load_dwordx2 s[4:5], s[0:1], 0x0
	s_mul_hi_u32 s3, s24, s2
	s_mul_i32 s7, s25, s2
	s_add_i32 s15, s3, s7
	s_mul_i32 s14, s24, s2
	s_lshl_b32 s6, s24, 2
	v_mov_b64_e32 v[2:3], s[8:9]
	s_lshl_b64 s[14:15], s[14:15], 2
	s_mov_b64 s[10:11], -1
	s_waitcnt vmcnt(0)
	v_readfirstlane_b32 s3, v1
	s_nop 1
	v_mov_b32_e32 v4, s3
	s_sext_i32_i8 s3, s3
	v_readfirstlane_b32 s12, v4
	s_bfe_i64 s[8:9], s[12:13], 0x80000
	s_waitcnt lgkmcnt(0)
	s_add_u32 s4, s4, s14
	s_addc_u32 s5, s5, s15
	s_and_b32 s5, s5, 0xffff
	s_cmp_gt_i32 s3, -1
	v_cmp_lt_i64_e32 vcc, s[8:9], v[2:3]
	s_cselect_b64 s[12:13], -1, 0
	s_and_b64 s[12:13], s[12:13], vcc
	s_and_b64 vcc, exec, s[12:13]
	v_lshlrev_b32_e32 v2, 1, v0
	s_cbranch_vccnz .LBB392_5
; %bb.1:
	v_cmp_gt_i32_e32 vcc, s24, v2
	s_and_saveexec_b64 s[10:11], vcc
	s_cbranch_execz .LBB392_4
; %bb.2:
	s_load_dword s3, s[0:1], 0x3c
	v_mov_b32_e32 v3, 0
	s_mov_b32 s13, 0
	v_lshlrev_b32_e32 v6, 3, v0
	s_mov_b64 s[14:15], 0
	s_waitcnt lgkmcnt(0)
	s_and_b32 s3, s3, 0xffff
	s_lshl_b32 s12, s3, 1
	s_lshl_b32 s3, s3, 3
	s_mov_b32 s7, 0x20000
	v_mov_b32_e32 v0, v3
	v_mov_b32_e32 v1, v3
	v_mov_b64_e32 v[4:5], v[2:3]
.LBB392_3:                              ; =>This Inner Loop Header: Depth=1
	v_lshl_add_u64 v[4:5], s[12:13], 0, v[4:5]
	v_cmp_le_i64_e32 vcc, s[24:25], v[4:5]
	buffer_store_dwordx2 v[0:1], v6, s[4:7], 0 offen
	s_or_b64 s[14:15], vcc, s[14:15]
	v_add_u32_e32 v6, s3, v6
	s_andn2_b64 exec, exec, s[14:15]
	s_cbranch_execnz .LBB392_3
.LBB392_4:
	s_or_b64 exec, exec, s[10:11]
	s_mov_b64 s[10:11], 0
.LBB392_5:
	s_andn2_b64 vcc, exec, s[10:11]
	s_cbranch_vccnz .LBB392_13
; %bb.6:
	v_cmp_gt_i32_e32 vcc, s24, v2
	s_and_saveexec_b64 s[10:11], vcc
	s_cbranch_execz .LBB392_13
; %bb.7:
	s_load_dwordx2 s[14:15], s[0:1], 0x8
	s_load_dwordx2 s[10:11], s[0:1], 0x18
	s_mul_hi_i32 s9, s24, s8
	s_mul_i32 s8, s24, s8
	s_lshl_b64 s[8:9], s[8:9], 3
	s_mul_i32 s16, s2, s25
	s_waitcnt lgkmcnt(0)
	s_add_u32 s8, s10, s8
	s_addc_u32 s7, s11, s9
	s_lshl_b64 s[18:19], s[24:25], 2
	s_add_u32 s12, s8, s18
	s_mul_hi_u32 s17, s2, s24
	s_addc_u32 s13, s7, s19
	s_add_i32 s17, s17, s16
	s_mul_i32 s16, s2, s24
	s_and_b32 s9, s7, 0xffff
	s_and_b32 s13, s13, 0xffff
	s_lshl_b64 s[16:17], s[16:17], 3
	s_add_u32 s16, s14, s16
	s_addc_u32 s2, s15, s17
	s_add_u32 s20, s16, s18
	s_addc_u32 s14, s2, s19
	s_and_b32 s17, s2, 0xffff
	s_and_b32 s21, s14, 0xffff
	s_mov_b32 s7, 0x20000
	s_add_u32 s0, s0, 48
	s_mov_b32 s3, 0
	s_mov_b64 s[10:11], s[6:7]
	v_mov_b32_e32 v3, 0
	s_addc_u32 s1, s1, 0
	s_mov_b64 s[26:27], 0
	s_mov_b32 s18, s6
	s_mov_b32 s19, s7
	;; [unrolled: 1-line block ×12, first 2 shown]
	v_mov_b32_e32 v12, 0x3ba10414
	v_mov_b32_e32 v13, 0xb9c68948
	;; [unrolled: 1-line block ×3, first 2 shown]
	s_brev_b32 s39, -2
	s_mov_b32 s22, s6
	s_mov_b32 s23, s7
                                        ; implicit-def: $vgpr0
                                        ; implicit-def: $vgpr0
	;; [unrolled: 1-line block ×4, first 2 shown]
	s_branch .LBB392_9
.LBB392_8:                              ;   in Loop: Header=BB392_9 Depth=1
	s_or_b64 exec, exec, s[14:15]
	v_fma_f32 v10, |v1|, s29, v13
	v_fma_f32 v10, |v1|, v10, s30
	;; [unrolled: 1-line block ×6, first 2 shown]
	v_fma_f32 v10, |v1|, v10, |v1|
	v_mul_f32_e32 v17, 0xbfb8aa3b, v10
	v_fma_f32 v18, v10, s36, -v17
	v_rndne_f32_e32 v19, v17
	v_fmac_f32_e32 v18, 0xb2a5705f, v10
	v_sub_f32_e32 v17, v17, v19
	v_add_f32_e32 v17, v17, v18
	v_exp_f32_e32 v17, v17
	v_cvt_i32_f32_e32 v18, v19
	s_waitcnt vmcnt(0)
	v_pk_add_f32 v[4:5], v[4:5], v[8:9]
	v_fmamk_f32 v9, v11, 0xba1345e1, v12
	v_fmaak_f32 v9, v11, v9, 0xbcdac9b8
	v_ldexp_f32 v8, v17, v18
	v_cmp_nlt_f32_e32 vcc, s37, v10
	v_fmaak_f32 v9, v11, v9, 0x3de703be
	v_fmaak_f32 v9, v11, v9, 0xbec09330
	v_cndmask_b32_e32 v8, 0, v8, vcc
	v_cmp_ngt_f32_e32 vcc, s38, v10
	v_fmaak_f32 v9, v11, v9, 0x3e0375d0
	v_fma_f32 v9, |v1|, v9, |v1|
	v_cndmask_b32_e32 v8, v14, v8, vcc
	v_sub_f32_e32 v8, 1.0, v8
	v_cmp_lt_f32_e64 vcc, |v1|, 1.0
	v_bfi_b32 v0, s39, v16, v0
	v_mul_f32_e32 v7, 0.5, v7
	v_cndmask_b32_e32 v8, v8, v9, vcc
	v_bfi_b32 v1, s39, v8, v1
	v_mul_f32_e32 v6, 0.5, v6
	v_pk_add_f32 v[0:1], v[0:1], 1.0 op_sel_hi:[1,0]
	s_nop 0
	v_pk_mul_f32 v[0:1], v[6:7], v[0:1]
	s_nop 0
	;;#ASMSTART
	v_pk_mul_f32 v[0:1], v[0:1], v[4:5]
	;;#ASMEND
	s_load_dword s2, s[0:1], 0xc
	buffer_store_dwordx2 v[0:1], v15, s[4:7], 0 offen
	s_waitcnt lgkmcnt(0)
	s_and_b32 s2, s2, 0xffff
	s_lshl_b32 s2, s2, 1
	v_lshl_add_u64 v[2:3], s[2:3], 0, v[2:3]
	v_cmp_le_i64_e32 vcc, s[24:25], v[2:3]
	s_or_b64 s[26:27], vcc, s[26:27]
	s_andn2_b64 exec, exec, s[26:27]
	s_cbranch_execz .LBB392_13
.LBB392_9:                              ; =>This Inner Loop Header: Depth=1
	v_lshlrev_b32_e32 v15, 2, v2
	buffer_load_dwordx2 v[0:1], v15, s[16:19], 0 offen
	buffer_load_dwordx2 v[4:5], v15, s[20:23], 0 offen
	;; [unrolled: 1-line block ×3, first 2 shown]
	s_mov_b32 s14, s10
	s_mov_b32 s15, s11
	buffer_load_dwordx2 v[8:9], v15, s[12:15], 0 offen
                                        ; implicit-def: $vgpr16
	s_waitcnt vmcnt(1)
	v_pk_add_f32 v[6:7], v[0:1], v[6:7]
	s_nop 0
	v_pk_mul_f32 v[0:1], v[6:7], s[28:29] op_sel_hi:[1,0]
	s_nop 0
	v_cmp_nlt_f32_e64 s[14:15], |v0|, 1.0
	s_and_saveexec_b64 s[40:41], s[14:15]
	s_xor_b64 s[14:15], exec, s[40:41]
	s_cbranch_execz .LBB392_11
; %bb.10:                               ;   in Loop: Header=BB392_9 Depth=1
	v_fma_f32 v10, |v0|, s29, v13
	v_fma_f32 v10, |v0|, v10, s30
	;; [unrolled: 1-line block ×6, first 2 shown]
	v_fma_f32 v10, |v0|, v10, |v0|
	v_mul_f32_e32 v11, 0xbfb8aa3b, v10
	v_fma_f32 v16, v10, s36, -v11
	v_rndne_f32_e32 v17, v11
	v_fmac_f32_e32 v16, 0xb2a5705f, v10
	v_sub_f32_e32 v11, v11, v17
	v_add_f32_e32 v11, v11, v16
	v_cvt_i32_f32_e32 v16, v17
	v_exp_f32_e32 v11, v11
	v_cmp_nlt_f32_e32 vcc, s37, v10
	v_ldexp_f32 v11, v11, v16
	s_nop 0
	v_cndmask_b32_e32 v11, 0, v11, vcc
	v_cmp_ngt_f32_e32 vcc, s38, v10
	s_nop 1
	v_cndmask_b32_e32 v10, v14, v11, vcc
	v_sub_f32_e32 v16, 1.0, v10
.LBB392_11:                             ;   in Loop: Header=BB392_9 Depth=1
	s_or_saveexec_b64 s[14:15], s[14:15]
	v_pk_mul_f32 v[10:11], v[0:1], v[0:1]
	s_xor_b64 exec, exec, s[14:15]
	s_cbranch_execz .LBB392_8
; %bb.12:                               ;   in Loop: Header=BB392_9 Depth=1
	v_fmamk_f32 v16, v10, 0xba1345e1, v12
	v_fmaak_f32 v16, v10, v16, 0xbcdac9b8
	v_fmaak_f32 v16, v10, v16, 0x3de703be
	;; [unrolled: 1-line block ×4, first 2 shown]
	v_fma_f32 v16, |v0|, v10, |v0|
	s_branch .LBB392_8
.LBB392_13:
	s_endpgm
	.section	.rodata,"a",@progbits
	.p2align	6, 0x0
	.amdhsa_kernel _ZN5aiter23act_and_mul_bias_kernelIffafTnPFfRKT2_EXadL_ZNS_11gelu_kernelIfEEfRKT_EELi2EEEvPT0_PS8_PKT1_PS2_il
		.amdhsa_group_segment_fixed_size 0
		.amdhsa_private_segment_fixed_size 0
		.amdhsa_kernarg_size 304
		.amdhsa_user_sgpr_count 2
		.amdhsa_user_sgpr_dispatch_ptr 0
		.amdhsa_user_sgpr_queue_ptr 0
		.amdhsa_user_sgpr_kernarg_segment_ptr 1
		.amdhsa_user_sgpr_dispatch_id 0
		.amdhsa_user_sgpr_kernarg_preload_length 0
		.amdhsa_user_sgpr_kernarg_preload_offset 0
		.amdhsa_user_sgpr_private_segment_size 0
		.amdhsa_uses_dynamic_stack 0
		.amdhsa_enable_private_segment 0
		.amdhsa_system_sgpr_workgroup_id_x 1
		.amdhsa_system_sgpr_workgroup_id_y 0
		.amdhsa_system_sgpr_workgroup_id_z 0
		.amdhsa_system_sgpr_workgroup_info 0
		.amdhsa_system_vgpr_workitem_id 0
		.amdhsa_next_free_vgpr 20
		.amdhsa_next_free_sgpr 42
		.amdhsa_accum_offset 20
		.amdhsa_reserve_vcc 1
		.amdhsa_float_round_mode_32 0
		.amdhsa_float_round_mode_16_64 0
		.amdhsa_float_denorm_mode_32 3
		.amdhsa_float_denorm_mode_16_64 3
		.amdhsa_dx10_clamp 1
		.amdhsa_ieee_mode 1
		.amdhsa_fp16_overflow 0
		.amdhsa_tg_split 0
		.amdhsa_exception_fp_ieee_invalid_op 0
		.amdhsa_exception_fp_denorm_src 0
		.amdhsa_exception_fp_ieee_div_zero 0
		.amdhsa_exception_fp_ieee_overflow 0
		.amdhsa_exception_fp_ieee_underflow 0
		.amdhsa_exception_fp_ieee_inexact 0
		.amdhsa_exception_int_div_zero 0
	.end_amdhsa_kernel
	.section	.text._ZN5aiter23act_and_mul_bias_kernelIffafTnPFfRKT2_EXadL_ZNS_11gelu_kernelIfEEfRKT_EELi2EEEvPT0_PS8_PKT1_PS2_il,"axG",@progbits,_ZN5aiter23act_and_mul_bias_kernelIffafTnPFfRKT2_EXadL_ZNS_11gelu_kernelIfEEfRKT_EELi2EEEvPT0_PS8_PKT1_PS2_il,comdat
.Lfunc_end392:
	.size	_ZN5aiter23act_and_mul_bias_kernelIffafTnPFfRKT2_EXadL_ZNS_11gelu_kernelIfEEfRKT_EELi2EEEvPT0_PS8_PKT1_PS2_il, .Lfunc_end392-_ZN5aiter23act_and_mul_bias_kernelIffafTnPFfRKT2_EXadL_ZNS_11gelu_kernelIfEEfRKT_EELi2EEEvPT0_PS8_PKT1_PS2_il
                                        ; -- End function
	.section	.AMDGPU.csdata,"",@progbits
; Kernel info:
; codeLenInByte = 1208
; NumSgprs: 48
; NumVgprs: 20
; NumAgprs: 0
; TotalNumVgprs: 20
; ScratchSize: 0
; MemoryBound: 0
; FloatMode: 240
; IeeeMode: 1
; LDSByteSize: 0 bytes/workgroup (compile time only)
; SGPRBlocks: 5
; VGPRBlocks: 2
; NumSGPRsForWavesPerEU: 48
; NumVGPRsForWavesPerEU: 20
; AccumOffset: 20
; Occupancy: 8
; WaveLimiterHint : 0
; COMPUTE_PGM_RSRC2:SCRATCH_EN: 0
; COMPUTE_PGM_RSRC2:USER_SGPR: 2
; COMPUTE_PGM_RSRC2:TRAP_HANDLER: 0
; COMPUTE_PGM_RSRC2:TGID_X_EN: 1
; COMPUTE_PGM_RSRC2:TGID_Y_EN: 0
; COMPUTE_PGM_RSRC2:TGID_Z_EN: 0
; COMPUTE_PGM_RSRC2:TIDIG_COMP_CNT: 0
; COMPUTE_PGM_RSRC3_GFX90A:ACCUM_OFFSET: 4
; COMPUTE_PGM_RSRC3_GFX90A:TG_SPLIT: 0
	.section	.text._ZN5aiter23act_and_mul_bias_kernelIffafTnPFfRKT2_EXadL_ZNS_11gelu_kernelIfEEfRKT_EELi1EEEvPT0_PS8_PKT1_PS2_il,"axG",@progbits,_ZN5aiter23act_and_mul_bias_kernelIffafTnPFfRKT2_EXadL_ZNS_11gelu_kernelIfEEfRKT_EELi1EEEvPT0_PS8_PKT1_PS2_il,comdat
	.protected	_ZN5aiter23act_and_mul_bias_kernelIffafTnPFfRKT2_EXadL_ZNS_11gelu_kernelIfEEfRKT_EELi1EEEvPT0_PS8_PKT1_PS2_il ; -- Begin function _ZN5aiter23act_and_mul_bias_kernelIffafTnPFfRKT2_EXadL_ZNS_11gelu_kernelIfEEfRKT_EELi1EEEvPT0_PS8_PKT1_PS2_il
	.globl	_ZN5aiter23act_and_mul_bias_kernelIffafTnPFfRKT2_EXadL_ZNS_11gelu_kernelIfEEfRKT_EELi1EEEvPT0_PS8_PKT1_PS2_il
	.p2align	8
	.type	_ZN5aiter23act_and_mul_bias_kernelIffafTnPFfRKT2_EXadL_ZNS_11gelu_kernelIfEEfRKT_EELi1EEEvPT0_PS8_PKT1_PS2_il,@function
_ZN5aiter23act_and_mul_bias_kernelIffafTnPFfRKT2_EXadL_ZNS_11gelu_kernelIfEEfRKT_EELi1EEEvPT0_PS8_PKT1_PS2_il: ; @_ZN5aiter23act_and_mul_bias_kernelIffafTnPFfRKT2_EXadL_ZNS_11gelu_kernelIfEEfRKT_EELi1EEEvPT0_PS8_PKT1_PS2_il
; %bb.0:
	s_load_dwordx2 s[4:5], s[0:1], 0x10
	s_load_dword s20, s[0:1], 0x20
	s_load_dwordx2 s[6:7], s[0:1], 0x28
	v_mov_b32_e32 v1, s2
	s_mov_b32 s9, 0
	s_waitcnt lgkmcnt(0)
	global_load_ubyte v1, v1, s[4:5]
	s_ashr_i32 s21, s20, 31
	s_load_dwordx2 s[4:5], s[0:1], 0x0
	s_mul_hi_u32 s3, s20, s2
	v_mov_b64_e32 v[2:3], s[6:7]
	s_mul_i32 s6, s21, s2
	s_add_i32 s15, s3, s6
	s_mul_i32 s14, s20, s2
	s_lshl_b32 s10, s20, 2
	s_lshl_b64 s[14:15], s[14:15], 2
	s_mov_b64 s[12:13], -1
	s_waitcnt vmcnt(0)
	v_readfirstlane_b32 s3, v1
	s_nop 1
	v_mov_b32_e32 v4, s3
	s_sext_i32_i8 s3, s3
	v_readfirstlane_b32 s8, v4
	s_bfe_i64 s[6:7], s[8:9], 0x80000
	s_waitcnt lgkmcnt(0)
	s_add_u32 s8, s4, s14
	s_addc_u32 s4, s5, s15
	s_and_b32 s9, s4, 0xffff
	s_cmp_gt_i32 s3, -1
	v_cmp_lt_i64_e32 vcc, s[6:7], v[2:3]
	s_cselect_b64 s[4:5], -1, 0
	s_and_b64 s[4:5], s[4:5], vcc
	s_and_b64 vcc, exec, s[4:5]
	v_cmp_gt_i32_e64 s[4:5], s20, v0
	s_cbranch_vccnz .LBB393_5
; %bb.1:
	s_and_saveexec_b64 s[12:13], s[4:5]
	s_cbranch_execz .LBB393_4
; %bb.2:
	s_load_dword s3, s[0:1], 0x3c
	v_mov_b32_e32 v1, 0
	s_mov_b32 s5, 0
	v_lshlrev_b32_e32 v4, 2, v0
	s_mov_b64 s[14:15], 0
	s_waitcnt lgkmcnt(0)
	s_and_b32 s4, s3, 0xffff
	s_lshl_b32 s3, s4, 2
	s_mov_b32 s11, 0x20000
	v_mov_b64_e32 v[2:3], v[0:1]
.LBB393_3:                              ; =>This Inner Loop Header: Depth=1
	v_lshl_add_u64 v[2:3], v[2:3], 0, s[4:5]
	v_cmp_le_i64_e32 vcc, s[20:21], v[2:3]
	buffer_store_dword v1, v4, s[8:11], 0 offen
	s_or_b64 s[14:15], vcc, s[14:15]
	v_add_u32_e32 v4, s3, v4
	s_andn2_b64 exec, exec, s[14:15]
	s_cbranch_execnz .LBB393_3
.LBB393_4:
	s_or_b64 exec, exec, s[12:13]
	s_mov_b64 s[12:13], 0
.LBB393_5:
	s_andn2_b64 vcc, exec, s[12:13]
	s_cbranch_vccnz .LBB393_13
; %bb.6:
	v_cmp_gt_i32_e32 vcc, s20, v0
	s_and_saveexec_b64 s[4:5], vcc
	s_cbranch_execz .LBB393_13
; %bb.7:
	s_load_dwordx2 s[12:13], s[0:1], 0x8
	s_load_dwordx2 s[4:5], s[0:1], 0x18
	s_mul_hi_i32 s7, s20, s6
	s_mul_i32 s6, s20, s6
	s_lshl_b64 s[6:7], s[6:7], 3
	s_load_dword s18, s[0:1], 0x3c
	s_waitcnt lgkmcnt(0)
	s_add_u32 s4, s4, s6
	s_addc_u32 s1, s5, s7
	s_lshl_b64 s[14:15], s[20:21], 2
	s_add_u32 s0, s4, s14
	s_addc_u32 s3, s1, s15
	s_and_b32 s5, s1, 0xffff
	s_and_b32 s1, s3, 0xffff
	s_mul_i32 s3, s2, s21
	s_mul_hi_u32 s16, s2, s20
	s_add_i32 s3, s16, s3
	s_mul_i32 s2, s2, s20
	s_lshl_b64 s[2:3], s[2:3], 3
	s_add_u32 s12, s12, s2
	s_addc_u32 s2, s13, s3
	s_add_u32 s16, s12, s14
	s_mov_b32 s11, 0x20000
	s_addc_u32 s3, s2, s15
	s_and_b32 s22, s18, 0xffff
                                        ; implicit-def: $vgpr4
                                        ; implicit-def: $vgpr4
                                        ; implicit-def: $vgpr4
                                        ; implicit-def: $vgpr4
	s_mov_b32 s23, 0
	s_mov_b64 s[6:7], s[10:11]
	s_and_b32 s13, s2, 0xffff
	s_and_b32 s17, s3, 0xffff
	v_mov_b32_e32 v1, 0
	v_lshlrev_b32_e32 v2, 2, v0
	s_lshl_b32 s26, s22, 2
	s_mov_b64 s[24:25], 0
	s_mov_b32 s14, s10
	s_mov_b32 s15, s11
	s_mov_b32 s27, 0x378e98ab
	s_mov_b32 s28, 0x3b7cd369
	s_mov_b32 s29, 0xbcc618b2
	s_mov_b32 s30, 0x3dda74e4
	s_mov_b32 s31, 0x3f228afd
	s_mov_b32 s33, 0x3e03c728
	s_mov_b32 s34, 0xbfb8aa3b
	s_mov_b32 s35, 0x42ce8ed0
	s_mov_b32 s36, 0xc2b17218
	v_mov_b32_e32 v3, 0x3ba10414
	s_brev_b32 s37, -2
	s_mov_b32 s18, s10
	s_mov_b32 s19, s11
	v_mov_b32_e32 v4, 0xb9c68948
	v_mov_b32_e32 v5, 0x7f800000
	s_branch .LBB393_9
.LBB393_8:                              ;   in Loop: Header=BB393_9 Depth=1
	s_or_b64 exec, exec, s[2:3]
	s_waitcnt vmcnt(0)
	v_add_f32_e32 v6, v6, v7
	v_mul_f32_e32 v7, 0.5, v8
	v_bfi_b32 v8, s37, v10, v9
	v_add_f32_e32 v8, 1.0, v8
	v_mul_f32_e32 v7, v7, v8
	v_lshl_add_u64 v[0:1], v[0:1], 0, s[22:23]
	v_mul_f32_e32 v6, v6, v7
	v_cmp_le_i64_e32 vcc, s[20:21], v[0:1]
	buffer_store_dword v6, v2, s[8:11], 0 offen
	s_or_b64 s[24:25], vcc, s[24:25]
	v_add_u32_e32 v2, s26, v2
	s_andn2_b64 exec, exec, s[24:25]
	s_cbranch_execz .LBB393_13
.LBB393_9:                              ; =>This Inner Loop Header: Depth=1
	buffer_load_dword v8, v2, s[12:15], 0 offen
	buffer_load_dword v6, v2, s[16:19], 0 offen
	buffer_load_dword v9, v2, s[4:7], 0 offen
	s_mov_b32 s2, s6
	s_mov_b32 s3, s7
	buffer_load_dword v7, v2, s[0:3], 0 offen
                                        ; implicit-def: $vgpr10
	s_waitcnt vmcnt(1)
	v_add_f32_e32 v8, v8, v9
	v_mul_f32_e32 v9, 0x3f3504f3, v8
	v_cmp_nlt_f32_e64 s[2:3], |v9|, 1.0
	s_and_saveexec_b64 s[38:39], s[2:3]
	s_xor_b64 s[2:3], exec, s[38:39]
	s_cbranch_execz .LBB393_11
; %bb.10:                               ;   in Loop: Header=BB393_9 Depth=1
	v_fma_f32 v10, |v9|, s27, v4
	v_fma_f32 v10, |v9|, v10, s28
	;; [unrolled: 1-line block ×6, first 2 shown]
	v_fma_f32 v10, |v9|, v10, |v9|
	v_mul_f32_e32 v11, 0xbfb8aa3b, v10
	v_fma_f32 v12, v10, s34, -v11
	v_rndne_f32_e32 v13, v11
	v_fmac_f32_e32 v12, 0xb2a5705f, v10
	v_sub_f32_e32 v11, v11, v13
	v_add_f32_e32 v11, v11, v12
	v_cvt_i32_f32_e32 v12, v13
	v_exp_f32_e32 v11, v11
	v_cmp_nlt_f32_e32 vcc, s35, v10
	v_ldexp_f32 v11, v11, v12
	s_nop 0
	v_cndmask_b32_e32 v11, 0, v11, vcc
	v_cmp_ngt_f32_e32 vcc, s36, v10
	s_nop 1
	v_cndmask_b32_e32 v10, v5, v11, vcc
	v_sub_f32_e32 v10, 1.0, v10
.LBB393_11:                             ;   in Loop: Header=BB393_9 Depth=1
	s_andn2_saveexec_b64 s[2:3], s[2:3]
	s_cbranch_execz .LBB393_8
; %bb.12:                               ;   in Loop: Header=BB393_9 Depth=1
	v_mul_f32_e32 v10, v9, v9
	v_fmamk_f32 v11, v10, 0xba1345e1, v3
	v_fmaak_f32 v11, v10, v11, 0xbcdac9b8
	v_fmaak_f32 v11, v10, v11, 0x3de703be
	;; [unrolled: 1-line block ×4, first 2 shown]
	v_fma_f32 v10, |v9|, v10, |v9|
	s_branch .LBB393_8
.LBB393_13:
	s_endpgm
	.section	.rodata,"a",@progbits
	.p2align	6, 0x0
	.amdhsa_kernel _ZN5aiter23act_and_mul_bias_kernelIffafTnPFfRKT2_EXadL_ZNS_11gelu_kernelIfEEfRKT_EELi1EEEvPT0_PS8_PKT1_PS2_il
		.amdhsa_group_segment_fixed_size 0
		.amdhsa_private_segment_fixed_size 0
		.amdhsa_kernarg_size 304
		.amdhsa_user_sgpr_count 2
		.amdhsa_user_sgpr_dispatch_ptr 0
		.amdhsa_user_sgpr_queue_ptr 0
		.amdhsa_user_sgpr_kernarg_segment_ptr 1
		.amdhsa_user_sgpr_dispatch_id 0
		.amdhsa_user_sgpr_kernarg_preload_length 0
		.amdhsa_user_sgpr_kernarg_preload_offset 0
		.amdhsa_user_sgpr_private_segment_size 0
		.amdhsa_uses_dynamic_stack 0
		.amdhsa_enable_private_segment 0
		.amdhsa_system_sgpr_workgroup_id_x 1
		.amdhsa_system_sgpr_workgroup_id_y 0
		.amdhsa_system_sgpr_workgroup_id_z 0
		.amdhsa_system_sgpr_workgroup_info 0
		.amdhsa_system_vgpr_workitem_id 0
		.amdhsa_next_free_vgpr 14
		.amdhsa_next_free_sgpr 40
		.amdhsa_accum_offset 16
		.amdhsa_reserve_vcc 1
		.amdhsa_float_round_mode_32 0
		.amdhsa_float_round_mode_16_64 0
		.amdhsa_float_denorm_mode_32 3
		.amdhsa_float_denorm_mode_16_64 3
		.amdhsa_dx10_clamp 1
		.amdhsa_ieee_mode 1
		.amdhsa_fp16_overflow 0
		.amdhsa_tg_split 0
		.amdhsa_exception_fp_ieee_invalid_op 0
		.amdhsa_exception_fp_denorm_src 0
		.amdhsa_exception_fp_ieee_div_zero 0
		.amdhsa_exception_fp_ieee_overflow 0
		.amdhsa_exception_fp_ieee_underflow 0
		.amdhsa_exception_fp_ieee_inexact 0
		.amdhsa_exception_int_div_zero 0
	.end_amdhsa_kernel
	.section	.text._ZN5aiter23act_and_mul_bias_kernelIffafTnPFfRKT2_EXadL_ZNS_11gelu_kernelIfEEfRKT_EELi1EEEvPT0_PS8_PKT1_PS2_il,"axG",@progbits,_ZN5aiter23act_and_mul_bias_kernelIffafTnPFfRKT2_EXadL_ZNS_11gelu_kernelIfEEfRKT_EELi1EEEvPT0_PS8_PKT1_PS2_il,comdat
.Lfunc_end393:
	.size	_ZN5aiter23act_and_mul_bias_kernelIffafTnPFfRKT2_EXadL_ZNS_11gelu_kernelIfEEfRKT_EELi1EEEvPT0_PS8_PKT1_PS2_il, .Lfunc_end393-_ZN5aiter23act_and_mul_bias_kernelIffafTnPFfRKT2_EXadL_ZNS_11gelu_kernelIfEEfRKT_EELi1EEEvPT0_PS8_PKT1_PS2_il
                                        ; -- End function
	.section	.AMDGPU.csdata,"",@progbits
; Kernel info:
; codeLenInByte = 936
; NumSgprs: 46
; NumVgprs: 14
; NumAgprs: 0
; TotalNumVgprs: 14
; ScratchSize: 0
; MemoryBound: 0
; FloatMode: 240
; IeeeMode: 1
; LDSByteSize: 0 bytes/workgroup (compile time only)
; SGPRBlocks: 5
; VGPRBlocks: 1
; NumSGPRsForWavesPerEU: 46
; NumVGPRsForWavesPerEU: 14
; AccumOffset: 16
; Occupancy: 8
; WaveLimiterHint : 0
; COMPUTE_PGM_RSRC2:SCRATCH_EN: 0
; COMPUTE_PGM_RSRC2:USER_SGPR: 2
; COMPUTE_PGM_RSRC2:TRAP_HANDLER: 0
; COMPUTE_PGM_RSRC2:TGID_X_EN: 1
; COMPUTE_PGM_RSRC2:TGID_Y_EN: 0
; COMPUTE_PGM_RSRC2:TGID_Z_EN: 0
; COMPUTE_PGM_RSRC2:TIDIG_COMP_CNT: 0
; COMPUTE_PGM_RSRC3_GFX90A:ACCUM_OFFSET: 3
; COMPUTE_PGM_RSRC3_GFX90A:TG_SPLIT: 0
	.section	.text._ZN5aiter23act_and_mul_bias_kernelIDF16_DF16_afTnPFfRKT2_EXadL_ZNS_11gelu_kernelIfEEfRKT_EELi32EEEvPT0_PS8_PKT1_PS2_il,"axG",@progbits,_ZN5aiter23act_and_mul_bias_kernelIDF16_DF16_afTnPFfRKT2_EXadL_ZNS_11gelu_kernelIfEEfRKT_EELi32EEEvPT0_PS8_PKT1_PS2_il,comdat
	.protected	_ZN5aiter23act_and_mul_bias_kernelIDF16_DF16_afTnPFfRKT2_EXadL_ZNS_11gelu_kernelIfEEfRKT_EELi32EEEvPT0_PS8_PKT1_PS2_il ; -- Begin function _ZN5aiter23act_and_mul_bias_kernelIDF16_DF16_afTnPFfRKT2_EXadL_ZNS_11gelu_kernelIfEEfRKT_EELi32EEEvPT0_PS8_PKT1_PS2_il
	.globl	_ZN5aiter23act_and_mul_bias_kernelIDF16_DF16_afTnPFfRKT2_EXadL_ZNS_11gelu_kernelIfEEfRKT_EELi32EEEvPT0_PS8_PKT1_PS2_il
	.p2align	8
	.type	_ZN5aiter23act_and_mul_bias_kernelIDF16_DF16_afTnPFfRKT2_EXadL_ZNS_11gelu_kernelIfEEfRKT_EELi32EEEvPT0_PS8_PKT1_PS2_il,@function
_ZN5aiter23act_and_mul_bias_kernelIDF16_DF16_afTnPFfRKT2_EXadL_ZNS_11gelu_kernelIfEEfRKT_EELi32EEEvPT0_PS8_PKT1_PS2_il: ; @_ZN5aiter23act_and_mul_bias_kernelIDF16_DF16_afTnPFfRKT2_EXadL_ZNS_11gelu_kernelIfEEfRKT_EELi32EEEvPT0_PS8_PKT1_PS2_il
; %bb.0:
	s_load_dwordx2 s[4:5], s[0:1], 0x10
	s_load_dword s24, s[0:1], 0x20
	s_load_dwordx2 s[6:7], s[0:1], 0x28
	v_mov_b32_e32 v1, s2
	s_mov_b32 s9, 0
	s_waitcnt lgkmcnt(0)
	global_load_ubyte v1, v1, s[4:5]
	s_add_i32 s3, s24, 1
	v_mov_b64_e32 v[2:3], s[6:7]
	s_lshr_b32 s6, s3, 31
	s_add_i32 s3, s3, s6
	s_load_dwordx2 s[4:5], s[0:1], 0x0
	s_lshl_b32 s3, s3, 1
	s_ashr_i32 s25, s24, 31
	s_and_b32 s6, s3, -4
	s_mul_hi_u32 s8, s24, s2
	s_mul_i32 s7, s25, s2
	s_mul_i32 s12, s24, s2
	s_add_i32 s13, s8, s7
	s_lshl_b64 s[12:13], s[12:13], 1
	s_mov_b64 s[10:11], -1
	v_lshlrev_b32_e32 v96, 5, v0
	s_waitcnt vmcnt(0)
	v_readfirstlane_b32 s3, v1
	s_nop 1
	v_mov_b32_e32 v4, s3
	s_sext_i32_i8 s3, s3
	v_readfirstlane_b32 s8, v4
	s_bfe_i64 s[8:9], s[8:9], 0x80000
	s_waitcnt lgkmcnt(0)
	s_add_u32 s4, s4, s12
	s_addc_u32 s5, s5, s13
	s_and_b32 s5, s5, 0xffff
	s_cmp_gt_i32 s3, -1
	v_cmp_lt_i64_e32 vcc, s[8:9], v[2:3]
	s_cselect_b64 s[12:13], -1, 0
	s_and_b64 s[12:13], s[12:13], vcc
	s_and_b64 vcc, exec, s[12:13]
	s_cbranch_vccnz .LBB394_5
; %bb.1:
	v_cmp_gt_i32_e32 vcc, s24, v96
	s_and_saveexec_b64 s[10:11], vcc
	s_cbranch_execz .LBB394_4
; %bb.2:
	s_load_dword s3, s[0:1], 0x3c
	s_mov_b32 s13, 0
	s_mov_b32 s16, s13
	;; [unrolled: 1-line block ×3, first 2 shown]
	v_mov_b32_e32 v97, 0
	v_lshlrev_b32_e32 v6, 6, v0
	s_waitcnt lgkmcnt(0)
	s_and_b32 s3, s3, 0xffff
	s_mov_b32 s18, s13
	s_mov_b32 s19, s13
	v_mov_b64_e32 v[0:1], s[16:17]
	s_lshl_b32 s12, s3, 5
	s_lshl_b32 s3, s3, 6
	s_mov_b64 s[14:15], 0
	s_mov_b32 s7, 0x20000
	v_mov_b64_e32 v[2:3], s[18:19]
	v_mov_b64_e32 v[4:5], v[96:97]
.LBB394_3:                              ; =>This Inner Loop Header: Depth=1
	v_lshl_add_u64 v[4:5], s[12:13], 0, v[4:5]
	v_cmp_le_i64_e32 vcc, s[24:25], v[4:5]
	buffer_store_dwordx4 v[0:3], v6, s[4:7], 0 offen
	buffer_store_dwordx4 v[0:3], v6, s[4:7], 16 offen
	;; [unrolled: 1-line block ×4, first 2 shown]
	s_or_b64 s[14:15], vcc, s[14:15]
	v_add_u32_e32 v6, s3, v6
	s_andn2_b64 exec, exec, s[14:15]
	s_cbranch_execnz .LBB394_3
.LBB394_4:
	s_or_b64 exec, exec, s[10:11]
	s_mov_b64 s[10:11], 0
.LBB394_5:
	s_andn2_b64 vcc, exec, s[10:11]
	s_cbranch_vccnz .LBB394_137
; %bb.6:
	v_cmp_gt_i32_e32 vcc, s24, v96
	s_and_saveexec_b64 s[10:11], vcc
	s_cbranch_execz .LBB394_137
; %bb.7:
	s_load_dwordx2 s[14:15], s[0:1], 0x8
	s_load_dwordx2 s[10:11], s[0:1], 0x18
	s_mul_hi_i32 s9, s24, s8
	s_mul_i32 s8, s24, s8
	s_lshl_b64 s[8:9], s[8:9], 3
	s_mul_i32 s16, s2, s25
	s_waitcnt lgkmcnt(0)
	s_add_u32 s8, s10, s8
	s_addc_u32 s7, s11, s9
	s_lshl_b64 s[10:11], s[24:25], 2
	s_add_u32 s12, s8, s10
	s_mul_hi_u32 s17, s2, s24
	s_addc_u32 s13, s7, s11
	s_add_i32 s17, s17, s16
	s_mul_i32 s16, s2, s24
	s_lshl_b32 s10, s24, 2
	s_and_b32 s9, s7, 0xffff
	s_and_b32 s13, s13, 0xffff
	s_lshl_b64 s[16:17], s[16:17], 2
	s_add_u32 s16, s14, s16
	s_addc_u32 s2, s15, s17
	s_lshl_b64 s[14:15], s[24:25], 1
	s_add_u32 s20, s16, s14
	s_addc_u32 s14, s2, s15
	s_and_b32 s17, s2, 0xffff
	s_and_b32 s21, s14, 0xffff
	s_mov_b32 s7, 0x20000
	s_add_u32 s0, s0, 48
	s_mov_b32 s3, 0
	s_mov_b32 s11, s7
	s_mov_b64 s[22:23], s[6:7]
	v_mov_b32_e32 v97, 0
	s_addc_u32 s1, s1, 0
	s_mov_b64 s[26:27], 0
	s_mov_b32 s18, s6
	s_mov_b32 s19, s7
	s_movk_i32 s28, 0x50
	s_movk_i32 s29, 0x60
	;; [unrolled: 1-line block ×3, first 2 shown]
	s_mov_b32 s31, 0x378e98ab
	s_mov_b32 s33, 0x3b7cd369
	;; [unrolled: 1-line block ×9, first 2 shown]
	v_mov_b32_e32 v98, 0x3ba10414
	s_brev_b32 s41, -2
	v_mov_b32_e32 v99, 0xb9c68948
	v_mov_b32_e32 v100, 0x7f800000
                                        ; implicit-def: $vgpr0
                                        ; implicit-def: $vgpr0
	;; [unrolled: 1-line block ×4, first 2 shown]
	s_branch .LBB394_9
.LBB394_8:                              ;   in Loop: Header=BB394_9 Depth=1
	s_or_b64 exec, exec, s[14:15]
	v_cvt_f32_f16_sdwa v13, v3 dst_sel:DWORD dst_unused:UNUSED_PAD src0_sel:WORD_1
	v_bfi_b32 v2, s41, v12, v2
	v_cvt_f16_f32_e32 v14, v1
	v_bfi_b32 v1, s41, v11, v10
	v_add_f32_e32 v7, v7, v13
	v_cvt_f16_f32_e32 v13, v0
	v_cvt_f32_f16_e32 v0, v3
	v_mul_f32_e32 v8, 0.5, v8
	v_add_f32_e32 v2, 1.0, v2
	v_add_f32_e32 v1, 1.0, v1
	v_add_f32_e32 v6, v6, v0
	v_mul_f32_e32 v0, 0.5, v9
	v_mul_f32_e32 v2, v8, v2
	v_mul_f32_e32 v3, v0, v1
	;;#ASMSTART
	v_pk_mul_f32 v[0:1], v[2:3], v[6:7]
	;;#ASMEND
	s_load_dword s2, s[0:1], 0xc
	v_cvt_f16_f32_e32 v31, v88
	v_cvt_f16_f32_e32 v32, v89
	;; [unrolled: 1-line block ×30, first 2 shown]
	s_waitcnt lgkmcnt(0)
	s_and_b32 s2, s2, 0xffff
	v_pack_b32_f16 v3, v37, v38
	v_pack_b32_f16 v2, v35, v36
	;; [unrolled: 1-line block ×4, first 2 shown]
	s_lshl_b32 s2, s2, 5
	buffer_store_dwordx4 v[0:3], v101, s[4:7], 0 offen
	v_lshl_add_u64 v[96:97], s[2:3], 0, v[96:97]
	v_cmp_le_i64_e32 vcc, s[24:25], v[96:97]
	v_pack_b32_f16 v3, v29, v30
	v_pack_b32_f16 v2, v27, v28
	;; [unrolled: 1-line block ×4, first 2 shown]
	buffer_store_dwordx4 v[0:3], v101, s[4:7], 16 offen
	s_or_b64 s[26:27], vcc, s[26:27]
	s_nop 0
	v_pack_b32_f16 v3, v21, v22
	v_pack_b32_f16 v2, v19, v20
	;; [unrolled: 1-line block ×4, first 2 shown]
	buffer_store_dwordx4 v[0:3], v101, s[4:7], 32 offen
	s_nop 1
	v_pack_b32_f16 v3, v6, v7
	v_pack_b32_f16 v2, v4, v5
	v_pack_b32_f16 v1, v13, v14
	v_pack_b32_f16 v0, v8, v12
	buffer_store_dwordx4 v[0:3], v101, s[4:7], 48 offen
	s_andn2_b64 exec, exec, s[26:27]
	s_cbranch_execz .LBB394_137
.LBB394_9:                              ; =>This Inner Loop Header: Depth=1
	v_lshlrev_b32_e32 v101, 1, v96
	v_lshlrev_b32_e32 v4, 2, v96
	s_mov_b32 s14, s10
	s_mov_b32 s15, s11
	buffer_load_dwordx4 v[80:83], v101, s[16:19], 0 offen
	buffer_load_dwordx4 v[56:59], v101, s[16:19], 16 offen
	;; [unrolled: 1-line block ×23, first 2 shown]
	s_nop 0
	buffer_load_dwordx4 v[4:7], v4, s[12:15], s30 offen
                                        ; implicit-def: $vgpr103
	s_waitcnt vmcnt(23)
	v_cvt_f32_f16_e32 v102, v80
	s_waitcnt vmcnt(15)
	v_add_f32_e32 v92, v92, v102
	v_mul_f32_e32 v102, 0x3f3504f3, v92
	v_cmp_nlt_f32_e64 s[14:15], |v102|, 1.0
	s_and_saveexec_b64 s[42:43], s[14:15]
	s_xor_b64 s[14:15], exec, s[42:43]
	s_cbranch_execz .LBB394_11
; %bb.10:                               ;   in Loop: Header=BB394_9 Depth=1
	v_fma_f32 v103, |v102|, s31, v99
	v_fma_f32 v103, |v102|, v103, s33
	;; [unrolled: 1-line block ×6, first 2 shown]
	v_fma_f32 v103, |v102|, v103, |v102|
	v_mul_f32_e32 v104, 0xbfb8aa3b, v103
	v_fma_f32 v105, v103, s38, -v104
	v_rndne_f32_e32 v106, v104
	v_fmac_f32_e32 v105, 0xb2a5705f, v103
	v_sub_f32_e32 v104, v104, v106
	v_add_f32_e32 v104, v104, v105
	v_cvt_i32_f32_e32 v105, v106
	v_exp_f32_e32 v104, v104
	v_cmp_nlt_f32_e32 vcc, s39, v103
	v_ldexp_f32 v104, v104, v105
	s_nop 0
	v_cndmask_b32_e32 v104, 0, v104, vcc
	v_cmp_ngt_f32_e32 vcc, s40, v103
	s_nop 1
	v_cndmask_b32_e32 v103, v100, v104, vcc
	v_sub_f32_e32 v103, 1.0, v103
.LBB394_11:                             ;   in Loop: Header=BB394_9 Depth=1
	s_andn2_saveexec_b64 s[14:15], s[14:15]
; %bb.12:                               ;   in Loop: Header=BB394_9 Depth=1
	v_mul_f32_e32 v103, v102, v102
	v_fmamk_f32 v104, v103, 0xba1345e1, v98
	v_fmaak_f32 v104, v103, v104, 0xbcdac9b8
	v_fmaak_f32 v104, v103, v104, 0x3de703be
	;; [unrolled: 1-line block ×4, first 2 shown]
	v_fma_f32 v103, |v102|, v103, |v102|
; %bb.13:                               ;   in Loop: Header=BB394_9 Depth=1
	s_or_b64 exec, exec, s[14:15]
	v_cvt_f32_f16_sdwa v80, v80 dst_sel:DWORD dst_unused:UNUSED_PAD src0_sel:WORD_1
                                        ; implicit-def: $vgpr104
	v_add_f32_e32 v80, v93, v80
	v_mul_f32_e32 v93, 0x3f3504f3, v80
	v_cmp_nlt_f32_e64 s[14:15], |v93|, 1.0
	s_and_saveexec_b64 s[42:43], s[14:15]
	s_xor_b64 s[14:15], exec, s[42:43]
	s_cbranch_execz .LBB394_15
; %bb.14:                               ;   in Loop: Header=BB394_9 Depth=1
	v_fma_f32 v104, |v93|, s31, v99
	v_fma_f32 v104, |v93|, v104, s33
	;; [unrolled: 1-line block ×6, first 2 shown]
	v_fma_f32 v104, |v93|, v104, |v93|
	v_mul_f32_e32 v105, 0xbfb8aa3b, v104
	v_fma_f32 v106, v104, s38, -v105
	v_rndne_f32_e32 v107, v105
	v_fmac_f32_e32 v106, 0xb2a5705f, v104
	v_sub_f32_e32 v105, v105, v107
	v_add_f32_e32 v105, v105, v106
	v_cvt_i32_f32_e32 v106, v107
	v_exp_f32_e32 v105, v105
	v_cmp_nlt_f32_e32 vcc, s39, v104
	v_ldexp_f32 v105, v105, v106
	s_nop 0
	v_cndmask_b32_e32 v105, 0, v105, vcc
	v_cmp_ngt_f32_e32 vcc, s40, v104
	s_nop 1
	v_cndmask_b32_e32 v104, v100, v105, vcc
	v_sub_f32_e32 v104, 1.0, v104
.LBB394_15:                             ;   in Loop: Header=BB394_9 Depth=1
	s_andn2_saveexec_b64 s[14:15], s[14:15]
; %bb.16:                               ;   in Loop: Header=BB394_9 Depth=1
	v_mul_f32_e32 v104, v93, v93
	v_fmamk_f32 v105, v104, 0xba1345e1, v98
	v_fmaak_f32 v105, v104, v105, 0xbcdac9b8
	v_fmaak_f32 v105, v104, v105, 0x3de703be
	;; [unrolled: 1-line block ×4, first 2 shown]
	v_fma_f32 v104, |v93|, v104, |v93|
; %bb.17:                               ;   in Loop: Header=BB394_9 Depth=1
	s_or_b64 exec, exec, s[14:15]
	v_bfi_b32 v102, s41, v103, v102
	v_cvt_f32_f16_sdwa v103, v72 dst_sel:DWORD dst_unused:UNUSED_PAD src0_sel:WORD_1
	v_cvt_f32_f16_e32 v72, v72
	v_mul_f32_e32 v92, 0.5, v92
	v_add_f32_e32 v102, 1.0, v102
	v_mul_f32_e32 v92, v92, v102
	v_cvt_f32_f16_e32 v102, v81
	s_waitcnt vmcnt(7)
	v_add_f32_e32 v88, v88, v72
	v_mul_f32_e32 v72, 0.5, v80
	v_bfi_b32 v80, s41, v104, v93
	v_add_f32_e32 v80, 1.0, v80
	v_mul_f32_e32 v93, v72, v80
	v_add_f32_e32 v72, v94, v102
	v_mul_f32_e32 v80, 0x3f3504f3, v72
	v_add_f32_e32 v89, v89, v103
	v_cmp_nlt_f32_e64 s[14:15], |v80|, 1.0
	;;#ASMSTART
	v_pk_mul_f32 v[88:89], v[92:93], v[88:89]
	;;#ASMEND
                                        ; implicit-def: $vgpr92
	s_and_saveexec_b64 s[42:43], s[14:15]
	s_xor_b64 s[14:15], exec, s[42:43]
	s_cbranch_execz .LBB394_19
; %bb.18:                               ;   in Loop: Header=BB394_9 Depth=1
	v_fma_f32 v92, |v80|, s31, v99
	v_fma_f32 v92, |v80|, v92, s33
	;; [unrolled: 1-line block ×6, first 2 shown]
	v_fma_f32 v92, |v80|, v92, |v80|
	v_mul_f32_e32 v93, 0xbfb8aa3b, v92
	v_fma_f32 v94, v92, s38, -v93
	v_rndne_f32_e32 v102, v93
	v_fmac_f32_e32 v94, 0xb2a5705f, v92
	v_sub_f32_e32 v93, v93, v102
	v_add_f32_e32 v93, v93, v94
	v_cvt_i32_f32_e32 v94, v102
	v_exp_f32_e32 v93, v93
	v_cmp_nlt_f32_e32 vcc, s39, v92
	v_ldexp_f32 v93, v93, v94
	s_nop 0
	v_cndmask_b32_e32 v93, 0, v93, vcc
	v_cmp_ngt_f32_e32 vcc, s40, v92
	s_nop 1
	v_cndmask_b32_e32 v92, v100, v93, vcc
	v_sub_f32_e32 v92, 1.0, v92
.LBB394_19:                             ;   in Loop: Header=BB394_9 Depth=1
	s_andn2_saveexec_b64 s[14:15], s[14:15]
; %bb.20:                               ;   in Loop: Header=BB394_9 Depth=1
	v_mul_f32_e32 v92, v80, v80
	v_fmamk_f32 v93, v92, 0xba1345e1, v98
	v_fmaak_f32 v93, v92, v93, 0xbcdac9b8
	v_fmaak_f32 v93, v92, v93, 0x3de703be
	;; [unrolled: 1-line block ×4, first 2 shown]
	v_fma_f32 v92, |v80|, v92, |v80|
; %bb.21:                               ;   in Loop: Header=BB394_9 Depth=1
	s_or_b64 exec, exec, s[14:15]
	v_cvt_f32_f16_sdwa v81, v81 dst_sel:DWORD dst_unused:UNUSED_PAD src0_sel:WORD_1
                                        ; implicit-def: $vgpr94
	v_add_f32_e32 v81, v95, v81
	v_mul_f32_e32 v93, 0x3f3504f3, v81
	v_cmp_nlt_f32_e64 s[14:15], |v93|, 1.0
	s_and_saveexec_b64 s[42:43], s[14:15]
	s_xor_b64 s[14:15], exec, s[42:43]
	s_cbranch_execz .LBB394_23
; %bb.22:                               ;   in Loop: Header=BB394_9 Depth=1
	v_fma_f32 v94, |v93|, s31, v99
	v_fma_f32 v94, |v93|, v94, s33
	;; [unrolled: 1-line block ×6, first 2 shown]
	v_fma_f32 v94, |v93|, v94, |v93|
	v_mul_f32_e32 v95, 0xbfb8aa3b, v94
	v_fma_f32 v102, v94, s38, -v95
	v_rndne_f32_e32 v103, v95
	v_fmac_f32_e32 v102, 0xb2a5705f, v94
	v_sub_f32_e32 v95, v95, v103
	v_add_f32_e32 v95, v95, v102
	v_cvt_i32_f32_e32 v102, v103
	v_exp_f32_e32 v95, v95
	v_cmp_nlt_f32_e32 vcc, s39, v94
	v_ldexp_f32 v95, v95, v102
	s_nop 0
	v_cndmask_b32_e32 v95, 0, v95, vcc
	v_cmp_ngt_f32_e32 vcc, s40, v94
	s_nop 1
	v_cndmask_b32_e32 v94, v100, v95, vcc
	v_sub_f32_e32 v94, 1.0, v94
.LBB394_23:                             ;   in Loop: Header=BB394_9 Depth=1
	s_andn2_saveexec_b64 s[14:15], s[14:15]
; %bb.24:                               ;   in Loop: Header=BB394_9 Depth=1
	v_mul_f32_e32 v94, v93, v93
	v_fmamk_f32 v95, v94, 0xba1345e1, v98
	v_fmaak_f32 v95, v94, v95, 0xbcdac9b8
	v_fmaak_f32 v95, v94, v95, 0x3de703be
	v_fmaak_f32 v95, v94, v95, 0xbec09330
	v_fmaak_f32 v94, v94, v95, 0x3e0375d0
	v_fma_f32 v94, |v93|, v94, |v93|
; %bb.25:                               ;   in Loop: Header=BB394_9 Depth=1
	s_or_b64 exec, exec, s[14:15]
	v_bfi_b32 v80, s41, v92, v80
	v_cvt_f32_f16_sdwa v92, v73 dst_sel:DWORD dst_unused:UNUSED_PAD src0_sel:WORD_1
	v_cvt_f32_f16_e32 v73, v73
	v_mul_f32_e32 v72, 0.5, v72
	v_add_f32_e32 v80, 1.0, v80
	v_mul_f32_e32 v72, v72, v80
	v_add_f32_e32 v90, v90, v73
	v_mul_f32_e32 v73, 0.5, v81
	v_cvt_f32_f16_e32 v81, v82
	v_bfi_b32 v80, s41, v94, v93
	v_add_f32_e32 v80, 1.0, v80
	v_mul_f32_e32 v73, v73, v80
	v_add_f32_e32 v80, v84, v81
	v_mul_f32_e32 v81, 0x3f3504f3, v80
	v_cmp_nlt_f32_e64 s[14:15], |v81|, 1.0
	v_add_f32_e32 v91, v91, v92
	;;#ASMSTART
	v_pk_mul_f32 v[72:73], v[72:73], v[90:91]
	;;#ASMEND
                                        ; implicit-def: $vgpr84
	s_and_saveexec_b64 s[42:43], s[14:15]
	s_xor_b64 s[14:15], exec, s[42:43]
	s_cbranch_execz .LBB394_27
; %bb.26:                               ;   in Loop: Header=BB394_9 Depth=1
	v_fma_f32 v84, |v81|, s31, v99
	v_fma_f32 v84, |v81|, v84, s33
	;; [unrolled: 1-line block ×6, first 2 shown]
	v_fma_f32 v84, |v81|, v84, |v81|
	v_mul_f32_e32 v90, 0xbfb8aa3b, v84
	v_fma_f32 v91, v84, s38, -v90
	v_rndne_f32_e32 v92, v90
	v_fmac_f32_e32 v91, 0xb2a5705f, v84
	v_sub_f32_e32 v90, v90, v92
	v_add_f32_e32 v90, v90, v91
	v_cvt_i32_f32_e32 v91, v92
	v_exp_f32_e32 v90, v90
	v_cmp_nlt_f32_e32 vcc, s39, v84
	v_ldexp_f32 v90, v90, v91
	s_nop 0
	v_cndmask_b32_e32 v90, 0, v90, vcc
	v_cmp_ngt_f32_e32 vcc, s40, v84
	s_nop 1
	v_cndmask_b32_e32 v84, v100, v90, vcc
	v_sub_f32_e32 v84, 1.0, v84
.LBB394_27:                             ;   in Loop: Header=BB394_9 Depth=1
	s_andn2_saveexec_b64 s[14:15], s[14:15]
; %bb.28:                               ;   in Loop: Header=BB394_9 Depth=1
	v_mul_f32_e32 v84, v81, v81
	v_fmamk_f32 v90, v84, 0xba1345e1, v98
	v_fmaak_f32 v90, v84, v90, 0xbcdac9b8
	v_fmaak_f32 v90, v84, v90, 0x3de703be
	;; [unrolled: 1-line block ×4, first 2 shown]
	v_fma_f32 v84, |v81|, v84, |v81|
; %bb.29:                               ;   in Loop: Header=BB394_9 Depth=1
	s_or_b64 exec, exec, s[14:15]
	v_cvt_f32_f16_sdwa v82, v82 dst_sel:DWORD dst_unused:UNUSED_PAD src0_sel:WORD_1
                                        ; implicit-def: $vgpr90
	v_add_f32_e32 v82, v85, v82
	v_mul_f32_e32 v85, 0x3f3504f3, v82
	v_cmp_nlt_f32_e64 s[14:15], |v85|, 1.0
	s_and_saveexec_b64 s[42:43], s[14:15]
	s_xor_b64 s[14:15], exec, s[42:43]
	s_cbranch_execz .LBB394_31
; %bb.30:                               ;   in Loop: Header=BB394_9 Depth=1
	v_fma_f32 v90, |v85|, s31, v99
	v_fma_f32 v90, |v85|, v90, s33
	;; [unrolled: 1-line block ×6, first 2 shown]
	v_fma_f32 v90, |v85|, v90, |v85|
	v_mul_f32_e32 v91, 0xbfb8aa3b, v90
	v_fma_f32 v92, v90, s38, -v91
	v_rndne_f32_e32 v93, v91
	v_fmac_f32_e32 v92, 0xb2a5705f, v90
	v_sub_f32_e32 v91, v91, v93
	v_add_f32_e32 v91, v91, v92
	v_cvt_i32_f32_e32 v92, v93
	v_exp_f32_e32 v91, v91
	v_cmp_nlt_f32_e32 vcc, s39, v90
	v_ldexp_f32 v91, v91, v92
	s_nop 0
	v_cndmask_b32_e32 v91, 0, v91, vcc
	v_cmp_ngt_f32_e32 vcc, s40, v90
	s_nop 1
	v_cndmask_b32_e32 v90, v100, v91, vcc
	v_sub_f32_e32 v90, 1.0, v90
.LBB394_31:                             ;   in Loop: Header=BB394_9 Depth=1
	s_andn2_saveexec_b64 s[14:15], s[14:15]
; %bb.32:                               ;   in Loop: Header=BB394_9 Depth=1
	v_mul_f32_e32 v90, v85, v85
	v_fmamk_f32 v91, v90, 0xba1345e1, v98
	v_fmaak_f32 v91, v90, v91, 0xbcdac9b8
	v_fmaak_f32 v91, v90, v91, 0x3de703be
	;; [unrolled: 1-line block ×4, first 2 shown]
	v_fma_f32 v90, |v85|, v90, |v85|
; %bb.33:                               ;   in Loop: Header=BB394_9 Depth=1
	s_or_b64 exec, exec, s[14:15]
	v_bfi_b32 v81, s41, v84, v81
	v_cvt_f32_f16_sdwa v84, v74 dst_sel:DWORD dst_unused:UNUSED_PAD src0_sel:WORD_1
	v_cvt_f32_f16_e32 v74, v74
	v_mul_f32_e32 v80, 0.5, v80
	v_add_f32_e32 v81, 1.0, v81
	v_mul_f32_e32 v80, v80, v81
	s_waitcnt vmcnt(6)
	v_add_f32_e32 v76, v76, v74
	v_mul_f32_e32 v74, 0.5, v82
	v_cvt_f32_f16_e32 v82, v83
	v_bfi_b32 v81, s41, v90, v85
	v_add_f32_e32 v81, 1.0, v81
	v_add_f32_e32 v77, v77, v84
	v_mul_f32_e32 v81, v74, v81
	v_add_f32_e32 v74, v86, v82
	;;#ASMSTART
	v_pk_mul_f32 v[76:77], v[80:81], v[76:77]
	;;#ASMEND
	v_mul_f32_e32 v80, 0x3f3504f3, v74
	v_cmp_nlt_f32_e64 s[14:15], |v80|, 1.0
                                        ; implicit-def: $vgpr81
	s_and_saveexec_b64 s[42:43], s[14:15]
	s_xor_b64 s[14:15], exec, s[42:43]
	s_cbranch_execz .LBB394_35
; %bb.34:                               ;   in Loop: Header=BB394_9 Depth=1
	v_fma_f32 v81, |v80|, s31, v99
	v_fma_f32 v81, |v80|, v81, s33
	;; [unrolled: 1-line block ×6, first 2 shown]
	v_fma_f32 v81, |v80|, v81, |v80|
	v_mul_f32_e32 v82, 0xbfb8aa3b, v81
	v_fma_f32 v84, v81, s38, -v82
	v_rndne_f32_e32 v85, v82
	v_fmac_f32_e32 v84, 0xb2a5705f, v81
	v_sub_f32_e32 v82, v82, v85
	v_add_f32_e32 v82, v82, v84
	v_cvt_i32_f32_e32 v84, v85
	v_exp_f32_e32 v82, v82
	v_cmp_nlt_f32_e32 vcc, s39, v81
	v_ldexp_f32 v82, v82, v84
	s_nop 0
	v_cndmask_b32_e32 v82, 0, v82, vcc
	v_cmp_ngt_f32_e32 vcc, s40, v81
	s_nop 1
	v_cndmask_b32_e32 v81, v100, v82, vcc
	v_sub_f32_e32 v81, 1.0, v81
.LBB394_35:                             ;   in Loop: Header=BB394_9 Depth=1
	s_andn2_saveexec_b64 s[14:15], s[14:15]
; %bb.36:                               ;   in Loop: Header=BB394_9 Depth=1
	v_mul_f32_e32 v81, v80, v80
	v_fmamk_f32 v82, v81, 0xba1345e1, v98
	v_fmaak_f32 v82, v81, v82, 0xbcdac9b8
	v_fmaak_f32 v82, v81, v82, 0x3de703be
	;; [unrolled: 1-line block ×4, first 2 shown]
	v_fma_f32 v81, |v80|, v81, |v80|
; %bb.37:                               ;   in Loop: Header=BB394_9 Depth=1
	s_or_b64 exec, exec, s[14:15]
	v_cvt_f32_f16_sdwa v82, v83 dst_sel:DWORD dst_unused:UNUSED_PAD src0_sel:WORD_1
                                        ; implicit-def: $vgpr84
	v_add_f32_e32 v82, v87, v82
	v_mul_f32_e32 v83, 0x3f3504f3, v82
	v_cmp_nlt_f32_e64 s[14:15], |v83|, 1.0
	s_and_saveexec_b64 s[42:43], s[14:15]
	s_xor_b64 s[14:15], exec, s[42:43]
	s_cbranch_execz .LBB394_39
; %bb.38:                               ;   in Loop: Header=BB394_9 Depth=1
	v_fma_f32 v84, |v83|, s31, v99
	v_fma_f32 v84, |v83|, v84, s33
	;; [unrolled: 1-line block ×6, first 2 shown]
	v_fma_f32 v84, |v83|, v84, |v83|
	v_mul_f32_e32 v85, 0xbfb8aa3b, v84
	v_fma_f32 v86, v84, s38, -v85
	v_rndne_f32_e32 v87, v85
	v_fmac_f32_e32 v86, 0xb2a5705f, v84
	v_sub_f32_e32 v85, v85, v87
	v_add_f32_e32 v85, v85, v86
	v_cvt_i32_f32_e32 v86, v87
	v_exp_f32_e32 v85, v85
	v_cmp_nlt_f32_e32 vcc, s39, v84
	v_ldexp_f32 v85, v85, v86
	s_nop 0
	v_cndmask_b32_e32 v85, 0, v85, vcc
	v_cmp_ngt_f32_e32 vcc, s40, v84
	s_nop 1
	v_cndmask_b32_e32 v84, v100, v85, vcc
	v_sub_f32_e32 v84, 1.0, v84
.LBB394_39:                             ;   in Loop: Header=BB394_9 Depth=1
	s_andn2_saveexec_b64 s[14:15], s[14:15]
; %bb.40:                               ;   in Loop: Header=BB394_9 Depth=1
	v_mul_f32_e32 v84, v83, v83
	v_fmamk_f32 v85, v84, 0xba1345e1, v98
	v_fmaak_f32 v85, v84, v85, 0xbcdac9b8
	v_fmaak_f32 v85, v84, v85, 0x3de703be
	;; [unrolled: 1-line block ×4, first 2 shown]
	v_fma_f32 v84, |v83|, v84, |v83|
; %bb.41:                               ;   in Loop: Header=BB394_9 Depth=1
	s_or_b64 exec, exec, s[14:15]
	v_bfi_b32 v80, s41, v81, v80
	v_cvt_f32_f16_sdwa v81, v75 dst_sel:DWORD dst_unused:UNUSED_PAD src0_sel:WORD_1
	v_cvt_f32_f16_e32 v75, v75
	v_mul_f32_e32 v74, 0.5, v74
	v_add_f32_e32 v80, 1.0, v80
	v_add_f32_e32 v79, v79, v81
	v_cvt_f32_f16_e32 v81, v56
	v_mul_f32_e32 v74, v74, v80
	v_bfi_b32 v80, s41, v84, v83
	v_add_f32_e32 v78, v78, v75
	v_mul_f32_e32 v75, 0.5, v82
	v_add_f32_e32 v80, 1.0, v80
	v_mul_f32_e32 v75, v75, v80
	v_add_f32_e32 v68, v68, v81
	;;#ASMSTART
	v_pk_mul_f32 v[74:75], v[74:75], v[78:79]
	;;#ASMEND
	v_mul_f32_e32 v78, 0x3f3504f3, v68
	v_cmp_nlt_f32_e64 s[14:15], |v78|, 1.0
                                        ; implicit-def: $vgpr79
	s_and_saveexec_b64 s[42:43], s[14:15]
	s_xor_b64 s[14:15], exec, s[42:43]
	s_cbranch_execz .LBB394_43
; %bb.42:                               ;   in Loop: Header=BB394_9 Depth=1
	v_fma_f32 v79, |v78|, s31, v99
	v_fma_f32 v79, |v78|, v79, s33
	v_fma_f32 v79, |v78|, v79, s34
	v_fma_f32 v79, |v78|, v79, s35
	v_fma_f32 v79, |v78|, v79, s36
	v_fma_f32 v79, |v78|, v79, s37
	v_fma_f32 v79, |v78|, v79, |v78|
	v_mul_f32_e32 v80, 0xbfb8aa3b, v79
	v_fma_f32 v81, v79, s38, -v80
	v_rndne_f32_e32 v82, v80
	v_fmac_f32_e32 v81, 0xb2a5705f, v79
	v_sub_f32_e32 v80, v80, v82
	v_add_f32_e32 v80, v80, v81
	v_cvt_i32_f32_e32 v81, v82
	v_exp_f32_e32 v80, v80
	v_cmp_nlt_f32_e32 vcc, s39, v79
	v_ldexp_f32 v80, v80, v81
	s_nop 0
	v_cndmask_b32_e32 v80, 0, v80, vcc
	v_cmp_ngt_f32_e32 vcc, s40, v79
	s_nop 1
	v_cndmask_b32_e32 v79, v100, v80, vcc
	v_sub_f32_e32 v79, 1.0, v79
.LBB394_43:                             ;   in Loop: Header=BB394_9 Depth=1
	s_andn2_saveexec_b64 s[14:15], s[14:15]
; %bb.44:                               ;   in Loop: Header=BB394_9 Depth=1
	v_mul_f32_e32 v79, v78, v78
	v_fmamk_f32 v80, v79, 0xba1345e1, v98
	v_fmaak_f32 v80, v79, v80, 0xbcdac9b8
	v_fmaak_f32 v80, v79, v80, 0x3de703be
	;; [unrolled: 1-line block ×4, first 2 shown]
	v_fma_f32 v79, |v78|, v79, |v78|
; %bb.45:                               ;   in Loop: Header=BB394_9 Depth=1
	s_or_b64 exec, exec, s[14:15]
	v_cvt_f32_f16_sdwa v56, v56 dst_sel:DWORD dst_unused:UNUSED_PAD src0_sel:WORD_1
                                        ; implicit-def: $vgpr80
	v_add_f32_e32 v56, v69, v56
	v_mul_f32_e32 v69, 0x3f3504f3, v56
	v_cmp_nlt_f32_e64 s[14:15], |v69|, 1.0
	s_and_saveexec_b64 s[42:43], s[14:15]
	s_xor_b64 s[14:15], exec, s[42:43]
	s_cbranch_execz .LBB394_47
; %bb.46:                               ;   in Loop: Header=BB394_9 Depth=1
	v_fma_f32 v80, |v69|, s31, v99
	v_fma_f32 v80, |v69|, v80, s33
	;; [unrolled: 1-line block ×6, first 2 shown]
	v_fma_f32 v80, |v69|, v80, |v69|
	v_mul_f32_e32 v81, 0xbfb8aa3b, v80
	v_fma_f32 v82, v80, s38, -v81
	v_rndne_f32_e32 v83, v81
	v_fmac_f32_e32 v82, 0xb2a5705f, v80
	v_sub_f32_e32 v81, v81, v83
	v_add_f32_e32 v81, v81, v82
	v_cvt_i32_f32_e32 v82, v83
	v_exp_f32_e32 v81, v81
	v_cmp_nlt_f32_e32 vcc, s39, v80
	v_ldexp_f32 v81, v81, v82
	s_nop 0
	v_cndmask_b32_e32 v81, 0, v81, vcc
	v_cmp_ngt_f32_e32 vcc, s40, v80
	s_nop 1
	v_cndmask_b32_e32 v80, v100, v81, vcc
	v_sub_f32_e32 v80, 1.0, v80
.LBB394_47:                             ;   in Loop: Header=BB394_9 Depth=1
	s_andn2_saveexec_b64 s[14:15], s[14:15]
; %bb.48:                               ;   in Loop: Header=BB394_9 Depth=1
	v_mul_f32_e32 v80, v69, v69
	v_fmamk_f32 v81, v80, 0xba1345e1, v98
	v_fmaak_f32 v81, v80, v81, 0xbcdac9b8
	v_fmaak_f32 v81, v80, v81, 0x3de703be
	;; [unrolled: 1-line block ×4, first 2 shown]
	v_fma_f32 v80, |v69|, v80, |v69|
; %bb.49:                               ;   in Loop: Header=BB394_9 Depth=1
	s_or_b64 exec, exec, s[14:15]
	v_bfi_b32 v78, s41, v79, v78
	v_cvt_f32_f16_sdwa v79, v48 dst_sel:DWORD dst_unused:UNUSED_PAD src0_sel:WORD_1
	v_cvt_f32_f16_e32 v48, v48
	v_mul_f32_e32 v68, 0.5, v68
	v_add_f32_e32 v78, 1.0, v78
	v_mul_f32_e32 v68, v68, v78
	v_cvt_f32_f16_e32 v78, v57
	s_waitcnt vmcnt(5)
	v_add_f32_e32 v64, v64, v48
	v_mul_f32_e32 v48, 0.5, v56
	v_bfi_b32 v56, s41, v80, v69
	v_add_f32_e32 v56, 1.0, v56
	v_mul_f32_e32 v69, v48, v56
	v_add_f32_e32 v48, v70, v78
	v_mul_f32_e32 v56, 0x3f3504f3, v48
	v_add_f32_e32 v65, v65, v79
	v_cmp_nlt_f32_e64 s[14:15], |v56|, 1.0
	;;#ASMSTART
	v_pk_mul_f32 v[64:65], v[68:69], v[64:65]
	;;#ASMEND
                                        ; implicit-def: $vgpr68
	s_and_saveexec_b64 s[42:43], s[14:15]
	s_xor_b64 s[14:15], exec, s[42:43]
	s_cbranch_execz .LBB394_51
; %bb.50:                               ;   in Loop: Header=BB394_9 Depth=1
	v_fma_f32 v68, |v56|, s31, v99
	v_fma_f32 v68, |v56|, v68, s33
	;; [unrolled: 1-line block ×6, first 2 shown]
	v_fma_f32 v68, |v56|, v68, |v56|
	v_mul_f32_e32 v69, 0xbfb8aa3b, v68
	v_fma_f32 v70, v68, s38, -v69
	v_rndne_f32_e32 v78, v69
	v_fmac_f32_e32 v70, 0xb2a5705f, v68
	v_sub_f32_e32 v69, v69, v78
	v_add_f32_e32 v69, v69, v70
	v_cvt_i32_f32_e32 v70, v78
	v_exp_f32_e32 v69, v69
	v_cmp_nlt_f32_e32 vcc, s39, v68
	v_ldexp_f32 v69, v69, v70
	s_nop 0
	v_cndmask_b32_e32 v69, 0, v69, vcc
	v_cmp_ngt_f32_e32 vcc, s40, v68
	s_nop 1
	v_cndmask_b32_e32 v68, v100, v69, vcc
	v_sub_f32_e32 v68, 1.0, v68
.LBB394_51:                             ;   in Loop: Header=BB394_9 Depth=1
	s_andn2_saveexec_b64 s[14:15], s[14:15]
; %bb.52:                               ;   in Loop: Header=BB394_9 Depth=1
	v_mul_f32_e32 v68, v56, v56
	v_fmamk_f32 v69, v68, 0xba1345e1, v98
	v_fmaak_f32 v69, v68, v69, 0xbcdac9b8
	v_fmaak_f32 v69, v68, v69, 0x3de703be
	;; [unrolled: 1-line block ×4, first 2 shown]
	v_fma_f32 v68, |v56|, v68, |v56|
; %bb.53:                               ;   in Loop: Header=BB394_9 Depth=1
	s_or_b64 exec, exec, s[14:15]
	v_cvt_f32_f16_sdwa v57, v57 dst_sel:DWORD dst_unused:UNUSED_PAD src0_sel:WORD_1
                                        ; implicit-def: $vgpr70
	v_add_f32_e32 v57, v71, v57
	v_mul_f32_e32 v69, 0x3f3504f3, v57
	v_cmp_nlt_f32_e64 s[14:15], |v69|, 1.0
	s_and_saveexec_b64 s[42:43], s[14:15]
	s_xor_b64 s[14:15], exec, s[42:43]
	s_cbranch_execz .LBB394_55
; %bb.54:                               ;   in Loop: Header=BB394_9 Depth=1
	v_fma_f32 v70, |v69|, s31, v99
	v_fma_f32 v70, |v69|, v70, s33
	;; [unrolled: 1-line block ×6, first 2 shown]
	v_fma_f32 v70, |v69|, v70, |v69|
	v_mul_f32_e32 v71, 0xbfb8aa3b, v70
	v_fma_f32 v78, v70, s38, -v71
	v_rndne_f32_e32 v79, v71
	v_fmac_f32_e32 v78, 0xb2a5705f, v70
	v_sub_f32_e32 v71, v71, v79
	v_add_f32_e32 v71, v71, v78
	v_cvt_i32_f32_e32 v78, v79
	v_exp_f32_e32 v71, v71
	v_cmp_nlt_f32_e32 vcc, s39, v70
	v_ldexp_f32 v71, v71, v78
	s_nop 0
	v_cndmask_b32_e32 v71, 0, v71, vcc
	v_cmp_ngt_f32_e32 vcc, s40, v70
	s_nop 1
	v_cndmask_b32_e32 v70, v100, v71, vcc
	v_sub_f32_e32 v70, 1.0, v70
.LBB394_55:                             ;   in Loop: Header=BB394_9 Depth=1
	s_andn2_saveexec_b64 s[14:15], s[14:15]
; %bb.56:                               ;   in Loop: Header=BB394_9 Depth=1
	v_mul_f32_e32 v70, v69, v69
	v_fmamk_f32 v71, v70, 0xba1345e1, v98
	v_fmaak_f32 v71, v70, v71, 0xbcdac9b8
	v_fmaak_f32 v71, v70, v71, 0x3de703be
	;; [unrolled: 1-line block ×4, first 2 shown]
	v_fma_f32 v70, |v69|, v70, |v69|
; %bb.57:                               ;   in Loop: Header=BB394_9 Depth=1
	s_or_b64 exec, exec, s[14:15]
	v_bfi_b32 v56, s41, v68, v56
	v_cvt_f32_f16_sdwa v68, v49 dst_sel:DWORD dst_unused:UNUSED_PAD src0_sel:WORD_1
	v_cvt_f32_f16_e32 v49, v49
	v_mul_f32_e32 v48, 0.5, v48
	v_add_f32_e32 v56, 1.0, v56
	v_mul_f32_e32 v48, v48, v56
	v_add_f32_e32 v66, v66, v49
	v_mul_f32_e32 v49, 0.5, v57
	v_cvt_f32_f16_e32 v57, v58
	v_bfi_b32 v56, s41, v70, v69
	v_add_f32_e32 v56, 1.0, v56
	v_mul_f32_e32 v49, v49, v56
	v_add_f32_e32 v56, v60, v57
	v_mul_f32_e32 v57, 0x3f3504f3, v56
	v_cmp_nlt_f32_e64 s[14:15], |v57|, 1.0
	v_add_f32_e32 v67, v67, v68
	;;#ASMSTART
	v_pk_mul_f32 v[48:49], v[48:49], v[66:67]
	;;#ASMEND
                                        ; implicit-def: $vgpr60
	s_and_saveexec_b64 s[42:43], s[14:15]
	s_xor_b64 s[14:15], exec, s[42:43]
	s_cbranch_execz .LBB394_59
; %bb.58:                               ;   in Loop: Header=BB394_9 Depth=1
	v_fma_f32 v60, |v57|, s31, v99
	v_fma_f32 v60, |v57|, v60, s33
	;; [unrolled: 1-line block ×6, first 2 shown]
	v_fma_f32 v60, |v57|, v60, |v57|
	v_mul_f32_e32 v66, 0xbfb8aa3b, v60
	v_fma_f32 v67, v60, s38, -v66
	v_rndne_f32_e32 v68, v66
	v_fmac_f32_e32 v67, 0xb2a5705f, v60
	v_sub_f32_e32 v66, v66, v68
	v_add_f32_e32 v66, v66, v67
	v_cvt_i32_f32_e32 v67, v68
	v_exp_f32_e32 v66, v66
	v_cmp_nlt_f32_e32 vcc, s39, v60
	v_ldexp_f32 v66, v66, v67
	s_nop 0
	v_cndmask_b32_e32 v66, 0, v66, vcc
	v_cmp_ngt_f32_e32 vcc, s40, v60
	s_nop 1
	v_cndmask_b32_e32 v60, v100, v66, vcc
	v_sub_f32_e32 v60, 1.0, v60
.LBB394_59:                             ;   in Loop: Header=BB394_9 Depth=1
	s_andn2_saveexec_b64 s[14:15], s[14:15]
; %bb.60:                               ;   in Loop: Header=BB394_9 Depth=1
	v_mul_f32_e32 v60, v57, v57
	v_fmamk_f32 v66, v60, 0xba1345e1, v98
	v_fmaak_f32 v66, v60, v66, 0xbcdac9b8
	v_fmaak_f32 v66, v60, v66, 0x3de703be
	;; [unrolled: 1-line block ×4, first 2 shown]
	v_fma_f32 v60, |v57|, v60, |v57|
; %bb.61:                               ;   in Loop: Header=BB394_9 Depth=1
	s_or_b64 exec, exec, s[14:15]
	v_cvt_f32_f16_sdwa v58, v58 dst_sel:DWORD dst_unused:UNUSED_PAD src0_sel:WORD_1
                                        ; implicit-def: $vgpr66
	v_add_f32_e32 v58, v61, v58
	v_mul_f32_e32 v61, 0x3f3504f3, v58
	v_cmp_nlt_f32_e64 s[14:15], |v61|, 1.0
	s_and_saveexec_b64 s[42:43], s[14:15]
	s_xor_b64 s[14:15], exec, s[42:43]
	s_cbranch_execz .LBB394_63
; %bb.62:                               ;   in Loop: Header=BB394_9 Depth=1
	v_fma_f32 v66, |v61|, s31, v99
	v_fma_f32 v66, |v61|, v66, s33
	;; [unrolled: 1-line block ×6, first 2 shown]
	v_fma_f32 v66, |v61|, v66, |v61|
	v_mul_f32_e32 v67, 0xbfb8aa3b, v66
	v_fma_f32 v68, v66, s38, -v67
	v_rndne_f32_e32 v69, v67
	v_fmac_f32_e32 v68, 0xb2a5705f, v66
	v_sub_f32_e32 v67, v67, v69
	v_add_f32_e32 v67, v67, v68
	v_cvt_i32_f32_e32 v68, v69
	v_exp_f32_e32 v67, v67
	v_cmp_nlt_f32_e32 vcc, s39, v66
	v_ldexp_f32 v67, v67, v68
	s_nop 0
	v_cndmask_b32_e32 v67, 0, v67, vcc
	v_cmp_ngt_f32_e32 vcc, s40, v66
	s_nop 1
	v_cndmask_b32_e32 v66, v100, v67, vcc
	v_sub_f32_e32 v66, 1.0, v66
.LBB394_63:                             ;   in Loop: Header=BB394_9 Depth=1
	s_andn2_saveexec_b64 s[14:15], s[14:15]
; %bb.64:                               ;   in Loop: Header=BB394_9 Depth=1
	v_mul_f32_e32 v66, v61, v61
	v_fmamk_f32 v67, v66, 0xba1345e1, v98
	v_fmaak_f32 v67, v66, v67, 0xbcdac9b8
	v_fmaak_f32 v67, v66, v67, 0x3de703be
	;; [unrolled: 1-line block ×4, first 2 shown]
	v_fma_f32 v66, |v61|, v66, |v61|
; %bb.65:                               ;   in Loop: Header=BB394_9 Depth=1
	s_or_b64 exec, exec, s[14:15]
	v_bfi_b32 v57, s41, v60, v57
	v_cvt_f32_f16_sdwa v60, v50 dst_sel:DWORD dst_unused:UNUSED_PAD src0_sel:WORD_1
	v_cvt_f32_f16_e32 v50, v50
	v_mul_f32_e32 v56, 0.5, v56
	v_add_f32_e32 v57, 1.0, v57
	v_mul_f32_e32 v56, v56, v57
	s_waitcnt vmcnt(4)
	v_add_f32_e32 v52, v52, v50
	v_mul_f32_e32 v50, 0.5, v58
	v_cvt_f32_f16_e32 v58, v59
	v_bfi_b32 v57, s41, v66, v61
	v_add_f32_e32 v57, 1.0, v57
	v_add_f32_e32 v53, v53, v60
	v_mul_f32_e32 v57, v50, v57
	v_add_f32_e32 v50, v62, v58
	;;#ASMSTART
	v_pk_mul_f32 v[52:53], v[56:57], v[52:53]
	;;#ASMEND
	v_mul_f32_e32 v56, 0x3f3504f3, v50
	v_cmp_nlt_f32_e64 s[14:15], |v56|, 1.0
                                        ; implicit-def: $vgpr57
	s_and_saveexec_b64 s[42:43], s[14:15]
	s_xor_b64 s[14:15], exec, s[42:43]
	s_cbranch_execz .LBB394_67
; %bb.66:                               ;   in Loop: Header=BB394_9 Depth=1
	v_fma_f32 v57, |v56|, s31, v99
	v_fma_f32 v57, |v56|, v57, s33
	;; [unrolled: 1-line block ×6, first 2 shown]
	v_fma_f32 v57, |v56|, v57, |v56|
	v_mul_f32_e32 v58, 0xbfb8aa3b, v57
	v_fma_f32 v60, v57, s38, -v58
	v_rndne_f32_e32 v61, v58
	v_fmac_f32_e32 v60, 0xb2a5705f, v57
	v_sub_f32_e32 v58, v58, v61
	v_add_f32_e32 v58, v58, v60
	v_cvt_i32_f32_e32 v60, v61
	v_exp_f32_e32 v58, v58
	v_cmp_nlt_f32_e32 vcc, s39, v57
	v_ldexp_f32 v58, v58, v60
	s_nop 0
	v_cndmask_b32_e32 v58, 0, v58, vcc
	v_cmp_ngt_f32_e32 vcc, s40, v57
	s_nop 1
	v_cndmask_b32_e32 v57, v100, v58, vcc
	v_sub_f32_e32 v57, 1.0, v57
.LBB394_67:                             ;   in Loop: Header=BB394_9 Depth=1
	s_andn2_saveexec_b64 s[14:15], s[14:15]
; %bb.68:                               ;   in Loop: Header=BB394_9 Depth=1
	v_mul_f32_e32 v57, v56, v56
	v_fmamk_f32 v58, v57, 0xba1345e1, v98
	v_fmaak_f32 v58, v57, v58, 0xbcdac9b8
	v_fmaak_f32 v58, v57, v58, 0x3de703be
	;; [unrolled: 1-line block ×4, first 2 shown]
	v_fma_f32 v57, |v56|, v57, |v56|
; %bb.69:                               ;   in Loop: Header=BB394_9 Depth=1
	s_or_b64 exec, exec, s[14:15]
	v_cvt_f32_f16_sdwa v58, v59 dst_sel:DWORD dst_unused:UNUSED_PAD src0_sel:WORD_1
                                        ; implicit-def: $vgpr60
	v_add_f32_e32 v58, v63, v58
	v_mul_f32_e32 v59, 0x3f3504f3, v58
	v_cmp_nlt_f32_e64 s[14:15], |v59|, 1.0
	s_and_saveexec_b64 s[42:43], s[14:15]
	s_xor_b64 s[14:15], exec, s[42:43]
	s_cbranch_execz .LBB394_71
; %bb.70:                               ;   in Loop: Header=BB394_9 Depth=1
	v_fma_f32 v60, |v59|, s31, v99
	v_fma_f32 v60, |v59|, v60, s33
	;; [unrolled: 1-line block ×6, first 2 shown]
	v_fma_f32 v60, |v59|, v60, |v59|
	v_mul_f32_e32 v61, 0xbfb8aa3b, v60
	v_fma_f32 v62, v60, s38, -v61
	v_rndne_f32_e32 v63, v61
	v_fmac_f32_e32 v62, 0xb2a5705f, v60
	v_sub_f32_e32 v61, v61, v63
	v_add_f32_e32 v61, v61, v62
	v_cvt_i32_f32_e32 v62, v63
	v_exp_f32_e32 v61, v61
	v_cmp_nlt_f32_e32 vcc, s39, v60
	v_ldexp_f32 v61, v61, v62
	s_nop 0
	v_cndmask_b32_e32 v61, 0, v61, vcc
	v_cmp_ngt_f32_e32 vcc, s40, v60
	s_nop 1
	v_cndmask_b32_e32 v60, v100, v61, vcc
	v_sub_f32_e32 v60, 1.0, v60
.LBB394_71:                             ;   in Loop: Header=BB394_9 Depth=1
	s_andn2_saveexec_b64 s[14:15], s[14:15]
; %bb.72:                               ;   in Loop: Header=BB394_9 Depth=1
	v_mul_f32_e32 v60, v59, v59
	v_fmamk_f32 v61, v60, 0xba1345e1, v98
	v_fmaak_f32 v61, v60, v61, 0xbcdac9b8
	v_fmaak_f32 v61, v60, v61, 0x3de703be
	;; [unrolled: 1-line block ×4, first 2 shown]
	v_fma_f32 v60, |v59|, v60, |v59|
; %bb.73:                               ;   in Loop: Header=BB394_9 Depth=1
	s_or_b64 exec, exec, s[14:15]
	v_bfi_b32 v56, s41, v57, v56
	v_cvt_f32_f16_sdwa v57, v51 dst_sel:DWORD dst_unused:UNUSED_PAD src0_sel:WORD_1
	v_cvt_f32_f16_e32 v51, v51
	v_mul_f32_e32 v50, 0.5, v50
	v_add_f32_e32 v56, 1.0, v56
	v_add_f32_e32 v55, v55, v57
	v_cvt_f32_f16_e32 v57, v32
	v_mul_f32_e32 v50, v50, v56
	v_bfi_b32 v56, s41, v60, v59
	v_add_f32_e32 v54, v54, v51
	v_mul_f32_e32 v51, 0.5, v58
	v_add_f32_e32 v56, 1.0, v56
	v_mul_f32_e32 v51, v51, v56
	v_add_f32_e32 v44, v44, v57
	;;#ASMSTART
	v_pk_mul_f32 v[50:51], v[50:51], v[54:55]
	;;#ASMEND
	v_mul_f32_e32 v54, 0x3f3504f3, v44
	v_cmp_nlt_f32_e64 s[14:15], |v54|, 1.0
                                        ; implicit-def: $vgpr55
	s_and_saveexec_b64 s[42:43], s[14:15]
	s_xor_b64 s[14:15], exec, s[42:43]
	s_cbranch_execz .LBB394_75
; %bb.74:                               ;   in Loop: Header=BB394_9 Depth=1
	v_fma_f32 v55, |v54|, s31, v99
	v_fma_f32 v55, |v54|, v55, s33
	;; [unrolled: 1-line block ×6, first 2 shown]
	v_fma_f32 v55, |v54|, v55, |v54|
	v_mul_f32_e32 v56, 0xbfb8aa3b, v55
	v_fma_f32 v57, v55, s38, -v56
	v_rndne_f32_e32 v58, v56
	v_fmac_f32_e32 v57, 0xb2a5705f, v55
	v_sub_f32_e32 v56, v56, v58
	v_add_f32_e32 v56, v56, v57
	v_cvt_i32_f32_e32 v57, v58
	v_exp_f32_e32 v56, v56
	v_cmp_nlt_f32_e32 vcc, s39, v55
	v_ldexp_f32 v56, v56, v57
	s_nop 0
	v_cndmask_b32_e32 v56, 0, v56, vcc
	v_cmp_ngt_f32_e32 vcc, s40, v55
	s_nop 1
	v_cndmask_b32_e32 v55, v100, v56, vcc
	v_sub_f32_e32 v55, 1.0, v55
.LBB394_75:                             ;   in Loop: Header=BB394_9 Depth=1
	s_andn2_saveexec_b64 s[14:15], s[14:15]
; %bb.76:                               ;   in Loop: Header=BB394_9 Depth=1
	v_mul_f32_e32 v55, v54, v54
	v_fmamk_f32 v56, v55, 0xba1345e1, v98
	v_fmaak_f32 v56, v55, v56, 0xbcdac9b8
	v_fmaak_f32 v56, v55, v56, 0x3de703be
	;; [unrolled: 1-line block ×4, first 2 shown]
	v_fma_f32 v55, |v54|, v55, |v54|
; %bb.77:                               ;   in Loop: Header=BB394_9 Depth=1
	s_or_b64 exec, exec, s[14:15]
	v_cvt_f32_f16_sdwa v32, v32 dst_sel:DWORD dst_unused:UNUSED_PAD src0_sel:WORD_1
                                        ; implicit-def: $vgpr56
	v_add_f32_e32 v32, v45, v32
	v_mul_f32_e32 v45, 0x3f3504f3, v32
	v_cmp_nlt_f32_e64 s[14:15], |v45|, 1.0
	s_and_saveexec_b64 s[42:43], s[14:15]
	s_xor_b64 s[14:15], exec, s[42:43]
	s_cbranch_execz .LBB394_79
; %bb.78:                               ;   in Loop: Header=BB394_9 Depth=1
	v_fma_f32 v56, |v45|, s31, v99
	v_fma_f32 v56, |v45|, v56, s33
	;; [unrolled: 1-line block ×6, first 2 shown]
	v_fma_f32 v56, |v45|, v56, |v45|
	v_mul_f32_e32 v57, 0xbfb8aa3b, v56
	v_fma_f32 v58, v56, s38, -v57
	v_rndne_f32_e32 v59, v57
	v_fmac_f32_e32 v58, 0xb2a5705f, v56
	v_sub_f32_e32 v57, v57, v59
	v_add_f32_e32 v57, v57, v58
	v_cvt_i32_f32_e32 v58, v59
	v_exp_f32_e32 v57, v57
	v_cmp_nlt_f32_e32 vcc, s39, v56
	v_ldexp_f32 v57, v57, v58
	s_nop 0
	v_cndmask_b32_e32 v57, 0, v57, vcc
	v_cmp_ngt_f32_e32 vcc, s40, v56
	s_nop 1
	v_cndmask_b32_e32 v56, v100, v57, vcc
	v_sub_f32_e32 v56, 1.0, v56
.LBB394_79:                             ;   in Loop: Header=BB394_9 Depth=1
	s_andn2_saveexec_b64 s[14:15], s[14:15]
; %bb.80:                               ;   in Loop: Header=BB394_9 Depth=1
	v_mul_f32_e32 v56, v45, v45
	v_fmamk_f32 v57, v56, 0xba1345e1, v98
	v_fmaak_f32 v57, v56, v57, 0xbcdac9b8
	v_fmaak_f32 v57, v56, v57, 0x3de703be
	;; [unrolled: 1-line block ×4, first 2 shown]
	v_fma_f32 v56, |v45|, v56, |v45|
; %bb.81:                               ;   in Loop: Header=BB394_9 Depth=1
	s_or_b64 exec, exec, s[14:15]
	v_bfi_b32 v54, s41, v55, v54
	v_cvt_f32_f16_sdwa v55, v24 dst_sel:DWORD dst_unused:UNUSED_PAD src0_sel:WORD_1
	v_cvt_f32_f16_e32 v24, v24
	v_mul_f32_e32 v44, 0.5, v44
	v_add_f32_e32 v54, 1.0, v54
	v_mul_f32_e32 v44, v44, v54
	v_cvt_f32_f16_e32 v54, v33
	s_waitcnt vmcnt(3)
	v_add_f32_e32 v40, v40, v24
	v_mul_f32_e32 v24, 0.5, v32
	v_bfi_b32 v32, s41, v56, v45
	v_add_f32_e32 v32, 1.0, v32
	v_mul_f32_e32 v45, v24, v32
	v_add_f32_e32 v24, v46, v54
	v_mul_f32_e32 v32, 0x3f3504f3, v24
	v_add_f32_e32 v41, v41, v55
	v_cmp_nlt_f32_e64 s[14:15], |v32|, 1.0
	;;#ASMSTART
	v_pk_mul_f32 v[40:41], v[44:45], v[40:41]
	;;#ASMEND
                                        ; implicit-def: $vgpr44
	s_and_saveexec_b64 s[42:43], s[14:15]
	s_xor_b64 s[14:15], exec, s[42:43]
	s_cbranch_execz .LBB394_83
; %bb.82:                               ;   in Loop: Header=BB394_9 Depth=1
	v_fma_f32 v44, |v32|, s31, v99
	v_fma_f32 v44, |v32|, v44, s33
	;; [unrolled: 1-line block ×6, first 2 shown]
	v_fma_f32 v44, |v32|, v44, |v32|
	v_mul_f32_e32 v45, 0xbfb8aa3b, v44
	v_fma_f32 v46, v44, s38, -v45
	v_rndne_f32_e32 v54, v45
	v_fmac_f32_e32 v46, 0xb2a5705f, v44
	v_sub_f32_e32 v45, v45, v54
	v_add_f32_e32 v45, v45, v46
	v_cvt_i32_f32_e32 v46, v54
	v_exp_f32_e32 v45, v45
	v_cmp_nlt_f32_e32 vcc, s39, v44
	v_ldexp_f32 v45, v45, v46
	s_nop 0
	v_cndmask_b32_e32 v45, 0, v45, vcc
	v_cmp_ngt_f32_e32 vcc, s40, v44
	s_nop 1
	v_cndmask_b32_e32 v44, v100, v45, vcc
	v_sub_f32_e32 v44, 1.0, v44
.LBB394_83:                             ;   in Loop: Header=BB394_9 Depth=1
	s_andn2_saveexec_b64 s[14:15], s[14:15]
; %bb.84:                               ;   in Loop: Header=BB394_9 Depth=1
	v_mul_f32_e32 v44, v32, v32
	v_fmamk_f32 v45, v44, 0xba1345e1, v98
	v_fmaak_f32 v45, v44, v45, 0xbcdac9b8
	v_fmaak_f32 v45, v44, v45, 0x3de703be
	v_fmaak_f32 v45, v44, v45, 0xbec09330
	v_fmaak_f32 v44, v44, v45, 0x3e0375d0
	v_fma_f32 v44, |v32|, v44, |v32|
; %bb.85:                               ;   in Loop: Header=BB394_9 Depth=1
	s_or_b64 exec, exec, s[14:15]
	v_cvt_f32_f16_sdwa v33, v33 dst_sel:DWORD dst_unused:UNUSED_PAD src0_sel:WORD_1
                                        ; implicit-def: $vgpr46
	v_add_f32_e32 v33, v47, v33
	v_mul_f32_e32 v45, 0x3f3504f3, v33
	v_cmp_nlt_f32_e64 s[14:15], |v45|, 1.0
	s_and_saveexec_b64 s[42:43], s[14:15]
	s_xor_b64 s[14:15], exec, s[42:43]
	s_cbranch_execz .LBB394_87
; %bb.86:                               ;   in Loop: Header=BB394_9 Depth=1
	v_fma_f32 v46, |v45|, s31, v99
	v_fma_f32 v46, |v45|, v46, s33
	;; [unrolled: 1-line block ×6, first 2 shown]
	v_fma_f32 v46, |v45|, v46, |v45|
	v_mul_f32_e32 v47, 0xbfb8aa3b, v46
	v_fma_f32 v54, v46, s38, -v47
	v_rndne_f32_e32 v55, v47
	v_fmac_f32_e32 v54, 0xb2a5705f, v46
	v_sub_f32_e32 v47, v47, v55
	v_add_f32_e32 v47, v47, v54
	v_cvt_i32_f32_e32 v54, v55
	v_exp_f32_e32 v47, v47
	v_cmp_nlt_f32_e32 vcc, s39, v46
	v_ldexp_f32 v47, v47, v54
	s_nop 0
	v_cndmask_b32_e32 v47, 0, v47, vcc
	v_cmp_ngt_f32_e32 vcc, s40, v46
	s_nop 1
	v_cndmask_b32_e32 v46, v100, v47, vcc
	v_sub_f32_e32 v46, 1.0, v46
.LBB394_87:                             ;   in Loop: Header=BB394_9 Depth=1
	s_andn2_saveexec_b64 s[14:15], s[14:15]
; %bb.88:                               ;   in Loop: Header=BB394_9 Depth=1
	v_mul_f32_e32 v46, v45, v45
	v_fmamk_f32 v47, v46, 0xba1345e1, v98
	v_fmaak_f32 v47, v46, v47, 0xbcdac9b8
	v_fmaak_f32 v47, v46, v47, 0x3de703be
	;; [unrolled: 1-line block ×4, first 2 shown]
	v_fma_f32 v46, |v45|, v46, |v45|
; %bb.89:                               ;   in Loop: Header=BB394_9 Depth=1
	s_or_b64 exec, exec, s[14:15]
	v_bfi_b32 v32, s41, v44, v32
	v_cvt_f32_f16_sdwa v44, v25 dst_sel:DWORD dst_unused:UNUSED_PAD src0_sel:WORD_1
	v_cvt_f32_f16_e32 v25, v25
	v_mul_f32_e32 v24, 0.5, v24
	v_add_f32_e32 v32, 1.0, v32
	v_mul_f32_e32 v24, v24, v32
	v_add_f32_e32 v42, v42, v25
	v_mul_f32_e32 v25, 0.5, v33
	v_cvt_f32_f16_e32 v33, v34
	v_bfi_b32 v32, s41, v46, v45
	v_add_f32_e32 v32, 1.0, v32
	v_mul_f32_e32 v25, v25, v32
	v_add_f32_e32 v32, v36, v33
	v_mul_f32_e32 v33, 0x3f3504f3, v32
	v_cmp_nlt_f32_e64 s[14:15], |v33|, 1.0
	v_add_f32_e32 v43, v43, v44
	;;#ASMSTART
	v_pk_mul_f32 v[24:25], v[24:25], v[42:43]
	;;#ASMEND
                                        ; implicit-def: $vgpr36
	s_and_saveexec_b64 s[42:43], s[14:15]
	s_xor_b64 s[14:15], exec, s[42:43]
	s_cbranch_execz .LBB394_91
; %bb.90:                               ;   in Loop: Header=BB394_9 Depth=1
	v_fma_f32 v36, |v33|, s31, v99
	v_fma_f32 v36, |v33|, v36, s33
	;; [unrolled: 1-line block ×6, first 2 shown]
	v_fma_f32 v36, |v33|, v36, |v33|
	v_mul_f32_e32 v42, 0xbfb8aa3b, v36
	v_fma_f32 v43, v36, s38, -v42
	v_rndne_f32_e32 v44, v42
	v_fmac_f32_e32 v43, 0xb2a5705f, v36
	v_sub_f32_e32 v42, v42, v44
	v_add_f32_e32 v42, v42, v43
	v_cvt_i32_f32_e32 v43, v44
	v_exp_f32_e32 v42, v42
	v_cmp_nlt_f32_e32 vcc, s39, v36
	v_ldexp_f32 v42, v42, v43
	s_nop 0
	v_cndmask_b32_e32 v42, 0, v42, vcc
	v_cmp_ngt_f32_e32 vcc, s40, v36
	s_nop 1
	v_cndmask_b32_e32 v36, v100, v42, vcc
	v_sub_f32_e32 v36, 1.0, v36
.LBB394_91:                             ;   in Loop: Header=BB394_9 Depth=1
	s_andn2_saveexec_b64 s[14:15], s[14:15]
; %bb.92:                               ;   in Loop: Header=BB394_9 Depth=1
	v_mul_f32_e32 v36, v33, v33
	v_fmamk_f32 v42, v36, 0xba1345e1, v98
	v_fmaak_f32 v42, v36, v42, 0xbcdac9b8
	v_fmaak_f32 v42, v36, v42, 0x3de703be
	v_fmaak_f32 v42, v36, v42, 0xbec09330
	v_fmaak_f32 v36, v36, v42, 0x3e0375d0
	v_fma_f32 v36, |v33|, v36, |v33|
; %bb.93:                               ;   in Loop: Header=BB394_9 Depth=1
	s_or_b64 exec, exec, s[14:15]
	v_cvt_f32_f16_sdwa v34, v34 dst_sel:DWORD dst_unused:UNUSED_PAD src0_sel:WORD_1
                                        ; implicit-def: $vgpr42
	v_add_f32_e32 v34, v37, v34
	v_mul_f32_e32 v37, 0x3f3504f3, v34
	v_cmp_nlt_f32_e64 s[14:15], |v37|, 1.0
	s_and_saveexec_b64 s[42:43], s[14:15]
	s_xor_b64 s[14:15], exec, s[42:43]
	s_cbranch_execz .LBB394_95
; %bb.94:                               ;   in Loop: Header=BB394_9 Depth=1
	v_fma_f32 v42, |v37|, s31, v99
	v_fma_f32 v42, |v37|, v42, s33
	;; [unrolled: 1-line block ×6, first 2 shown]
	v_fma_f32 v42, |v37|, v42, |v37|
	v_mul_f32_e32 v43, 0xbfb8aa3b, v42
	v_fma_f32 v44, v42, s38, -v43
	v_rndne_f32_e32 v45, v43
	v_fmac_f32_e32 v44, 0xb2a5705f, v42
	v_sub_f32_e32 v43, v43, v45
	v_add_f32_e32 v43, v43, v44
	v_cvt_i32_f32_e32 v44, v45
	v_exp_f32_e32 v43, v43
	v_cmp_nlt_f32_e32 vcc, s39, v42
	v_ldexp_f32 v43, v43, v44
	s_nop 0
	v_cndmask_b32_e32 v43, 0, v43, vcc
	v_cmp_ngt_f32_e32 vcc, s40, v42
	s_nop 1
	v_cndmask_b32_e32 v42, v100, v43, vcc
	v_sub_f32_e32 v42, 1.0, v42
.LBB394_95:                             ;   in Loop: Header=BB394_9 Depth=1
	s_andn2_saveexec_b64 s[14:15], s[14:15]
; %bb.96:                               ;   in Loop: Header=BB394_9 Depth=1
	v_mul_f32_e32 v42, v37, v37
	v_fmamk_f32 v43, v42, 0xba1345e1, v98
	v_fmaak_f32 v43, v42, v43, 0xbcdac9b8
	v_fmaak_f32 v43, v42, v43, 0x3de703be
	;; [unrolled: 1-line block ×4, first 2 shown]
	v_fma_f32 v42, |v37|, v42, |v37|
; %bb.97:                               ;   in Loop: Header=BB394_9 Depth=1
	s_or_b64 exec, exec, s[14:15]
	v_bfi_b32 v33, s41, v36, v33
	v_cvt_f32_f16_sdwa v36, v26 dst_sel:DWORD dst_unused:UNUSED_PAD src0_sel:WORD_1
	v_cvt_f32_f16_e32 v26, v26
	v_mul_f32_e32 v32, 0.5, v32
	v_add_f32_e32 v33, 1.0, v33
	v_mul_f32_e32 v32, v32, v33
	s_waitcnt vmcnt(2)
	v_add_f32_e32 v28, v28, v26
	v_mul_f32_e32 v26, 0.5, v34
	v_cvt_f32_f16_e32 v34, v35
	v_bfi_b32 v33, s41, v42, v37
	v_add_f32_e32 v33, 1.0, v33
	v_add_f32_e32 v29, v29, v36
	v_mul_f32_e32 v33, v26, v33
	v_add_f32_e32 v26, v38, v34
	;;#ASMSTART
	v_pk_mul_f32 v[28:29], v[32:33], v[28:29]
	;;#ASMEND
	v_mul_f32_e32 v32, 0x3f3504f3, v26
	v_cmp_nlt_f32_e64 s[14:15], |v32|, 1.0
                                        ; implicit-def: $vgpr33
	s_and_saveexec_b64 s[42:43], s[14:15]
	s_xor_b64 s[14:15], exec, s[42:43]
	s_cbranch_execz .LBB394_99
; %bb.98:                               ;   in Loop: Header=BB394_9 Depth=1
	v_fma_f32 v33, |v32|, s31, v99
	v_fma_f32 v33, |v32|, v33, s33
	;; [unrolled: 1-line block ×6, first 2 shown]
	v_fma_f32 v33, |v32|, v33, |v32|
	v_mul_f32_e32 v34, 0xbfb8aa3b, v33
	v_fma_f32 v36, v33, s38, -v34
	v_rndne_f32_e32 v37, v34
	v_fmac_f32_e32 v36, 0xb2a5705f, v33
	v_sub_f32_e32 v34, v34, v37
	v_add_f32_e32 v34, v34, v36
	v_cvt_i32_f32_e32 v36, v37
	v_exp_f32_e32 v34, v34
	v_cmp_nlt_f32_e32 vcc, s39, v33
	v_ldexp_f32 v34, v34, v36
	s_nop 0
	v_cndmask_b32_e32 v34, 0, v34, vcc
	v_cmp_ngt_f32_e32 vcc, s40, v33
	s_nop 1
	v_cndmask_b32_e32 v33, v100, v34, vcc
	v_sub_f32_e32 v33, 1.0, v33
.LBB394_99:                             ;   in Loop: Header=BB394_9 Depth=1
	s_andn2_saveexec_b64 s[14:15], s[14:15]
; %bb.100:                              ;   in Loop: Header=BB394_9 Depth=1
	v_mul_f32_e32 v33, v32, v32
	v_fmamk_f32 v34, v33, 0xba1345e1, v98
	v_fmaak_f32 v34, v33, v34, 0xbcdac9b8
	v_fmaak_f32 v34, v33, v34, 0x3de703be
	;; [unrolled: 1-line block ×4, first 2 shown]
	v_fma_f32 v33, |v32|, v33, |v32|
; %bb.101:                              ;   in Loop: Header=BB394_9 Depth=1
	s_or_b64 exec, exec, s[14:15]
	v_cvt_f32_f16_sdwa v34, v35 dst_sel:DWORD dst_unused:UNUSED_PAD src0_sel:WORD_1
                                        ; implicit-def: $vgpr36
	v_add_f32_e32 v34, v39, v34
	v_mul_f32_e32 v35, 0x3f3504f3, v34
	v_cmp_nlt_f32_e64 s[14:15], |v35|, 1.0
	s_and_saveexec_b64 s[42:43], s[14:15]
	s_xor_b64 s[14:15], exec, s[42:43]
	s_cbranch_execz .LBB394_103
; %bb.102:                              ;   in Loop: Header=BB394_9 Depth=1
	v_fma_f32 v36, |v35|, s31, v99
	v_fma_f32 v36, |v35|, v36, s33
	;; [unrolled: 1-line block ×6, first 2 shown]
	v_fma_f32 v36, |v35|, v36, |v35|
	v_mul_f32_e32 v37, 0xbfb8aa3b, v36
	v_fma_f32 v38, v36, s38, -v37
	v_rndne_f32_e32 v39, v37
	v_fmac_f32_e32 v38, 0xb2a5705f, v36
	v_sub_f32_e32 v37, v37, v39
	v_add_f32_e32 v37, v37, v38
	v_cvt_i32_f32_e32 v38, v39
	v_exp_f32_e32 v37, v37
	v_cmp_nlt_f32_e32 vcc, s39, v36
	v_ldexp_f32 v37, v37, v38
	s_nop 0
	v_cndmask_b32_e32 v37, 0, v37, vcc
	v_cmp_ngt_f32_e32 vcc, s40, v36
	s_nop 1
	v_cndmask_b32_e32 v36, v100, v37, vcc
	v_sub_f32_e32 v36, 1.0, v36
.LBB394_103:                            ;   in Loop: Header=BB394_9 Depth=1
	s_andn2_saveexec_b64 s[14:15], s[14:15]
; %bb.104:                              ;   in Loop: Header=BB394_9 Depth=1
	v_mul_f32_e32 v36, v35, v35
	v_fmamk_f32 v37, v36, 0xba1345e1, v98
	v_fmaak_f32 v37, v36, v37, 0xbcdac9b8
	v_fmaak_f32 v37, v36, v37, 0x3de703be
	;; [unrolled: 1-line block ×4, first 2 shown]
	v_fma_f32 v36, |v35|, v36, |v35|
; %bb.105:                              ;   in Loop: Header=BB394_9 Depth=1
	s_or_b64 exec, exec, s[14:15]
	v_bfi_b32 v32, s41, v33, v32
	v_cvt_f32_f16_sdwa v33, v27 dst_sel:DWORD dst_unused:UNUSED_PAD src0_sel:WORD_1
	v_cvt_f32_f16_e32 v27, v27
	v_mul_f32_e32 v26, 0.5, v26
	v_add_f32_e32 v32, 1.0, v32
	v_add_f32_e32 v31, v31, v33
	v_cvt_f32_f16_e32 v33, v8
	v_mul_f32_e32 v26, v26, v32
	v_bfi_b32 v32, s41, v36, v35
	v_add_f32_e32 v30, v30, v27
	v_mul_f32_e32 v27, 0.5, v34
	v_add_f32_e32 v32, 1.0, v32
	v_mul_f32_e32 v27, v27, v32
	v_add_f32_e32 v20, v20, v33
	;;#ASMSTART
	v_pk_mul_f32 v[26:27], v[26:27], v[30:31]
	;;#ASMEND
	v_mul_f32_e32 v30, 0x3f3504f3, v20
	v_cmp_nlt_f32_e64 s[14:15], |v30|, 1.0
                                        ; implicit-def: $vgpr31
	s_and_saveexec_b64 s[42:43], s[14:15]
	s_xor_b64 s[14:15], exec, s[42:43]
	s_cbranch_execz .LBB394_107
; %bb.106:                              ;   in Loop: Header=BB394_9 Depth=1
	v_fma_f32 v31, |v30|, s31, v99
	v_fma_f32 v31, |v30|, v31, s33
	;; [unrolled: 1-line block ×6, first 2 shown]
	v_fma_f32 v31, |v30|, v31, |v30|
	v_mul_f32_e32 v32, 0xbfb8aa3b, v31
	v_fma_f32 v33, v31, s38, -v32
	v_rndne_f32_e32 v34, v32
	v_fmac_f32_e32 v33, 0xb2a5705f, v31
	v_sub_f32_e32 v32, v32, v34
	v_add_f32_e32 v32, v32, v33
	v_cvt_i32_f32_e32 v33, v34
	v_exp_f32_e32 v32, v32
	v_cmp_nlt_f32_e32 vcc, s39, v31
	v_ldexp_f32 v32, v32, v33
	s_nop 0
	v_cndmask_b32_e32 v32, 0, v32, vcc
	v_cmp_ngt_f32_e32 vcc, s40, v31
	s_nop 1
	v_cndmask_b32_e32 v31, v100, v32, vcc
	v_sub_f32_e32 v31, 1.0, v31
.LBB394_107:                            ;   in Loop: Header=BB394_9 Depth=1
	s_andn2_saveexec_b64 s[14:15], s[14:15]
; %bb.108:                              ;   in Loop: Header=BB394_9 Depth=1
	v_mul_f32_e32 v31, v30, v30
	v_fmamk_f32 v32, v31, 0xba1345e1, v98
	v_fmaak_f32 v32, v31, v32, 0xbcdac9b8
	v_fmaak_f32 v32, v31, v32, 0x3de703be
	;; [unrolled: 1-line block ×4, first 2 shown]
	v_fma_f32 v31, |v30|, v31, |v30|
; %bb.109:                              ;   in Loop: Header=BB394_9 Depth=1
	s_or_b64 exec, exec, s[14:15]
	v_cvt_f32_f16_sdwa v8, v8 dst_sel:DWORD dst_unused:UNUSED_PAD src0_sel:WORD_1
                                        ; implicit-def: $vgpr32
	v_add_f32_e32 v8, v21, v8
	v_mul_f32_e32 v21, 0x3f3504f3, v8
	v_cmp_nlt_f32_e64 s[14:15], |v21|, 1.0
	s_and_saveexec_b64 s[42:43], s[14:15]
	s_xor_b64 s[14:15], exec, s[42:43]
	s_cbranch_execz .LBB394_111
; %bb.110:                              ;   in Loop: Header=BB394_9 Depth=1
	v_fma_f32 v32, |v21|, s31, v99
	v_fma_f32 v32, |v21|, v32, s33
	;; [unrolled: 1-line block ×6, first 2 shown]
	v_fma_f32 v32, |v21|, v32, |v21|
	v_mul_f32_e32 v33, 0xbfb8aa3b, v32
	v_fma_f32 v34, v32, s38, -v33
	v_rndne_f32_e32 v35, v33
	v_fmac_f32_e32 v34, 0xb2a5705f, v32
	v_sub_f32_e32 v33, v33, v35
	v_add_f32_e32 v33, v33, v34
	v_cvt_i32_f32_e32 v34, v35
	v_exp_f32_e32 v33, v33
	v_cmp_nlt_f32_e32 vcc, s39, v32
	v_ldexp_f32 v33, v33, v34
	s_nop 0
	v_cndmask_b32_e32 v33, 0, v33, vcc
	v_cmp_ngt_f32_e32 vcc, s40, v32
	s_nop 1
	v_cndmask_b32_e32 v32, v100, v33, vcc
	v_sub_f32_e32 v32, 1.0, v32
.LBB394_111:                            ;   in Loop: Header=BB394_9 Depth=1
	s_andn2_saveexec_b64 s[14:15], s[14:15]
; %bb.112:                              ;   in Loop: Header=BB394_9 Depth=1
	v_mul_f32_e32 v32, v21, v21
	v_fmamk_f32 v33, v32, 0xba1345e1, v98
	v_fmaak_f32 v33, v32, v33, 0xbcdac9b8
	v_fmaak_f32 v33, v32, v33, 0x3de703be
	;; [unrolled: 1-line block ×4, first 2 shown]
	v_fma_f32 v32, |v21|, v32, |v21|
; %bb.113:                              ;   in Loop: Header=BB394_9 Depth=1
	s_or_b64 exec, exec, s[14:15]
	v_bfi_b32 v30, s41, v31, v30
	v_cvt_f32_f16_sdwa v31, v0 dst_sel:DWORD dst_unused:UNUSED_PAD src0_sel:WORD_1
	v_cvt_f32_f16_e32 v0, v0
	v_mul_f32_e32 v20, 0.5, v20
	v_add_f32_e32 v30, 1.0, v30
	v_mul_f32_e32 v20, v20, v30
	v_cvt_f32_f16_e32 v30, v9
	s_waitcnt vmcnt(1)
	v_add_f32_e32 v16, v16, v0
	v_mul_f32_e32 v0, 0.5, v8
	v_bfi_b32 v8, s41, v32, v21
	v_add_f32_e32 v8, 1.0, v8
	v_mul_f32_e32 v21, v0, v8
	v_add_f32_e32 v0, v22, v30
	v_mul_f32_e32 v8, 0x3f3504f3, v0
	v_add_f32_e32 v17, v17, v31
	v_cmp_nlt_f32_e64 s[14:15], |v8|, 1.0
	;;#ASMSTART
	v_pk_mul_f32 v[16:17], v[20:21], v[16:17]
	;;#ASMEND
                                        ; implicit-def: $vgpr20
	s_and_saveexec_b64 s[42:43], s[14:15]
	s_xor_b64 s[14:15], exec, s[42:43]
	s_cbranch_execz .LBB394_115
; %bb.114:                              ;   in Loop: Header=BB394_9 Depth=1
	v_fma_f32 v20, |v8|, s31, v99
	v_fma_f32 v20, |v8|, v20, s33
	;; [unrolled: 1-line block ×6, first 2 shown]
	v_fma_f32 v20, |v8|, v20, |v8|
	v_mul_f32_e32 v21, 0xbfb8aa3b, v20
	v_fma_f32 v22, v20, s38, -v21
	v_rndne_f32_e32 v30, v21
	v_fmac_f32_e32 v22, 0xb2a5705f, v20
	v_sub_f32_e32 v21, v21, v30
	v_add_f32_e32 v21, v21, v22
	v_cvt_i32_f32_e32 v22, v30
	v_exp_f32_e32 v21, v21
	v_cmp_nlt_f32_e32 vcc, s39, v20
	v_ldexp_f32 v21, v21, v22
	s_nop 0
	v_cndmask_b32_e32 v21, 0, v21, vcc
	v_cmp_ngt_f32_e32 vcc, s40, v20
	s_nop 1
	v_cndmask_b32_e32 v20, v100, v21, vcc
	v_sub_f32_e32 v20, 1.0, v20
.LBB394_115:                            ;   in Loop: Header=BB394_9 Depth=1
	s_andn2_saveexec_b64 s[14:15], s[14:15]
; %bb.116:                              ;   in Loop: Header=BB394_9 Depth=1
	v_mul_f32_e32 v20, v8, v8
	v_fmamk_f32 v21, v20, 0xba1345e1, v98
	v_fmaak_f32 v21, v20, v21, 0xbcdac9b8
	v_fmaak_f32 v21, v20, v21, 0x3de703be
	;; [unrolled: 1-line block ×4, first 2 shown]
	v_fma_f32 v20, |v8|, v20, |v8|
; %bb.117:                              ;   in Loop: Header=BB394_9 Depth=1
	s_or_b64 exec, exec, s[14:15]
	v_cvt_f32_f16_sdwa v9, v9 dst_sel:DWORD dst_unused:UNUSED_PAD src0_sel:WORD_1
                                        ; implicit-def: $vgpr22
	v_add_f32_e32 v9, v23, v9
	v_mul_f32_e32 v21, 0x3f3504f3, v9
	v_cmp_nlt_f32_e64 s[14:15], |v21|, 1.0
	s_and_saveexec_b64 s[42:43], s[14:15]
	s_xor_b64 s[14:15], exec, s[42:43]
	s_cbranch_execz .LBB394_119
; %bb.118:                              ;   in Loop: Header=BB394_9 Depth=1
	v_fma_f32 v22, |v21|, s31, v99
	v_fma_f32 v22, |v21|, v22, s33
	v_fma_f32 v22, |v21|, v22, s34
	v_fma_f32 v22, |v21|, v22, s35
	v_fma_f32 v22, |v21|, v22, s36
	v_fma_f32 v22, |v21|, v22, s37
	v_fma_f32 v22, |v21|, v22, |v21|
	v_mul_f32_e32 v23, 0xbfb8aa3b, v22
	v_fma_f32 v30, v22, s38, -v23
	v_rndne_f32_e32 v31, v23
	v_fmac_f32_e32 v30, 0xb2a5705f, v22
	v_sub_f32_e32 v23, v23, v31
	v_add_f32_e32 v23, v23, v30
	v_cvt_i32_f32_e32 v30, v31
	v_exp_f32_e32 v23, v23
	v_cmp_nlt_f32_e32 vcc, s39, v22
	v_ldexp_f32 v23, v23, v30
	s_nop 0
	v_cndmask_b32_e32 v23, 0, v23, vcc
	v_cmp_ngt_f32_e32 vcc, s40, v22
	s_nop 1
	v_cndmask_b32_e32 v22, v100, v23, vcc
	v_sub_f32_e32 v22, 1.0, v22
.LBB394_119:                            ;   in Loop: Header=BB394_9 Depth=1
	s_andn2_saveexec_b64 s[14:15], s[14:15]
; %bb.120:                              ;   in Loop: Header=BB394_9 Depth=1
	v_mul_f32_e32 v22, v21, v21
	v_fmamk_f32 v23, v22, 0xba1345e1, v98
	v_fmaak_f32 v23, v22, v23, 0xbcdac9b8
	v_fmaak_f32 v23, v22, v23, 0x3de703be
	;; [unrolled: 1-line block ×4, first 2 shown]
	v_fma_f32 v22, |v21|, v22, |v21|
; %bb.121:                              ;   in Loop: Header=BB394_9 Depth=1
	s_or_b64 exec, exec, s[14:15]
	v_bfi_b32 v8, s41, v20, v8
	v_cvt_f32_f16_sdwa v20, v1 dst_sel:DWORD dst_unused:UNUSED_PAD src0_sel:WORD_1
	v_cvt_f32_f16_e32 v1, v1
	v_mul_f32_e32 v0, 0.5, v0
	v_add_f32_e32 v8, 1.0, v8
	v_mul_f32_e32 v0, v0, v8
	v_add_f32_e32 v18, v18, v1
	v_mul_f32_e32 v1, 0.5, v9
	v_cvt_f32_f16_e32 v9, v10
	v_bfi_b32 v8, s41, v22, v21
	v_add_f32_e32 v8, 1.0, v8
	v_mul_f32_e32 v1, v1, v8
	v_add_f32_e32 v8, v12, v9
	v_mul_f32_e32 v9, 0x3f3504f3, v8
	v_cmp_nlt_f32_e64 s[14:15], |v9|, 1.0
	v_add_f32_e32 v19, v19, v20
	;;#ASMSTART
	v_pk_mul_f32 v[0:1], v[0:1], v[18:19]
	;;#ASMEND
                                        ; implicit-def: $vgpr12
	s_and_saveexec_b64 s[42:43], s[14:15]
	s_xor_b64 s[14:15], exec, s[42:43]
	s_cbranch_execz .LBB394_123
; %bb.122:                              ;   in Loop: Header=BB394_9 Depth=1
	v_fma_f32 v12, |v9|, s31, v99
	v_fma_f32 v12, |v9|, v12, s33
	;; [unrolled: 1-line block ×6, first 2 shown]
	v_fma_f32 v12, |v9|, v12, |v9|
	v_mul_f32_e32 v18, 0xbfb8aa3b, v12
	v_fma_f32 v19, v12, s38, -v18
	v_rndne_f32_e32 v20, v18
	v_fmac_f32_e32 v19, 0xb2a5705f, v12
	v_sub_f32_e32 v18, v18, v20
	v_add_f32_e32 v18, v18, v19
	v_cvt_i32_f32_e32 v19, v20
	v_exp_f32_e32 v18, v18
	v_cmp_nlt_f32_e32 vcc, s39, v12
	v_ldexp_f32 v18, v18, v19
	s_nop 0
	v_cndmask_b32_e32 v18, 0, v18, vcc
	v_cmp_ngt_f32_e32 vcc, s40, v12
	s_nop 1
	v_cndmask_b32_e32 v12, v100, v18, vcc
	v_sub_f32_e32 v12, 1.0, v12
.LBB394_123:                            ;   in Loop: Header=BB394_9 Depth=1
	s_andn2_saveexec_b64 s[14:15], s[14:15]
; %bb.124:                              ;   in Loop: Header=BB394_9 Depth=1
	v_mul_f32_e32 v12, v9, v9
	v_fmamk_f32 v18, v12, 0xba1345e1, v98
	v_fmaak_f32 v18, v12, v18, 0xbcdac9b8
	v_fmaak_f32 v18, v12, v18, 0x3de703be
	;; [unrolled: 1-line block ×4, first 2 shown]
	v_fma_f32 v12, |v9|, v12, |v9|
; %bb.125:                              ;   in Loop: Header=BB394_9 Depth=1
	s_or_b64 exec, exec, s[14:15]
	v_cvt_f32_f16_sdwa v10, v10 dst_sel:DWORD dst_unused:UNUSED_PAD src0_sel:WORD_1
                                        ; implicit-def: $vgpr18
	v_add_f32_e32 v10, v13, v10
	v_mul_f32_e32 v13, 0x3f3504f3, v10
	v_cmp_nlt_f32_e64 s[14:15], |v13|, 1.0
	s_and_saveexec_b64 s[42:43], s[14:15]
	s_xor_b64 s[14:15], exec, s[42:43]
	s_cbranch_execz .LBB394_127
; %bb.126:                              ;   in Loop: Header=BB394_9 Depth=1
	v_fma_f32 v18, |v13|, s31, v99
	v_fma_f32 v18, |v13|, v18, s33
	;; [unrolled: 1-line block ×6, first 2 shown]
	v_fma_f32 v18, |v13|, v18, |v13|
	v_mul_f32_e32 v19, 0xbfb8aa3b, v18
	v_fma_f32 v20, v18, s38, -v19
	v_rndne_f32_e32 v21, v19
	v_fmac_f32_e32 v20, 0xb2a5705f, v18
	v_sub_f32_e32 v19, v19, v21
	v_add_f32_e32 v19, v19, v20
	v_cvt_i32_f32_e32 v20, v21
	v_exp_f32_e32 v19, v19
	v_cmp_nlt_f32_e32 vcc, s39, v18
	v_ldexp_f32 v19, v19, v20
	s_nop 0
	v_cndmask_b32_e32 v19, 0, v19, vcc
	v_cmp_ngt_f32_e32 vcc, s40, v18
	s_nop 1
	v_cndmask_b32_e32 v18, v100, v19, vcc
	v_sub_f32_e32 v18, 1.0, v18
.LBB394_127:                            ;   in Loop: Header=BB394_9 Depth=1
	s_andn2_saveexec_b64 s[14:15], s[14:15]
; %bb.128:                              ;   in Loop: Header=BB394_9 Depth=1
	v_mul_f32_e32 v18, v13, v13
	v_fmamk_f32 v19, v18, 0xba1345e1, v98
	v_fmaak_f32 v19, v18, v19, 0xbcdac9b8
	v_fmaak_f32 v19, v18, v19, 0x3de703be
	;; [unrolled: 1-line block ×4, first 2 shown]
	v_fma_f32 v18, |v13|, v18, |v13|
; %bb.129:                              ;   in Loop: Header=BB394_9 Depth=1
	s_or_b64 exec, exec, s[14:15]
	v_bfi_b32 v9, s41, v12, v9
	v_cvt_f32_f16_sdwa v12, v2 dst_sel:DWORD dst_unused:UNUSED_PAD src0_sel:WORD_1
	v_cvt_f32_f16_e32 v2, v2
	v_mul_f32_e32 v8, 0.5, v8
	v_add_f32_e32 v9, 1.0, v9
	v_mul_f32_e32 v8, v8, v9
	s_waitcnt vmcnt(0)
	v_add_f32_e32 v4, v4, v2
	v_mul_f32_e32 v2, 0.5, v10
	v_cvt_f32_f16_e32 v10, v11
	v_bfi_b32 v9, s41, v18, v13
	v_add_f32_e32 v5, v5, v12
	v_add_f32_e32 v9, 1.0, v9
	v_mul_f32_e32 v9, v2, v9
	;;#ASMSTART
	v_pk_mul_f32 v[4:5], v[8:9], v[4:5]
	;;#ASMEND
	v_add_f32_e32 v8, v14, v10
	v_mul_f32_e32 v2, 0x3f3504f3, v8
	v_cmp_nlt_f32_e64 s[14:15], |v2|, 1.0
                                        ; implicit-def: $vgpr12
	s_and_saveexec_b64 s[42:43], s[14:15]
	s_xor_b64 s[14:15], exec, s[42:43]
	s_cbranch_execz .LBB394_131
; %bb.130:                              ;   in Loop: Header=BB394_9 Depth=1
	v_fma_f32 v9, |v2|, s31, v99
	v_fma_f32 v9, |v2|, v9, s33
	;; [unrolled: 1-line block ×6, first 2 shown]
	v_fma_f32 v9, |v2|, v9, |v2|
	v_mul_f32_e32 v10, 0xbfb8aa3b, v9
	v_fma_f32 v12, v9, s38, -v10
	v_rndne_f32_e32 v13, v10
	v_fmac_f32_e32 v12, 0xb2a5705f, v9
	v_sub_f32_e32 v10, v10, v13
	v_add_f32_e32 v10, v10, v12
	v_cvt_i32_f32_e32 v12, v13
	v_exp_f32_e32 v10, v10
	v_cmp_nlt_f32_e32 vcc, s39, v9
	v_ldexp_f32 v10, v10, v12
	s_nop 0
	v_cndmask_b32_e32 v10, 0, v10, vcc
	v_cmp_ngt_f32_e32 vcc, s40, v9
	s_nop 1
	v_cndmask_b32_e32 v9, v100, v10, vcc
	v_sub_f32_e32 v12, 1.0, v9
.LBB394_131:                            ;   in Loop: Header=BB394_9 Depth=1
	s_andn2_saveexec_b64 s[14:15], s[14:15]
; %bb.132:                              ;   in Loop: Header=BB394_9 Depth=1
	v_mul_f32_e32 v9, v2, v2
	v_fmamk_f32 v10, v9, 0xba1345e1, v98
	v_fmaak_f32 v10, v9, v10, 0xbcdac9b8
	v_fmaak_f32 v10, v9, v10, 0x3de703be
	;; [unrolled: 1-line block ×4, first 2 shown]
	v_fma_f32 v12, |v2|, v9, |v2|
; %bb.133:                              ;   in Loop: Header=BB394_9 Depth=1
	s_or_b64 exec, exec, s[14:15]
	v_cvt_f32_f16_sdwa v9, v11 dst_sel:DWORD dst_unused:UNUSED_PAD src0_sel:WORD_1
                                        ; implicit-def: $vgpr11
	v_add_f32_e32 v9, v15, v9
	v_mul_f32_e32 v10, 0x3f3504f3, v9
	v_cmp_nlt_f32_e64 s[14:15], |v10|, 1.0
	s_and_saveexec_b64 s[42:43], s[14:15]
	s_xor_b64 s[14:15], exec, s[42:43]
	s_cbranch_execz .LBB394_135
; %bb.134:                              ;   in Loop: Header=BB394_9 Depth=1
	v_fma_f32 v11, |v10|, s31, v99
	v_fma_f32 v11, |v10|, v11, s33
	;; [unrolled: 1-line block ×6, first 2 shown]
	v_fma_f32 v11, |v10|, v11, |v10|
	v_mul_f32_e32 v13, 0xbfb8aa3b, v11
	v_fma_f32 v14, v11, s38, -v13
	v_rndne_f32_e32 v15, v13
	v_fmac_f32_e32 v14, 0xb2a5705f, v11
	v_sub_f32_e32 v13, v13, v15
	v_add_f32_e32 v13, v13, v14
	v_cvt_i32_f32_e32 v14, v15
	v_exp_f32_e32 v13, v13
	v_cmp_nlt_f32_e32 vcc, s39, v11
	v_ldexp_f32 v13, v13, v14
	s_nop 0
	v_cndmask_b32_e32 v13, 0, v13, vcc
	v_cmp_ngt_f32_e32 vcc, s40, v11
	s_nop 1
	v_cndmask_b32_e32 v11, v100, v13, vcc
	v_sub_f32_e32 v11, 1.0, v11
.LBB394_135:                            ;   in Loop: Header=BB394_9 Depth=1
	s_andn2_saveexec_b64 s[14:15], s[14:15]
	s_cbranch_execz .LBB394_8
; %bb.136:                              ;   in Loop: Header=BB394_9 Depth=1
	v_mul_f32_e32 v11, v10, v10
	v_fmamk_f32 v13, v11, 0xba1345e1, v98
	v_fmaak_f32 v13, v11, v13, 0xbcdac9b8
	v_fmaak_f32 v13, v11, v13, 0x3de703be
	;; [unrolled: 1-line block ×4, first 2 shown]
	v_fma_f32 v11, |v10|, v11, |v10|
	s_branch .LBB394_8
.LBB394_137:
	s_endpgm
	.section	.rodata,"a",@progbits
	.p2align	6, 0x0
	.amdhsa_kernel _ZN5aiter23act_and_mul_bias_kernelIDF16_DF16_afTnPFfRKT2_EXadL_ZNS_11gelu_kernelIfEEfRKT_EELi32EEEvPT0_PS8_PKT1_PS2_il
		.amdhsa_group_segment_fixed_size 0
		.amdhsa_private_segment_fixed_size 0
		.amdhsa_kernarg_size 304
		.amdhsa_user_sgpr_count 2
		.amdhsa_user_sgpr_dispatch_ptr 0
		.amdhsa_user_sgpr_queue_ptr 0
		.amdhsa_user_sgpr_kernarg_segment_ptr 1
		.amdhsa_user_sgpr_dispatch_id 0
		.amdhsa_user_sgpr_kernarg_preload_length 0
		.amdhsa_user_sgpr_kernarg_preload_offset 0
		.amdhsa_user_sgpr_private_segment_size 0
		.amdhsa_uses_dynamic_stack 0
		.amdhsa_enable_private_segment 0
		.amdhsa_system_sgpr_workgroup_id_x 1
		.amdhsa_system_sgpr_workgroup_id_y 0
		.amdhsa_system_sgpr_workgroup_id_z 0
		.amdhsa_system_sgpr_workgroup_info 0
		.amdhsa_system_vgpr_workitem_id 0
		.amdhsa_next_free_vgpr 108
		.amdhsa_next_free_sgpr 44
		.amdhsa_accum_offset 108
		.amdhsa_reserve_vcc 1
		.amdhsa_float_round_mode_32 0
		.amdhsa_float_round_mode_16_64 0
		.amdhsa_float_denorm_mode_32 3
		.amdhsa_float_denorm_mode_16_64 3
		.amdhsa_dx10_clamp 1
		.amdhsa_ieee_mode 1
		.amdhsa_fp16_overflow 0
		.amdhsa_tg_split 0
		.amdhsa_exception_fp_ieee_invalid_op 0
		.amdhsa_exception_fp_denorm_src 0
		.amdhsa_exception_fp_ieee_div_zero 0
		.amdhsa_exception_fp_ieee_overflow 0
		.amdhsa_exception_fp_ieee_underflow 0
		.amdhsa_exception_fp_ieee_inexact 0
		.amdhsa_exception_int_div_zero 0
	.end_amdhsa_kernel
	.section	.text._ZN5aiter23act_and_mul_bias_kernelIDF16_DF16_afTnPFfRKT2_EXadL_ZNS_11gelu_kernelIfEEfRKT_EELi32EEEvPT0_PS8_PKT1_PS2_il,"axG",@progbits,_ZN5aiter23act_and_mul_bias_kernelIDF16_DF16_afTnPFfRKT2_EXadL_ZNS_11gelu_kernelIfEEfRKT_EELi32EEEvPT0_PS8_PKT1_PS2_il,comdat
.Lfunc_end394:
	.size	_ZN5aiter23act_and_mul_bias_kernelIDF16_DF16_afTnPFfRKT2_EXadL_ZNS_11gelu_kernelIfEEfRKT_EELi32EEEvPT0_PS8_PKT1_PS2_il, .Lfunc_end394-_ZN5aiter23act_and_mul_bias_kernelIDF16_DF16_afTnPFfRKT2_EXadL_ZNS_11gelu_kernelIfEEfRKT_EELi32EEEvPT0_PS8_PKT1_PS2_il
                                        ; -- End function
	.section	.AMDGPU.csdata,"",@progbits
; Kernel info:
; codeLenInByte = 9836
; NumSgprs: 50
; NumVgprs: 108
; NumAgprs: 0
; TotalNumVgprs: 108
; ScratchSize: 0
; MemoryBound: 0
; FloatMode: 240
; IeeeMode: 1
; LDSByteSize: 0 bytes/workgroup (compile time only)
; SGPRBlocks: 6
; VGPRBlocks: 13
; NumSGPRsForWavesPerEU: 50
; NumVGPRsForWavesPerEU: 108
; AccumOffset: 108
; Occupancy: 4
; WaveLimiterHint : 0
; COMPUTE_PGM_RSRC2:SCRATCH_EN: 0
; COMPUTE_PGM_RSRC2:USER_SGPR: 2
; COMPUTE_PGM_RSRC2:TRAP_HANDLER: 0
; COMPUTE_PGM_RSRC2:TGID_X_EN: 1
; COMPUTE_PGM_RSRC2:TGID_Y_EN: 0
; COMPUTE_PGM_RSRC2:TGID_Z_EN: 0
; COMPUTE_PGM_RSRC2:TIDIG_COMP_CNT: 0
; COMPUTE_PGM_RSRC3_GFX90A:ACCUM_OFFSET: 26
; COMPUTE_PGM_RSRC3_GFX90A:TG_SPLIT: 0
	.section	.text._ZN5aiter23act_and_mul_bias_kernelIDF16_DF16_afTnPFfRKT2_EXadL_ZNS_11gelu_kernelIfEEfRKT_EELi16EEEvPT0_PS8_PKT1_PS2_il,"axG",@progbits,_ZN5aiter23act_and_mul_bias_kernelIDF16_DF16_afTnPFfRKT2_EXadL_ZNS_11gelu_kernelIfEEfRKT_EELi16EEEvPT0_PS8_PKT1_PS2_il,comdat
	.protected	_ZN5aiter23act_and_mul_bias_kernelIDF16_DF16_afTnPFfRKT2_EXadL_ZNS_11gelu_kernelIfEEfRKT_EELi16EEEvPT0_PS8_PKT1_PS2_il ; -- Begin function _ZN5aiter23act_and_mul_bias_kernelIDF16_DF16_afTnPFfRKT2_EXadL_ZNS_11gelu_kernelIfEEfRKT_EELi16EEEvPT0_PS8_PKT1_PS2_il
	.globl	_ZN5aiter23act_and_mul_bias_kernelIDF16_DF16_afTnPFfRKT2_EXadL_ZNS_11gelu_kernelIfEEfRKT_EELi16EEEvPT0_PS8_PKT1_PS2_il
	.p2align	8
	.type	_ZN5aiter23act_and_mul_bias_kernelIDF16_DF16_afTnPFfRKT2_EXadL_ZNS_11gelu_kernelIfEEfRKT_EELi16EEEvPT0_PS8_PKT1_PS2_il,@function
_ZN5aiter23act_and_mul_bias_kernelIDF16_DF16_afTnPFfRKT2_EXadL_ZNS_11gelu_kernelIfEEfRKT_EELi16EEEvPT0_PS8_PKT1_PS2_il: ; @_ZN5aiter23act_and_mul_bias_kernelIDF16_DF16_afTnPFfRKT2_EXadL_ZNS_11gelu_kernelIfEEfRKT_EELi16EEEvPT0_PS8_PKT1_PS2_il
; %bb.0:
	s_load_dwordx2 s[4:5], s[0:1], 0x10
	s_load_dword s24, s[0:1], 0x20
	s_load_dwordx2 s[6:7], s[0:1], 0x28
	v_mov_b32_e32 v1, s2
	s_mov_b32 s9, 0
	s_waitcnt lgkmcnt(0)
	global_load_ubyte v1, v1, s[4:5]
	s_add_i32 s3, s24, 1
	v_mov_b64_e32 v[2:3], s[6:7]
	s_lshr_b32 s6, s3, 31
	s_add_i32 s3, s3, s6
	s_load_dwordx2 s[4:5], s[0:1], 0x0
	s_lshl_b32 s3, s3, 1
	s_ashr_i32 s25, s24, 31
	s_and_b32 s6, s3, -4
	s_mul_hi_u32 s8, s24, s2
	s_mul_i32 s7, s25, s2
	s_mul_i32 s12, s24, s2
	s_add_i32 s13, s8, s7
	s_lshl_b64 s[12:13], s[12:13], 1
	s_mov_b64 s[10:11], -1
	v_lshlrev_b32_e32 v48, 4, v0
	s_waitcnt vmcnt(0)
	v_readfirstlane_b32 s3, v1
	s_nop 1
	v_mov_b32_e32 v4, s3
	s_sext_i32_i8 s3, s3
	v_readfirstlane_b32 s8, v4
	s_bfe_i64 s[8:9], s[8:9], 0x80000
	s_waitcnt lgkmcnt(0)
	s_add_u32 s4, s4, s12
	s_addc_u32 s5, s5, s13
	s_and_b32 s5, s5, 0xffff
	s_cmp_gt_i32 s3, -1
	v_cmp_lt_i64_e32 vcc, s[8:9], v[2:3]
	s_cselect_b64 s[12:13], -1, 0
	s_and_b64 s[12:13], s[12:13], vcc
	s_and_b64 vcc, exec, s[12:13]
	s_cbranch_vccnz .LBB395_5
; %bb.1:
	v_cmp_gt_i32_e32 vcc, s24, v48
	s_and_saveexec_b64 s[10:11], vcc
	s_cbranch_execz .LBB395_4
; %bb.2:
	s_load_dword s3, s[0:1], 0x3c
	s_mov_b32 s13, 0
	s_mov_b32 s16, s13
	;; [unrolled: 1-line block ×3, first 2 shown]
	v_mov_b32_e32 v49, 0
	v_lshlrev_b32_e32 v6, 5, v0
	s_waitcnt lgkmcnt(0)
	s_and_b32 s3, s3, 0xffff
	s_mov_b32 s18, s13
	s_mov_b32 s19, s13
	v_mov_b64_e32 v[0:1], s[16:17]
	s_lshl_b32 s12, s3, 4
	s_lshl_b32 s3, s3, 5
	s_mov_b64 s[14:15], 0
	s_mov_b32 s7, 0x20000
	v_mov_b64_e32 v[2:3], s[18:19]
	v_mov_b64_e32 v[4:5], v[48:49]
.LBB395_3:                              ; =>This Inner Loop Header: Depth=1
	v_lshl_add_u64 v[4:5], s[12:13], 0, v[4:5]
	v_cmp_le_i64_e32 vcc, s[24:25], v[4:5]
	buffer_store_dwordx4 v[0:3], v6, s[4:7], 0 offen
	buffer_store_dwordx4 v[0:3], v6, s[4:7], 16 offen
	s_or_b64 s[14:15], vcc, s[14:15]
	v_add_u32_e32 v6, s3, v6
	s_andn2_b64 exec, exec, s[14:15]
	s_cbranch_execnz .LBB395_3
.LBB395_4:
	s_or_b64 exec, exec, s[10:11]
	s_mov_b64 s[10:11], 0
.LBB395_5:
	s_andn2_b64 vcc, exec, s[10:11]
	s_cbranch_vccnz .LBB395_73
; %bb.6:
	v_cmp_gt_i32_e32 vcc, s24, v48
	s_and_saveexec_b64 s[10:11], vcc
	s_cbranch_execz .LBB395_73
; %bb.7:
	s_load_dwordx2 s[14:15], s[0:1], 0x8
	s_load_dwordx2 s[10:11], s[0:1], 0x18
	s_mul_hi_i32 s9, s24, s8
	s_mul_i32 s8, s24, s8
	s_lshl_b64 s[8:9], s[8:9], 3
	s_mul_i32 s16, s2, s25
	s_waitcnt lgkmcnt(0)
	s_add_u32 s8, s10, s8
	s_addc_u32 s7, s11, s9
	s_lshl_b64 s[10:11], s[24:25], 2
	s_add_u32 s12, s8, s10
	s_mul_hi_u32 s17, s2, s24
	s_addc_u32 s13, s7, s11
	s_add_i32 s17, s17, s16
	s_mul_i32 s16, s2, s24
	s_lshl_b32 s10, s24, 2
	s_and_b32 s9, s7, 0xffff
	s_and_b32 s13, s13, 0xffff
	s_lshl_b64 s[16:17], s[16:17], 2
	s_add_u32 s16, s14, s16
	s_addc_u32 s2, s15, s17
	s_lshl_b64 s[14:15], s[24:25], 1
	s_add_u32 s20, s16, s14
	s_addc_u32 s14, s2, s15
	s_and_b32 s17, s2, 0xffff
	s_and_b32 s21, s14, 0xffff
	s_mov_b32 s7, 0x20000
	s_add_u32 s0, s0, 48
	s_mov_b32 s3, 0
	s_mov_b32 s11, s7
	v_mov_b32_e32 v49, 0
	s_addc_u32 s1, s1, 0
	s_mov_b64 s[26:27], 0
	s_mov_b32 s23, s7
	s_mov_b32 s22, s6
	;; [unrolled: 1-line block ×13, first 2 shown]
	v_mov_b32_e32 v50, 0x3ba10414
	s_brev_b32 s38, -2
	v_mov_b32_e32 v51, 0xb9c68948
	v_mov_b32_e32 v52, 0x7f800000
                                        ; implicit-def: $vgpr0
                                        ; implicit-def: $vgpr0
	;; [unrolled: 1-line block ×4, first 2 shown]
	s_branch .LBB395_9
.LBB395_8:                              ;   in Loop: Header=BB395_9 Depth=1
	s_or_b64 exec, exec, s[14:15]
	v_cvt_f32_f16_sdwa v13, v3 dst_sel:DWORD dst_unused:UNUSED_PAD src0_sel:WORD_1
	v_bfi_b32 v2, s38, v12, v2
	v_cvt_f16_f32_e32 v14, v1
	v_bfi_b32 v1, s38, v11, v10
	v_add_f32_e32 v7, v7, v13
	v_cvt_f16_f32_e32 v13, v0
	v_cvt_f32_f16_e32 v0, v3
	v_mul_f32_e32 v8, 0.5, v8
	v_add_f32_e32 v2, 1.0, v2
	v_add_f32_e32 v1, 1.0, v1
	v_add_f32_e32 v6, v6, v0
	v_mul_f32_e32 v0, 0.5, v9
	v_mul_f32_e32 v2, v8, v2
	v_mul_f32_e32 v3, v0, v1
	;;#ASMSTART
	v_pk_mul_f32 v[0:1], v[2:3], v[6:7]
	;;#ASMEND
	s_load_dword s2, s[0:1], 0xc
	v_cvt_f16_f32_e32 v8, v16
	v_cvt_f16_f32_e32 v12, v17
	;; [unrolled: 1-line block ×14, first 2 shown]
	s_waitcnt lgkmcnt(0)
	s_and_b32 s2, s2, 0xffff
	s_lshl_b32 s2, s2, 4
	v_lshl_add_u64 v[48:49], s[2:3], 0, v[48:49]
	v_pack_b32_f16 v3, v21, v22
	v_pack_b32_f16 v2, v19, v20
	;; [unrolled: 1-line block ×4, first 2 shown]
	v_cmp_le_i64_e32 vcc, s[24:25], v[48:49]
	buffer_store_dwordx4 v[0:3], v53, s[4:7], 0 offen
	s_or_b64 s[26:27], vcc, s[26:27]
	s_nop 0
	v_pack_b32_f16 v3, v6, v7
	v_pack_b32_f16 v2, v4, v5
	;; [unrolled: 1-line block ×4, first 2 shown]
	buffer_store_dwordx4 v[0:3], v53, s[4:7], 16 offen
	s_andn2_b64 exec, exec, s[26:27]
	s_cbranch_execz .LBB395_73
.LBB395_9:                              ; =>This Inner Loop Header: Depth=1
	v_lshlrev_b32_e32 v53, 1, v48
	buffer_load_dwordx4 v[32:35], v53, s[16:19], 0 offen
	buffer_load_dwordx4 v[8:11], v53, s[16:19], 16 offen
	;; [unrolled: 1-line block ×4, first 2 shown]
	v_lshlrev_b32_e32 v54, 2, v48
	s_mov_b32 s14, s10
	s_mov_b32 s15, s11
	buffer_load_dwordx4 v[44:47], v54, s[8:11], 0 offen
	buffer_load_dwordx4 v[36:39], v54, s[8:11], 16 offen
	;; [unrolled: 1-line block ×8, first 2 shown]
                                        ; implicit-def: $vgpr55
	s_waitcnt vmcnt(11)
	v_cvt_f32_f16_e32 v54, v32
	s_waitcnt vmcnt(7)
	v_add_f32_e32 v44, v44, v54
	v_mul_f32_e32 v54, 0x3f3504f3, v44
	v_cmp_nlt_f32_e64 s[14:15], |v54|, 1.0
	s_and_saveexec_b64 s[40:41], s[14:15]
	s_xor_b64 s[14:15], exec, s[40:41]
	s_cbranch_execz .LBB395_11
; %bb.10:                               ;   in Loop: Header=BB395_9 Depth=1
	v_fma_f32 v55, |v54|, s28, v51
	v_fma_f32 v55, |v54|, v55, s29
	;; [unrolled: 1-line block ×6, first 2 shown]
	v_fma_f32 v55, |v54|, v55, |v54|
	v_mul_f32_e32 v56, 0xbfb8aa3b, v55
	v_fma_f32 v57, v55, s35, -v56
	v_rndne_f32_e32 v58, v56
	v_fmac_f32_e32 v57, 0xb2a5705f, v55
	v_sub_f32_e32 v56, v56, v58
	v_add_f32_e32 v56, v56, v57
	v_cvt_i32_f32_e32 v57, v58
	v_exp_f32_e32 v56, v56
	v_cmp_nlt_f32_e32 vcc, s36, v55
	v_ldexp_f32 v56, v56, v57
	s_nop 0
	v_cndmask_b32_e32 v56, 0, v56, vcc
	v_cmp_ngt_f32_e32 vcc, s37, v55
	s_nop 1
	v_cndmask_b32_e32 v55, v52, v56, vcc
	v_sub_f32_e32 v55, 1.0, v55
.LBB395_11:                             ;   in Loop: Header=BB395_9 Depth=1
	s_andn2_saveexec_b64 s[14:15], s[14:15]
; %bb.12:                               ;   in Loop: Header=BB395_9 Depth=1
	v_mul_f32_e32 v55, v54, v54
	v_fmamk_f32 v56, v55, 0xba1345e1, v50
	v_fmaak_f32 v56, v55, v56, 0xbcdac9b8
	v_fmaak_f32 v56, v55, v56, 0x3de703be
	;; [unrolled: 1-line block ×4, first 2 shown]
	v_fma_f32 v55, |v54|, v55, |v54|
; %bb.13:                               ;   in Loop: Header=BB395_9 Depth=1
	s_or_b64 exec, exec, s[14:15]
	v_cvt_f32_f16_sdwa v32, v32 dst_sel:DWORD dst_unused:UNUSED_PAD src0_sel:WORD_1
                                        ; implicit-def: $vgpr56
	v_add_f32_e32 v32, v45, v32
	v_mul_f32_e32 v45, 0x3f3504f3, v32
	v_cmp_nlt_f32_e64 s[14:15], |v45|, 1.0
	s_and_saveexec_b64 s[40:41], s[14:15]
	s_xor_b64 s[14:15], exec, s[40:41]
	s_cbranch_execz .LBB395_15
; %bb.14:                               ;   in Loop: Header=BB395_9 Depth=1
	v_fma_f32 v56, |v45|, s28, v51
	v_fma_f32 v56, |v45|, v56, s29
	v_fma_f32 v56, |v45|, v56, s30
	v_fma_f32 v56, |v45|, v56, s31
	v_fma_f32 v56, |v45|, v56, s33
	v_fma_f32 v56, |v45|, v56, s34
	v_fma_f32 v56, |v45|, v56, |v45|
	v_mul_f32_e32 v57, 0xbfb8aa3b, v56
	v_fma_f32 v58, v56, s35, -v57
	v_rndne_f32_e32 v59, v57
	v_fmac_f32_e32 v58, 0xb2a5705f, v56
	v_sub_f32_e32 v57, v57, v59
	v_add_f32_e32 v57, v57, v58
	v_cvt_i32_f32_e32 v58, v59
	v_exp_f32_e32 v57, v57
	v_cmp_nlt_f32_e32 vcc, s36, v56
	v_ldexp_f32 v57, v57, v58
	s_nop 0
	v_cndmask_b32_e32 v57, 0, v57, vcc
	v_cmp_ngt_f32_e32 vcc, s37, v56
	s_nop 1
	v_cndmask_b32_e32 v56, v52, v57, vcc
	v_sub_f32_e32 v56, 1.0, v56
.LBB395_15:                             ;   in Loop: Header=BB395_9 Depth=1
	s_andn2_saveexec_b64 s[14:15], s[14:15]
; %bb.16:                               ;   in Loop: Header=BB395_9 Depth=1
	v_mul_f32_e32 v56, v45, v45
	v_fmamk_f32 v57, v56, 0xba1345e1, v50
	v_fmaak_f32 v57, v56, v57, 0xbcdac9b8
	v_fmaak_f32 v57, v56, v57, 0x3de703be
	;; [unrolled: 1-line block ×4, first 2 shown]
	v_fma_f32 v56, |v45|, v56, |v45|
; %bb.17:                               ;   in Loop: Header=BB395_9 Depth=1
	s_or_b64 exec, exec, s[14:15]
	v_bfi_b32 v54, s38, v55, v54
	v_cvt_f32_f16_sdwa v55, v24 dst_sel:DWORD dst_unused:UNUSED_PAD src0_sel:WORD_1
	v_cvt_f32_f16_e32 v24, v24
	v_mul_f32_e32 v44, 0.5, v44
	v_add_f32_e32 v54, 1.0, v54
	v_mul_f32_e32 v44, v44, v54
	v_cvt_f32_f16_e32 v54, v33
	s_waitcnt vmcnt(3)
	v_add_f32_e32 v40, v40, v24
	v_mul_f32_e32 v24, 0.5, v32
	v_bfi_b32 v32, s38, v56, v45
	v_add_f32_e32 v32, 1.0, v32
	v_mul_f32_e32 v45, v24, v32
	v_add_f32_e32 v24, v46, v54
	v_mul_f32_e32 v32, 0x3f3504f3, v24
	v_add_f32_e32 v41, v41, v55
	v_cmp_nlt_f32_e64 s[14:15], |v32|, 1.0
	;;#ASMSTART
	v_pk_mul_f32 v[40:41], v[44:45], v[40:41]
	;;#ASMEND
                                        ; implicit-def: $vgpr44
	s_and_saveexec_b64 s[40:41], s[14:15]
	s_xor_b64 s[14:15], exec, s[40:41]
	s_cbranch_execz .LBB395_19
; %bb.18:                               ;   in Loop: Header=BB395_9 Depth=1
	v_fma_f32 v44, |v32|, s28, v51
	v_fma_f32 v44, |v32|, v44, s29
	;; [unrolled: 1-line block ×6, first 2 shown]
	v_fma_f32 v44, |v32|, v44, |v32|
	v_mul_f32_e32 v45, 0xbfb8aa3b, v44
	v_fma_f32 v46, v44, s35, -v45
	v_rndne_f32_e32 v54, v45
	v_fmac_f32_e32 v46, 0xb2a5705f, v44
	v_sub_f32_e32 v45, v45, v54
	v_add_f32_e32 v45, v45, v46
	v_cvt_i32_f32_e32 v46, v54
	v_exp_f32_e32 v45, v45
	v_cmp_nlt_f32_e32 vcc, s36, v44
	v_ldexp_f32 v45, v45, v46
	s_nop 0
	v_cndmask_b32_e32 v45, 0, v45, vcc
	v_cmp_ngt_f32_e32 vcc, s37, v44
	s_nop 1
	v_cndmask_b32_e32 v44, v52, v45, vcc
	v_sub_f32_e32 v44, 1.0, v44
.LBB395_19:                             ;   in Loop: Header=BB395_9 Depth=1
	s_andn2_saveexec_b64 s[14:15], s[14:15]
; %bb.20:                               ;   in Loop: Header=BB395_9 Depth=1
	v_mul_f32_e32 v44, v32, v32
	v_fmamk_f32 v45, v44, 0xba1345e1, v50
	v_fmaak_f32 v45, v44, v45, 0xbcdac9b8
	v_fmaak_f32 v45, v44, v45, 0x3de703be
	;; [unrolled: 1-line block ×4, first 2 shown]
	v_fma_f32 v44, |v32|, v44, |v32|
; %bb.21:                               ;   in Loop: Header=BB395_9 Depth=1
	s_or_b64 exec, exec, s[14:15]
	v_cvt_f32_f16_sdwa v33, v33 dst_sel:DWORD dst_unused:UNUSED_PAD src0_sel:WORD_1
                                        ; implicit-def: $vgpr46
	v_add_f32_e32 v33, v47, v33
	v_mul_f32_e32 v45, 0x3f3504f3, v33
	v_cmp_nlt_f32_e64 s[14:15], |v45|, 1.0
	s_and_saveexec_b64 s[40:41], s[14:15]
	s_xor_b64 s[14:15], exec, s[40:41]
	s_cbranch_execz .LBB395_23
; %bb.22:                               ;   in Loop: Header=BB395_9 Depth=1
	v_fma_f32 v46, |v45|, s28, v51
	v_fma_f32 v46, |v45|, v46, s29
	;; [unrolled: 1-line block ×6, first 2 shown]
	v_fma_f32 v46, |v45|, v46, |v45|
	v_mul_f32_e32 v47, 0xbfb8aa3b, v46
	v_fma_f32 v54, v46, s35, -v47
	v_rndne_f32_e32 v55, v47
	v_fmac_f32_e32 v54, 0xb2a5705f, v46
	v_sub_f32_e32 v47, v47, v55
	v_add_f32_e32 v47, v47, v54
	v_cvt_i32_f32_e32 v54, v55
	v_exp_f32_e32 v47, v47
	v_cmp_nlt_f32_e32 vcc, s36, v46
	v_ldexp_f32 v47, v47, v54
	s_nop 0
	v_cndmask_b32_e32 v47, 0, v47, vcc
	v_cmp_ngt_f32_e32 vcc, s37, v46
	s_nop 1
	v_cndmask_b32_e32 v46, v52, v47, vcc
	v_sub_f32_e32 v46, 1.0, v46
.LBB395_23:                             ;   in Loop: Header=BB395_9 Depth=1
	s_andn2_saveexec_b64 s[14:15], s[14:15]
; %bb.24:                               ;   in Loop: Header=BB395_9 Depth=1
	v_mul_f32_e32 v46, v45, v45
	v_fmamk_f32 v47, v46, 0xba1345e1, v50
	v_fmaak_f32 v47, v46, v47, 0xbcdac9b8
	v_fmaak_f32 v47, v46, v47, 0x3de703be
	;; [unrolled: 1-line block ×4, first 2 shown]
	v_fma_f32 v46, |v45|, v46, |v45|
; %bb.25:                               ;   in Loop: Header=BB395_9 Depth=1
	s_or_b64 exec, exec, s[14:15]
	v_bfi_b32 v32, s38, v44, v32
	v_cvt_f32_f16_sdwa v44, v25 dst_sel:DWORD dst_unused:UNUSED_PAD src0_sel:WORD_1
	v_cvt_f32_f16_e32 v25, v25
	v_mul_f32_e32 v24, 0.5, v24
	v_add_f32_e32 v32, 1.0, v32
	v_mul_f32_e32 v24, v24, v32
	v_add_f32_e32 v42, v42, v25
	v_mul_f32_e32 v25, 0.5, v33
	v_cvt_f32_f16_e32 v33, v34
	v_bfi_b32 v32, s38, v46, v45
	v_add_f32_e32 v32, 1.0, v32
	v_mul_f32_e32 v25, v25, v32
	v_add_f32_e32 v32, v36, v33
	v_mul_f32_e32 v33, 0x3f3504f3, v32
	v_cmp_nlt_f32_e64 s[14:15], |v33|, 1.0
	v_add_f32_e32 v43, v43, v44
	;;#ASMSTART
	v_pk_mul_f32 v[24:25], v[24:25], v[42:43]
	;;#ASMEND
                                        ; implicit-def: $vgpr36
	s_and_saveexec_b64 s[40:41], s[14:15]
	s_xor_b64 s[14:15], exec, s[40:41]
	s_cbranch_execz .LBB395_27
; %bb.26:                               ;   in Loop: Header=BB395_9 Depth=1
	v_fma_f32 v36, |v33|, s28, v51
	v_fma_f32 v36, |v33|, v36, s29
	;; [unrolled: 1-line block ×6, first 2 shown]
	v_fma_f32 v36, |v33|, v36, |v33|
	v_mul_f32_e32 v42, 0xbfb8aa3b, v36
	v_fma_f32 v43, v36, s35, -v42
	v_rndne_f32_e32 v44, v42
	v_fmac_f32_e32 v43, 0xb2a5705f, v36
	v_sub_f32_e32 v42, v42, v44
	v_add_f32_e32 v42, v42, v43
	v_cvt_i32_f32_e32 v43, v44
	v_exp_f32_e32 v42, v42
	v_cmp_nlt_f32_e32 vcc, s36, v36
	v_ldexp_f32 v42, v42, v43
	s_nop 0
	v_cndmask_b32_e32 v42, 0, v42, vcc
	v_cmp_ngt_f32_e32 vcc, s37, v36
	s_nop 1
	v_cndmask_b32_e32 v36, v52, v42, vcc
	v_sub_f32_e32 v36, 1.0, v36
.LBB395_27:                             ;   in Loop: Header=BB395_9 Depth=1
	s_andn2_saveexec_b64 s[14:15], s[14:15]
; %bb.28:                               ;   in Loop: Header=BB395_9 Depth=1
	v_mul_f32_e32 v36, v33, v33
	v_fmamk_f32 v42, v36, 0xba1345e1, v50
	v_fmaak_f32 v42, v36, v42, 0xbcdac9b8
	v_fmaak_f32 v42, v36, v42, 0x3de703be
	v_fmaak_f32 v42, v36, v42, 0xbec09330
	v_fmaak_f32 v36, v36, v42, 0x3e0375d0
	v_fma_f32 v36, |v33|, v36, |v33|
; %bb.29:                               ;   in Loop: Header=BB395_9 Depth=1
	s_or_b64 exec, exec, s[14:15]
	v_cvt_f32_f16_sdwa v34, v34 dst_sel:DWORD dst_unused:UNUSED_PAD src0_sel:WORD_1
                                        ; implicit-def: $vgpr42
	v_add_f32_e32 v34, v37, v34
	v_mul_f32_e32 v37, 0x3f3504f3, v34
	v_cmp_nlt_f32_e64 s[14:15], |v37|, 1.0
	s_and_saveexec_b64 s[40:41], s[14:15]
	s_xor_b64 s[14:15], exec, s[40:41]
	s_cbranch_execz .LBB395_31
; %bb.30:                               ;   in Loop: Header=BB395_9 Depth=1
	v_fma_f32 v42, |v37|, s28, v51
	v_fma_f32 v42, |v37|, v42, s29
	;; [unrolled: 1-line block ×6, first 2 shown]
	v_fma_f32 v42, |v37|, v42, |v37|
	v_mul_f32_e32 v43, 0xbfb8aa3b, v42
	v_fma_f32 v44, v42, s35, -v43
	v_rndne_f32_e32 v45, v43
	v_fmac_f32_e32 v44, 0xb2a5705f, v42
	v_sub_f32_e32 v43, v43, v45
	v_add_f32_e32 v43, v43, v44
	v_cvt_i32_f32_e32 v44, v45
	v_exp_f32_e32 v43, v43
	v_cmp_nlt_f32_e32 vcc, s36, v42
	v_ldexp_f32 v43, v43, v44
	s_nop 0
	v_cndmask_b32_e32 v43, 0, v43, vcc
	v_cmp_ngt_f32_e32 vcc, s37, v42
	s_nop 1
	v_cndmask_b32_e32 v42, v52, v43, vcc
	v_sub_f32_e32 v42, 1.0, v42
.LBB395_31:                             ;   in Loop: Header=BB395_9 Depth=1
	s_andn2_saveexec_b64 s[14:15], s[14:15]
; %bb.32:                               ;   in Loop: Header=BB395_9 Depth=1
	v_mul_f32_e32 v42, v37, v37
	v_fmamk_f32 v43, v42, 0xba1345e1, v50
	v_fmaak_f32 v43, v42, v43, 0xbcdac9b8
	v_fmaak_f32 v43, v42, v43, 0x3de703be
	;; [unrolled: 1-line block ×4, first 2 shown]
	v_fma_f32 v42, |v37|, v42, |v37|
; %bb.33:                               ;   in Loop: Header=BB395_9 Depth=1
	s_or_b64 exec, exec, s[14:15]
	v_bfi_b32 v33, s38, v36, v33
	v_cvt_f32_f16_sdwa v36, v26 dst_sel:DWORD dst_unused:UNUSED_PAD src0_sel:WORD_1
	v_cvt_f32_f16_e32 v26, v26
	v_mul_f32_e32 v32, 0.5, v32
	v_add_f32_e32 v33, 1.0, v33
	v_mul_f32_e32 v32, v32, v33
	s_waitcnt vmcnt(2)
	v_add_f32_e32 v28, v28, v26
	v_mul_f32_e32 v26, 0.5, v34
	v_cvt_f32_f16_e32 v34, v35
	v_bfi_b32 v33, s38, v42, v37
	v_add_f32_e32 v33, 1.0, v33
	v_add_f32_e32 v29, v29, v36
	v_mul_f32_e32 v33, v26, v33
	v_add_f32_e32 v26, v38, v34
	;;#ASMSTART
	v_pk_mul_f32 v[28:29], v[32:33], v[28:29]
	;;#ASMEND
	v_mul_f32_e32 v32, 0x3f3504f3, v26
	v_cmp_nlt_f32_e64 s[14:15], |v32|, 1.0
                                        ; implicit-def: $vgpr33
	s_and_saveexec_b64 s[40:41], s[14:15]
	s_xor_b64 s[14:15], exec, s[40:41]
	s_cbranch_execz .LBB395_35
; %bb.34:                               ;   in Loop: Header=BB395_9 Depth=1
	v_fma_f32 v33, |v32|, s28, v51
	v_fma_f32 v33, |v32|, v33, s29
	v_fma_f32 v33, |v32|, v33, s30
	v_fma_f32 v33, |v32|, v33, s31
	v_fma_f32 v33, |v32|, v33, s33
	v_fma_f32 v33, |v32|, v33, s34
	v_fma_f32 v33, |v32|, v33, |v32|
	v_mul_f32_e32 v34, 0xbfb8aa3b, v33
	v_fma_f32 v36, v33, s35, -v34
	v_rndne_f32_e32 v37, v34
	v_fmac_f32_e32 v36, 0xb2a5705f, v33
	v_sub_f32_e32 v34, v34, v37
	v_add_f32_e32 v34, v34, v36
	v_cvt_i32_f32_e32 v36, v37
	v_exp_f32_e32 v34, v34
	v_cmp_nlt_f32_e32 vcc, s36, v33
	v_ldexp_f32 v34, v34, v36
	s_nop 0
	v_cndmask_b32_e32 v34, 0, v34, vcc
	v_cmp_ngt_f32_e32 vcc, s37, v33
	s_nop 1
	v_cndmask_b32_e32 v33, v52, v34, vcc
	v_sub_f32_e32 v33, 1.0, v33
.LBB395_35:                             ;   in Loop: Header=BB395_9 Depth=1
	s_andn2_saveexec_b64 s[14:15], s[14:15]
; %bb.36:                               ;   in Loop: Header=BB395_9 Depth=1
	v_mul_f32_e32 v33, v32, v32
	v_fmamk_f32 v34, v33, 0xba1345e1, v50
	v_fmaak_f32 v34, v33, v34, 0xbcdac9b8
	v_fmaak_f32 v34, v33, v34, 0x3de703be
	;; [unrolled: 1-line block ×4, first 2 shown]
	v_fma_f32 v33, |v32|, v33, |v32|
; %bb.37:                               ;   in Loop: Header=BB395_9 Depth=1
	s_or_b64 exec, exec, s[14:15]
	v_cvt_f32_f16_sdwa v34, v35 dst_sel:DWORD dst_unused:UNUSED_PAD src0_sel:WORD_1
                                        ; implicit-def: $vgpr36
	v_add_f32_e32 v34, v39, v34
	v_mul_f32_e32 v35, 0x3f3504f3, v34
	v_cmp_nlt_f32_e64 s[14:15], |v35|, 1.0
	s_and_saveexec_b64 s[40:41], s[14:15]
	s_xor_b64 s[14:15], exec, s[40:41]
	s_cbranch_execz .LBB395_39
; %bb.38:                               ;   in Loop: Header=BB395_9 Depth=1
	v_fma_f32 v36, |v35|, s28, v51
	v_fma_f32 v36, |v35|, v36, s29
	;; [unrolled: 1-line block ×6, first 2 shown]
	v_fma_f32 v36, |v35|, v36, |v35|
	v_mul_f32_e32 v37, 0xbfb8aa3b, v36
	v_fma_f32 v38, v36, s35, -v37
	v_rndne_f32_e32 v39, v37
	v_fmac_f32_e32 v38, 0xb2a5705f, v36
	v_sub_f32_e32 v37, v37, v39
	v_add_f32_e32 v37, v37, v38
	v_cvt_i32_f32_e32 v38, v39
	v_exp_f32_e32 v37, v37
	v_cmp_nlt_f32_e32 vcc, s36, v36
	v_ldexp_f32 v37, v37, v38
	s_nop 0
	v_cndmask_b32_e32 v37, 0, v37, vcc
	v_cmp_ngt_f32_e32 vcc, s37, v36
	s_nop 1
	v_cndmask_b32_e32 v36, v52, v37, vcc
	v_sub_f32_e32 v36, 1.0, v36
.LBB395_39:                             ;   in Loop: Header=BB395_9 Depth=1
	s_andn2_saveexec_b64 s[14:15], s[14:15]
; %bb.40:                               ;   in Loop: Header=BB395_9 Depth=1
	v_mul_f32_e32 v36, v35, v35
	v_fmamk_f32 v37, v36, 0xba1345e1, v50
	v_fmaak_f32 v37, v36, v37, 0xbcdac9b8
	v_fmaak_f32 v37, v36, v37, 0x3de703be
	;; [unrolled: 1-line block ×4, first 2 shown]
	v_fma_f32 v36, |v35|, v36, |v35|
; %bb.41:                               ;   in Loop: Header=BB395_9 Depth=1
	s_or_b64 exec, exec, s[14:15]
	v_bfi_b32 v32, s38, v33, v32
	v_cvt_f32_f16_sdwa v33, v27 dst_sel:DWORD dst_unused:UNUSED_PAD src0_sel:WORD_1
	v_cvt_f32_f16_e32 v27, v27
	v_mul_f32_e32 v26, 0.5, v26
	v_add_f32_e32 v32, 1.0, v32
	v_add_f32_e32 v31, v31, v33
	v_cvt_f32_f16_e32 v33, v8
	v_mul_f32_e32 v26, v26, v32
	v_bfi_b32 v32, s38, v36, v35
	v_add_f32_e32 v30, v30, v27
	v_mul_f32_e32 v27, 0.5, v34
	v_add_f32_e32 v32, 1.0, v32
	v_mul_f32_e32 v27, v27, v32
	v_add_f32_e32 v20, v20, v33
	;;#ASMSTART
	v_pk_mul_f32 v[26:27], v[26:27], v[30:31]
	;;#ASMEND
	v_mul_f32_e32 v30, 0x3f3504f3, v20
	v_cmp_nlt_f32_e64 s[14:15], |v30|, 1.0
                                        ; implicit-def: $vgpr31
	s_and_saveexec_b64 s[40:41], s[14:15]
	s_xor_b64 s[14:15], exec, s[40:41]
	s_cbranch_execz .LBB395_43
; %bb.42:                               ;   in Loop: Header=BB395_9 Depth=1
	v_fma_f32 v31, |v30|, s28, v51
	v_fma_f32 v31, |v30|, v31, s29
	v_fma_f32 v31, |v30|, v31, s30
	v_fma_f32 v31, |v30|, v31, s31
	v_fma_f32 v31, |v30|, v31, s33
	v_fma_f32 v31, |v30|, v31, s34
	v_fma_f32 v31, |v30|, v31, |v30|
	v_mul_f32_e32 v32, 0xbfb8aa3b, v31
	v_fma_f32 v33, v31, s35, -v32
	v_rndne_f32_e32 v34, v32
	v_fmac_f32_e32 v33, 0xb2a5705f, v31
	v_sub_f32_e32 v32, v32, v34
	v_add_f32_e32 v32, v32, v33
	v_cvt_i32_f32_e32 v33, v34
	v_exp_f32_e32 v32, v32
	v_cmp_nlt_f32_e32 vcc, s36, v31
	v_ldexp_f32 v32, v32, v33
	s_nop 0
	v_cndmask_b32_e32 v32, 0, v32, vcc
	v_cmp_ngt_f32_e32 vcc, s37, v31
	s_nop 1
	v_cndmask_b32_e32 v31, v52, v32, vcc
	v_sub_f32_e32 v31, 1.0, v31
.LBB395_43:                             ;   in Loop: Header=BB395_9 Depth=1
	s_andn2_saveexec_b64 s[14:15], s[14:15]
; %bb.44:                               ;   in Loop: Header=BB395_9 Depth=1
	v_mul_f32_e32 v31, v30, v30
	v_fmamk_f32 v32, v31, 0xba1345e1, v50
	v_fmaak_f32 v32, v31, v32, 0xbcdac9b8
	v_fmaak_f32 v32, v31, v32, 0x3de703be
	;; [unrolled: 1-line block ×4, first 2 shown]
	v_fma_f32 v31, |v30|, v31, |v30|
; %bb.45:                               ;   in Loop: Header=BB395_9 Depth=1
	s_or_b64 exec, exec, s[14:15]
	v_cvt_f32_f16_sdwa v8, v8 dst_sel:DWORD dst_unused:UNUSED_PAD src0_sel:WORD_1
                                        ; implicit-def: $vgpr32
	v_add_f32_e32 v8, v21, v8
	v_mul_f32_e32 v21, 0x3f3504f3, v8
	v_cmp_nlt_f32_e64 s[14:15], |v21|, 1.0
	s_and_saveexec_b64 s[40:41], s[14:15]
	s_xor_b64 s[14:15], exec, s[40:41]
	s_cbranch_execz .LBB395_47
; %bb.46:                               ;   in Loop: Header=BB395_9 Depth=1
	v_fma_f32 v32, |v21|, s28, v51
	v_fma_f32 v32, |v21|, v32, s29
	;; [unrolled: 1-line block ×6, first 2 shown]
	v_fma_f32 v32, |v21|, v32, |v21|
	v_mul_f32_e32 v33, 0xbfb8aa3b, v32
	v_fma_f32 v34, v32, s35, -v33
	v_rndne_f32_e32 v35, v33
	v_fmac_f32_e32 v34, 0xb2a5705f, v32
	v_sub_f32_e32 v33, v33, v35
	v_add_f32_e32 v33, v33, v34
	v_cvt_i32_f32_e32 v34, v35
	v_exp_f32_e32 v33, v33
	v_cmp_nlt_f32_e32 vcc, s36, v32
	v_ldexp_f32 v33, v33, v34
	s_nop 0
	v_cndmask_b32_e32 v33, 0, v33, vcc
	v_cmp_ngt_f32_e32 vcc, s37, v32
	s_nop 1
	v_cndmask_b32_e32 v32, v52, v33, vcc
	v_sub_f32_e32 v32, 1.0, v32
.LBB395_47:                             ;   in Loop: Header=BB395_9 Depth=1
	s_andn2_saveexec_b64 s[14:15], s[14:15]
; %bb.48:                               ;   in Loop: Header=BB395_9 Depth=1
	v_mul_f32_e32 v32, v21, v21
	v_fmamk_f32 v33, v32, 0xba1345e1, v50
	v_fmaak_f32 v33, v32, v33, 0xbcdac9b8
	v_fmaak_f32 v33, v32, v33, 0x3de703be
	;; [unrolled: 1-line block ×4, first 2 shown]
	v_fma_f32 v32, |v21|, v32, |v21|
; %bb.49:                               ;   in Loop: Header=BB395_9 Depth=1
	s_or_b64 exec, exec, s[14:15]
	v_bfi_b32 v30, s38, v31, v30
	v_cvt_f32_f16_sdwa v31, v0 dst_sel:DWORD dst_unused:UNUSED_PAD src0_sel:WORD_1
	v_cvt_f32_f16_e32 v0, v0
	v_mul_f32_e32 v20, 0.5, v20
	v_add_f32_e32 v30, 1.0, v30
	v_mul_f32_e32 v20, v20, v30
	v_cvt_f32_f16_e32 v30, v9
	s_waitcnt vmcnt(1)
	v_add_f32_e32 v16, v16, v0
	v_mul_f32_e32 v0, 0.5, v8
	v_bfi_b32 v8, s38, v32, v21
	v_add_f32_e32 v8, 1.0, v8
	v_mul_f32_e32 v21, v0, v8
	v_add_f32_e32 v0, v22, v30
	v_mul_f32_e32 v8, 0x3f3504f3, v0
	v_add_f32_e32 v17, v17, v31
	v_cmp_nlt_f32_e64 s[14:15], |v8|, 1.0
	;;#ASMSTART
	v_pk_mul_f32 v[16:17], v[20:21], v[16:17]
	;;#ASMEND
                                        ; implicit-def: $vgpr20
	s_and_saveexec_b64 s[40:41], s[14:15]
	s_xor_b64 s[14:15], exec, s[40:41]
	s_cbranch_execz .LBB395_51
; %bb.50:                               ;   in Loop: Header=BB395_9 Depth=1
	v_fma_f32 v20, |v8|, s28, v51
	v_fma_f32 v20, |v8|, v20, s29
	;; [unrolled: 1-line block ×6, first 2 shown]
	v_fma_f32 v20, |v8|, v20, |v8|
	v_mul_f32_e32 v21, 0xbfb8aa3b, v20
	v_fma_f32 v22, v20, s35, -v21
	v_rndne_f32_e32 v30, v21
	v_fmac_f32_e32 v22, 0xb2a5705f, v20
	v_sub_f32_e32 v21, v21, v30
	v_add_f32_e32 v21, v21, v22
	v_cvt_i32_f32_e32 v22, v30
	v_exp_f32_e32 v21, v21
	v_cmp_nlt_f32_e32 vcc, s36, v20
	v_ldexp_f32 v21, v21, v22
	s_nop 0
	v_cndmask_b32_e32 v21, 0, v21, vcc
	v_cmp_ngt_f32_e32 vcc, s37, v20
	s_nop 1
	v_cndmask_b32_e32 v20, v52, v21, vcc
	v_sub_f32_e32 v20, 1.0, v20
.LBB395_51:                             ;   in Loop: Header=BB395_9 Depth=1
	s_andn2_saveexec_b64 s[14:15], s[14:15]
; %bb.52:                               ;   in Loop: Header=BB395_9 Depth=1
	v_mul_f32_e32 v20, v8, v8
	v_fmamk_f32 v21, v20, 0xba1345e1, v50
	v_fmaak_f32 v21, v20, v21, 0xbcdac9b8
	v_fmaak_f32 v21, v20, v21, 0x3de703be
	;; [unrolled: 1-line block ×4, first 2 shown]
	v_fma_f32 v20, |v8|, v20, |v8|
; %bb.53:                               ;   in Loop: Header=BB395_9 Depth=1
	s_or_b64 exec, exec, s[14:15]
	v_cvt_f32_f16_sdwa v9, v9 dst_sel:DWORD dst_unused:UNUSED_PAD src0_sel:WORD_1
                                        ; implicit-def: $vgpr22
	v_add_f32_e32 v9, v23, v9
	v_mul_f32_e32 v21, 0x3f3504f3, v9
	v_cmp_nlt_f32_e64 s[14:15], |v21|, 1.0
	s_and_saveexec_b64 s[40:41], s[14:15]
	s_xor_b64 s[14:15], exec, s[40:41]
	s_cbranch_execz .LBB395_55
; %bb.54:                               ;   in Loop: Header=BB395_9 Depth=1
	v_fma_f32 v22, |v21|, s28, v51
	v_fma_f32 v22, |v21|, v22, s29
	;; [unrolled: 1-line block ×6, first 2 shown]
	v_fma_f32 v22, |v21|, v22, |v21|
	v_mul_f32_e32 v23, 0xbfb8aa3b, v22
	v_fma_f32 v30, v22, s35, -v23
	v_rndne_f32_e32 v31, v23
	v_fmac_f32_e32 v30, 0xb2a5705f, v22
	v_sub_f32_e32 v23, v23, v31
	v_add_f32_e32 v23, v23, v30
	v_cvt_i32_f32_e32 v30, v31
	v_exp_f32_e32 v23, v23
	v_cmp_nlt_f32_e32 vcc, s36, v22
	v_ldexp_f32 v23, v23, v30
	s_nop 0
	v_cndmask_b32_e32 v23, 0, v23, vcc
	v_cmp_ngt_f32_e32 vcc, s37, v22
	s_nop 1
	v_cndmask_b32_e32 v22, v52, v23, vcc
	v_sub_f32_e32 v22, 1.0, v22
.LBB395_55:                             ;   in Loop: Header=BB395_9 Depth=1
	s_andn2_saveexec_b64 s[14:15], s[14:15]
; %bb.56:                               ;   in Loop: Header=BB395_9 Depth=1
	v_mul_f32_e32 v22, v21, v21
	v_fmamk_f32 v23, v22, 0xba1345e1, v50
	v_fmaak_f32 v23, v22, v23, 0xbcdac9b8
	v_fmaak_f32 v23, v22, v23, 0x3de703be
	;; [unrolled: 1-line block ×4, first 2 shown]
	v_fma_f32 v22, |v21|, v22, |v21|
; %bb.57:                               ;   in Loop: Header=BB395_9 Depth=1
	s_or_b64 exec, exec, s[14:15]
	v_bfi_b32 v8, s38, v20, v8
	v_cvt_f32_f16_sdwa v20, v1 dst_sel:DWORD dst_unused:UNUSED_PAD src0_sel:WORD_1
	v_cvt_f32_f16_e32 v1, v1
	v_mul_f32_e32 v0, 0.5, v0
	v_add_f32_e32 v8, 1.0, v8
	v_mul_f32_e32 v0, v0, v8
	v_add_f32_e32 v18, v18, v1
	v_mul_f32_e32 v1, 0.5, v9
	v_cvt_f32_f16_e32 v9, v10
	v_bfi_b32 v8, s38, v22, v21
	v_add_f32_e32 v8, 1.0, v8
	v_mul_f32_e32 v1, v1, v8
	v_add_f32_e32 v8, v12, v9
	v_mul_f32_e32 v9, 0x3f3504f3, v8
	v_cmp_nlt_f32_e64 s[14:15], |v9|, 1.0
	v_add_f32_e32 v19, v19, v20
	;;#ASMSTART
	v_pk_mul_f32 v[0:1], v[0:1], v[18:19]
	;;#ASMEND
                                        ; implicit-def: $vgpr12
	s_and_saveexec_b64 s[40:41], s[14:15]
	s_xor_b64 s[14:15], exec, s[40:41]
	s_cbranch_execz .LBB395_59
; %bb.58:                               ;   in Loop: Header=BB395_9 Depth=1
	v_fma_f32 v12, |v9|, s28, v51
	v_fma_f32 v12, |v9|, v12, s29
	;; [unrolled: 1-line block ×6, first 2 shown]
	v_fma_f32 v12, |v9|, v12, |v9|
	v_mul_f32_e32 v18, 0xbfb8aa3b, v12
	v_fma_f32 v19, v12, s35, -v18
	v_rndne_f32_e32 v20, v18
	v_fmac_f32_e32 v19, 0xb2a5705f, v12
	v_sub_f32_e32 v18, v18, v20
	v_add_f32_e32 v18, v18, v19
	v_cvt_i32_f32_e32 v19, v20
	v_exp_f32_e32 v18, v18
	v_cmp_nlt_f32_e32 vcc, s36, v12
	v_ldexp_f32 v18, v18, v19
	s_nop 0
	v_cndmask_b32_e32 v18, 0, v18, vcc
	v_cmp_ngt_f32_e32 vcc, s37, v12
	s_nop 1
	v_cndmask_b32_e32 v12, v52, v18, vcc
	v_sub_f32_e32 v12, 1.0, v12
.LBB395_59:                             ;   in Loop: Header=BB395_9 Depth=1
	s_andn2_saveexec_b64 s[14:15], s[14:15]
; %bb.60:                               ;   in Loop: Header=BB395_9 Depth=1
	v_mul_f32_e32 v12, v9, v9
	v_fmamk_f32 v18, v12, 0xba1345e1, v50
	v_fmaak_f32 v18, v12, v18, 0xbcdac9b8
	v_fmaak_f32 v18, v12, v18, 0x3de703be
	;; [unrolled: 1-line block ×4, first 2 shown]
	v_fma_f32 v12, |v9|, v12, |v9|
; %bb.61:                               ;   in Loop: Header=BB395_9 Depth=1
	s_or_b64 exec, exec, s[14:15]
	v_cvt_f32_f16_sdwa v10, v10 dst_sel:DWORD dst_unused:UNUSED_PAD src0_sel:WORD_1
                                        ; implicit-def: $vgpr18
	v_add_f32_e32 v10, v13, v10
	v_mul_f32_e32 v13, 0x3f3504f3, v10
	v_cmp_nlt_f32_e64 s[14:15], |v13|, 1.0
	s_and_saveexec_b64 s[40:41], s[14:15]
	s_xor_b64 s[14:15], exec, s[40:41]
	s_cbranch_execz .LBB395_63
; %bb.62:                               ;   in Loop: Header=BB395_9 Depth=1
	v_fma_f32 v18, |v13|, s28, v51
	v_fma_f32 v18, |v13|, v18, s29
	;; [unrolled: 1-line block ×6, first 2 shown]
	v_fma_f32 v18, |v13|, v18, |v13|
	v_mul_f32_e32 v19, 0xbfb8aa3b, v18
	v_fma_f32 v20, v18, s35, -v19
	v_rndne_f32_e32 v21, v19
	v_fmac_f32_e32 v20, 0xb2a5705f, v18
	v_sub_f32_e32 v19, v19, v21
	v_add_f32_e32 v19, v19, v20
	v_cvt_i32_f32_e32 v20, v21
	v_exp_f32_e32 v19, v19
	v_cmp_nlt_f32_e32 vcc, s36, v18
	v_ldexp_f32 v19, v19, v20
	s_nop 0
	v_cndmask_b32_e32 v19, 0, v19, vcc
	v_cmp_ngt_f32_e32 vcc, s37, v18
	s_nop 1
	v_cndmask_b32_e32 v18, v52, v19, vcc
	v_sub_f32_e32 v18, 1.0, v18
.LBB395_63:                             ;   in Loop: Header=BB395_9 Depth=1
	s_andn2_saveexec_b64 s[14:15], s[14:15]
; %bb.64:                               ;   in Loop: Header=BB395_9 Depth=1
	v_mul_f32_e32 v18, v13, v13
	v_fmamk_f32 v19, v18, 0xba1345e1, v50
	v_fmaak_f32 v19, v18, v19, 0xbcdac9b8
	v_fmaak_f32 v19, v18, v19, 0x3de703be
	;; [unrolled: 1-line block ×4, first 2 shown]
	v_fma_f32 v18, |v13|, v18, |v13|
; %bb.65:                               ;   in Loop: Header=BB395_9 Depth=1
	s_or_b64 exec, exec, s[14:15]
	v_bfi_b32 v9, s38, v12, v9
	v_cvt_f32_f16_sdwa v12, v2 dst_sel:DWORD dst_unused:UNUSED_PAD src0_sel:WORD_1
	v_cvt_f32_f16_e32 v2, v2
	v_mul_f32_e32 v8, 0.5, v8
	v_add_f32_e32 v9, 1.0, v9
	v_mul_f32_e32 v8, v8, v9
	s_waitcnt vmcnt(0)
	v_add_f32_e32 v4, v4, v2
	v_mul_f32_e32 v2, 0.5, v10
	v_cvt_f32_f16_e32 v10, v11
	v_bfi_b32 v9, s38, v18, v13
	v_add_f32_e32 v5, v5, v12
	v_add_f32_e32 v9, 1.0, v9
	v_mul_f32_e32 v9, v2, v9
	;;#ASMSTART
	v_pk_mul_f32 v[4:5], v[8:9], v[4:5]
	;;#ASMEND
	v_add_f32_e32 v8, v14, v10
	v_mul_f32_e32 v2, 0x3f3504f3, v8
	v_cmp_nlt_f32_e64 s[14:15], |v2|, 1.0
                                        ; implicit-def: $vgpr12
	s_and_saveexec_b64 s[40:41], s[14:15]
	s_xor_b64 s[14:15], exec, s[40:41]
	s_cbranch_execz .LBB395_67
; %bb.66:                               ;   in Loop: Header=BB395_9 Depth=1
	v_fma_f32 v9, |v2|, s28, v51
	v_fma_f32 v9, |v2|, v9, s29
	v_fma_f32 v9, |v2|, v9, s30
	v_fma_f32 v9, |v2|, v9, s31
	v_fma_f32 v9, |v2|, v9, s33
	v_fma_f32 v9, |v2|, v9, s34
	v_fma_f32 v9, |v2|, v9, |v2|
	v_mul_f32_e32 v10, 0xbfb8aa3b, v9
	v_fma_f32 v12, v9, s35, -v10
	v_rndne_f32_e32 v13, v10
	v_fmac_f32_e32 v12, 0xb2a5705f, v9
	v_sub_f32_e32 v10, v10, v13
	v_add_f32_e32 v10, v10, v12
	v_cvt_i32_f32_e32 v12, v13
	v_exp_f32_e32 v10, v10
	v_cmp_nlt_f32_e32 vcc, s36, v9
	v_ldexp_f32 v10, v10, v12
	s_nop 0
	v_cndmask_b32_e32 v10, 0, v10, vcc
	v_cmp_ngt_f32_e32 vcc, s37, v9
	s_nop 1
	v_cndmask_b32_e32 v9, v52, v10, vcc
	v_sub_f32_e32 v12, 1.0, v9
.LBB395_67:                             ;   in Loop: Header=BB395_9 Depth=1
	s_andn2_saveexec_b64 s[14:15], s[14:15]
; %bb.68:                               ;   in Loop: Header=BB395_9 Depth=1
	v_mul_f32_e32 v9, v2, v2
	v_fmamk_f32 v10, v9, 0xba1345e1, v50
	v_fmaak_f32 v10, v9, v10, 0xbcdac9b8
	v_fmaak_f32 v10, v9, v10, 0x3de703be
	;; [unrolled: 1-line block ×4, first 2 shown]
	v_fma_f32 v12, |v2|, v9, |v2|
; %bb.69:                               ;   in Loop: Header=BB395_9 Depth=1
	s_or_b64 exec, exec, s[14:15]
	v_cvt_f32_f16_sdwa v9, v11 dst_sel:DWORD dst_unused:UNUSED_PAD src0_sel:WORD_1
                                        ; implicit-def: $vgpr11
	v_add_f32_e32 v9, v15, v9
	v_mul_f32_e32 v10, 0x3f3504f3, v9
	v_cmp_nlt_f32_e64 s[14:15], |v10|, 1.0
	s_and_saveexec_b64 s[40:41], s[14:15]
	s_xor_b64 s[14:15], exec, s[40:41]
	s_cbranch_execz .LBB395_71
; %bb.70:                               ;   in Loop: Header=BB395_9 Depth=1
	v_fma_f32 v11, |v10|, s28, v51
	v_fma_f32 v11, |v10|, v11, s29
	;; [unrolled: 1-line block ×6, first 2 shown]
	v_fma_f32 v11, |v10|, v11, |v10|
	v_mul_f32_e32 v13, 0xbfb8aa3b, v11
	v_fma_f32 v14, v11, s35, -v13
	v_rndne_f32_e32 v15, v13
	v_fmac_f32_e32 v14, 0xb2a5705f, v11
	v_sub_f32_e32 v13, v13, v15
	v_add_f32_e32 v13, v13, v14
	v_cvt_i32_f32_e32 v14, v15
	v_exp_f32_e32 v13, v13
	v_cmp_nlt_f32_e32 vcc, s36, v11
	v_ldexp_f32 v13, v13, v14
	s_nop 0
	v_cndmask_b32_e32 v13, 0, v13, vcc
	v_cmp_ngt_f32_e32 vcc, s37, v11
	s_nop 1
	v_cndmask_b32_e32 v11, v52, v13, vcc
	v_sub_f32_e32 v11, 1.0, v11
.LBB395_71:                             ;   in Loop: Header=BB395_9 Depth=1
	s_andn2_saveexec_b64 s[14:15], s[14:15]
	s_cbranch_execz .LBB395_8
; %bb.72:                               ;   in Loop: Header=BB395_9 Depth=1
	v_mul_f32_e32 v11, v10, v10
	v_fmamk_f32 v13, v11, 0xba1345e1, v50
	v_fmaak_f32 v13, v11, v13, 0xbcdac9b8
	v_fmaak_f32 v13, v11, v13, 0x3de703be
	;; [unrolled: 1-line block ×4, first 2 shown]
	v_fma_f32 v11, |v10|, v11, |v10|
	s_branch .LBB395_8
.LBB395_73:
	s_endpgm
	.section	.rodata,"a",@progbits
	.p2align	6, 0x0
	.amdhsa_kernel _ZN5aiter23act_and_mul_bias_kernelIDF16_DF16_afTnPFfRKT2_EXadL_ZNS_11gelu_kernelIfEEfRKT_EELi16EEEvPT0_PS8_PKT1_PS2_il
		.amdhsa_group_segment_fixed_size 0
		.amdhsa_private_segment_fixed_size 0
		.amdhsa_kernarg_size 304
		.amdhsa_user_sgpr_count 2
		.amdhsa_user_sgpr_dispatch_ptr 0
		.amdhsa_user_sgpr_queue_ptr 0
		.amdhsa_user_sgpr_kernarg_segment_ptr 1
		.amdhsa_user_sgpr_dispatch_id 0
		.amdhsa_user_sgpr_kernarg_preload_length 0
		.amdhsa_user_sgpr_kernarg_preload_offset 0
		.amdhsa_user_sgpr_private_segment_size 0
		.amdhsa_uses_dynamic_stack 0
		.amdhsa_enable_private_segment 0
		.amdhsa_system_sgpr_workgroup_id_x 1
		.amdhsa_system_sgpr_workgroup_id_y 0
		.amdhsa_system_sgpr_workgroup_id_z 0
		.amdhsa_system_sgpr_workgroup_info 0
		.amdhsa_system_vgpr_workitem_id 0
		.amdhsa_next_free_vgpr 60
		.amdhsa_next_free_sgpr 42
		.amdhsa_accum_offset 60
		.amdhsa_reserve_vcc 1
		.amdhsa_float_round_mode_32 0
		.amdhsa_float_round_mode_16_64 0
		.amdhsa_float_denorm_mode_32 3
		.amdhsa_float_denorm_mode_16_64 3
		.amdhsa_dx10_clamp 1
		.amdhsa_ieee_mode 1
		.amdhsa_fp16_overflow 0
		.amdhsa_tg_split 0
		.amdhsa_exception_fp_ieee_invalid_op 0
		.amdhsa_exception_fp_denorm_src 0
		.amdhsa_exception_fp_ieee_div_zero 0
		.amdhsa_exception_fp_ieee_overflow 0
		.amdhsa_exception_fp_ieee_underflow 0
		.amdhsa_exception_fp_ieee_inexact 0
		.amdhsa_exception_int_div_zero 0
	.end_amdhsa_kernel
	.section	.text._ZN5aiter23act_and_mul_bias_kernelIDF16_DF16_afTnPFfRKT2_EXadL_ZNS_11gelu_kernelIfEEfRKT_EELi16EEEvPT0_PS8_PKT1_PS2_il,"axG",@progbits,_ZN5aiter23act_and_mul_bias_kernelIDF16_DF16_afTnPFfRKT2_EXadL_ZNS_11gelu_kernelIfEEfRKT_EELi16EEEvPT0_PS8_PKT1_PS2_il,comdat
.Lfunc_end395:
	.size	_ZN5aiter23act_and_mul_bias_kernelIDF16_DF16_afTnPFfRKT2_EXadL_ZNS_11gelu_kernelIfEEfRKT_EELi16EEEvPT0_PS8_PKT1_PS2_il, .Lfunc_end395-_ZN5aiter23act_and_mul_bias_kernelIDF16_DF16_afTnPFfRKT2_EXadL_ZNS_11gelu_kernelIfEEfRKT_EELi16EEEvPT0_PS8_PKT1_PS2_il
                                        ; -- End function
	.section	.AMDGPU.csdata,"",@progbits
; Kernel info:
; codeLenInByte = 5260
; NumSgprs: 48
; NumVgprs: 60
; NumAgprs: 0
; TotalNumVgprs: 60
; ScratchSize: 0
; MemoryBound: 0
; FloatMode: 240
; IeeeMode: 1
; LDSByteSize: 0 bytes/workgroup (compile time only)
; SGPRBlocks: 5
; VGPRBlocks: 7
; NumSGPRsForWavesPerEU: 48
; NumVGPRsForWavesPerEU: 60
; AccumOffset: 60
; Occupancy: 8
; WaveLimiterHint : 0
; COMPUTE_PGM_RSRC2:SCRATCH_EN: 0
; COMPUTE_PGM_RSRC2:USER_SGPR: 2
; COMPUTE_PGM_RSRC2:TRAP_HANDLER: 0
; COMPUTE_PGM_RSRC2:TGID_X_EN: 1
; COMPUTE_PGM_RSRC2:TGID_Y_EN: 0
; COMPUTE_PGM_RSRC2:TGID_Z_EN: 0
; COMPUTE_PGM_RSRC2:TIDIG_COMP_CNT: 0
; COMPUTE_PGM_RSRC3_GFX90A:ACCUM_OFFSET: 14
; COMPUTE_PGM_RSRC3_GFX90A:TG_SPLIT: 0
	.section	.text._ZN5aiter23act_and_mul_bias_kernelIDF16_DF16_afTnPFfRKT2_EXadL_ZNS_11gelu_kernelIfEEfRKT_EELi8EEEvPT0_PS8_PKT1_PS2_il,"axG",@progbits,_ZN5aiter23act_and_mul_bias_kernelIDF16_DF16_afTnPFfRKT2_EXadL_ZNS_11gelu_kernelIfEEfRKT_EELi8EEEvPT0_PS8_PKT1_PS2_il,comdat
	.protected	_ZN5aiter23act_and_mul_bias_kernelIDF16_DF16_afTnPFfRKT2_EXadL_ZNS_11gelu_kernelIfEEfRKT_EELi8EEEvPT0_PS8_PKT1_PS2_il ; -- Begin function _ZN5aiter23act_and_mul_bias_kernelIDF16_DF16_afTnPFfRKT2_EXadL_ZNS_11gelu_kernelIfEEfRKT_EELi8EEEvPT0_PS8_PKT1_PS2_il
	.globl	_ZN5aiter23act_and_mul_bias_kernelIDF16_DF16_afTnPFfRKT2_EXadL_ZNS_11gelu_kernelIfEEfRKT_EELi8EEEvPT0_PS8_PKT1_PS2_il
	.p2align	8
	.type	_ZN5aiter23act_and_mul_bias_kernelIDF16_DF16_afTnPFfRKT2_EXadL_ZNS_11gelu_kernelIfEEfRKT_EELi8EEEvPT0_PS8_PKT1_PS2_il,@function
_ZN5aiter23act_and_mul_bias_kernelIDF16_DF16_afTnPFfRKT2_EXadL_ZNS_11gelu_kernelIfEEfRKT_EELi8EEEvPT0_PS8_PKT1_PS2_il: ; @_ZN5aiter23act_and_mul_bias_kernelIDF16_DF16_afTnPFfRKT2_EXadL_ZNS_11gelu_kernelIfEEfRKT_EELi8EEEvPT0_PS8_PKT1_PS2_il
; %bb.0:
	s_load_dwordx2 s[4:5], s[0:1], 0x10
	s_load_dword s24, s[0:1], 0x20
	s_load_dwordx2 s[6:7], s[0:1], 0x28
	v_mov_b32_e32 v1, s2
	s_mov_b32 s9, 0
	s_waitcnt lgkmcnt(0)
	global_load_ubyte v1, v1, s[4:5]
	s_add_i32 s3, s24, 1
	v_mov_b64_e32 v[2:3], s[6:7]
	s_lshr_b32 s6, s3, 31
	s_add_i32 s3, s3, s6
	s_load_dwordx2 s[4:5], s[0:1], 0x0
	s_lshl_b32 s3, s3, 1
	s_ashr_i32 s25, s24, 31
	s_and_b32 s6, s3, -4
	s_mul_hi_u32 s8, s24, s2
	s_mul_i32 s7, s25, s2
	s_mul_i32 s12, s24, s2
	s_add_i32 s13, s8, s7
	s_lshl_b64 s[12:13], s[12:13], 1
	s_mov_b64 s[10:11], -1
	v_lshlrev_b32_e32 v24, 3, v0
	s_waitcnt vmcnt(0)
	v_readfirstlane_b32 s3, v1
	s_nop 1
	v_mov_b32_e32 v4, s3
	s_sext_i32_i8 s3, s3
	v_readfirstlane_b32 s8, v4
	s_bfe_i64 s[8:9], s[8:9], 0x80000
	s_waitcnt lgkmcnt(0)
	s_add_u32 s4, s4, s12
	s_addc_u32 s5, s5, s13
	s_and_b32 s5, s5, 0xffff
	s_cmp_gt_i32 s3, -1
	v_cmp_lt_i64_e32 vcc, s[8:9], v[2:3]
	s_cselect_b64 s[12:13], -1, 0
	s_and_b64 s[12:13], s[12:13], vcc
	s_and_b64 vcc, exec, s[12:13]
	s_cbranch_vccnz .LBB396_5
; %bb.1:
	v_cmp_gt_i32_e32 vcc, s24, v24
	s_and_saveexec_b64 s[10:11], vcc
	s_cbranch_execz .LBB396_4
; %bb.2:
	s_load_dword s3, s[0:1], 0x3c
	v_mov_b32_e32 v25, 0
	s_mov_b32 s13, 0
	v_lshlrev_b32_e32 v6, 4, v0
	s_mov_b64 s[14:15], 0
	s_waitcnt lgkmcnt(0)
	s_and_b32 s3, s3, 0xffff
	s_lshl_b32 s12, s3, 3
	s_lshl_b32 s3, s3, 4
	s_mov_b32 s7, 0x20000
	v_mov_b32_e32 v0, v25
	v_mov_b32_e32 v1, v25
	;; [unrolled: 1-line block ×4, first 2 shown]
	v_mov_b64_e32 v[4:5], v[24:25]
.LBB396_3:                              ; =>This Inner Loop Header: Depth=1
	v_lshl_add_u64 v[4:5], s[12:13], 0, v[4:5]
	v_cmp_le_i64_e32 vcc, s[24:25], v[4:5]
	buffer_store_dwordx4 v[0:3], v6, s[4:7], 0 offen
	s_or_b64 s[14:15], vcc, s[14:15]
	v_add_u32_e32 v6, s3, v6
	s_andn2_b64 exec, exec, s[14:15]
	s_cbranch_execnz .LBB396_3
.LBB396_4:
	s_or_b64 exec, exec, s[10:11]
	s_mov_b64 s[10:11], 0
.LBB396_5:
	s_andn2_b64 vcc, exec, s[10:11]
	s_cbranch_vccnz .LBB396_41
; %bb.6:
	v_cmp_gt_i32_e32 vcc, s24, v24
	s_and_saveexec_b64 s[10:11], vcc
	s_cbranch_execz .LBB396_41
; %bb.7:
	s_load_dwordx2 s[14:15], s[0:1], 0x8
	s_load_dwordx2 s[10:11], s[0:1], 0x18
	s_mul_hi_i32 s9, s24, s8
	s_mul_i32 s8, s24, s8
	s_lshl_b64 s[8:9], s[8:9], 3
	s_mul_i32 s16, s2, s25
	s_waitcnt lgkmcnt(0)
	s_add_u32 s8, s10, s8
	s_addc_u32 s7, s11, s9
	s_lshl_b64 s[10:11], s[24:25], 2
	s_add_u32 s12, s8, s10
	s_mul_hi_u32 s17, s2, s24
	s_addc_u32 s13, s7, s11
	s_add_i32 s17, s17, s16
	s_mul_i32 s16, s2, s24
	s_lshl_b32 s10, s24, 2
	s_and_b32 s9, s7, 0xffff
	s_and_b32 s13, s13, 0xffff
	s_lshl_b64 s[16:17], s[16:17], 2
	s_add_u32 s16, s14, s16
	s_addc_u32 s2, s15, s17
	s_lshl_b64 s[14:15], s[24:25], 1
	s_add_u32 s20, s16, s14
	s_addc_u32 s14, s2, s15
	s_and_b32 s17, s2, 0xffff
	s_and_b32 s21, s14, 0xffff
	s_mov_b32 s7, 0x20000
	s_add_u32 s0, s0, 48
	s_mov_b32 s3, 0
	s_mov_b32 s11, s7
	v_mov_b32_e32 v25, 0
	s_addc_u32 s1, s1, 0
	s_mov_b64 s[26:27], 0
	s_mov_b32 s23, s7
	s_mov_b32 s22, s6
	;; [unrolled: 1-line block ×13, first 2 shown]
	v_mov_b32_e32 v26, 0x3ba10414
	s_brev_b32 s38, -2
	v_mov_b32_e32 v27, 0xb9c68948
	v_mov_b32_e32 v28, 0x7f800000
                                        ; implicit-def: $vgpr0
                                        ; implicit-def: $vgpr0
	;; [unrolled: 1-line block ×4, first 2 shown]
	s_branch .LBB396_9
.LBB396_8:                              ;   in Loop: Header=BB396_9 Depth=1
	s_or_b64 exec, exec, s[14:15]
	v_cvt_f32_f16_sdwa v13, v3 dst_sel:DWORD dst_unused:UNUSED_PAD src0_sel:WORD_1
	v_cvt_f32_f16_e32 v3, v3
	v_bfi_b32 v2, s38, v9, v2
	v_mul_f32_e32 v8, 0.5, v8
	v_add_f32_e32 v2, 1.0, v2
	v_add_f32_e32 v6, v6, v3
	v_mul_f32_e32 v3, 0.5, v10
	v_bfi_b32 v10, s38, v12, v11
	v_add_f32_e32 v10, 1.0, v10
	v_mul_f32_e32 v2, v8, v2
	v_mul_f32_e32 v3, v3, v10
	v_add_f32_e32 v7, v7, v13
	;;#ASMSTART
	v_pk_mul_f32 v[2:3], v[2:3], v[6:7]
	;;#ASMEND
	s_load_dword s2, s[0:1], 0xc
	v_cvt_f16_f32_e32 v8, v16
	v_cvt_f16_f32_e32 v9, v17
	;; [unrolled: 1-line block ×8, first 2 shown]
	s_waitcnt lgkmcnt(0)
	s_and_b32 s2, s2, 0xffff
	s_lshl_b32 s2, s2, 3
	v_lshl_add_u64 v[24:25], s[2:3], 0, v[24:25]
	v_cmp_le_i64_e32 vcc, s[24:25], v[24:25]
	v_pack_b32_f16 v3, v2, v3
	v_pack_b32_f16 v2, v4, v5
	;; [unrolled: 1-line block ×4, first 2 shown]
	s_or_b64 s[26:27], vcc, s[26:27]
	buffer_store_dwordx4 v[0:3], v29, s[4:7], 0 offen
	s_andn2_b64 exec, exec, s[26:27]
	s_cbranch_execz .LBB396_41
.LBB396_9:                              ; =>This Inner Loop Header: Depth=1
	v_lshlrev_b32_e32 v29, 1, v24
	buffer_load_dwordx4 v[8:11], v29, s[16:19], 0 offen
	buffer_load_dwordx4 v[0:3], v29, s[20:23], 0 offen
	v_lshlrev_b32_e32 v30, 2, v24
	buffer_load_dwordx4 v[20:23], v30, s[8:11], 0 offen
	buffer_load_dwordx4 v[12:15], v30, s[8:11], 16 offen
	s_mov_b32 s14, s10
	s_mov_b32 s15, s11
	buffer_load_dwordx4 v[16:19], v30, s[12:15], 0 offen
	buffer_load_dwordx4 v[4:7], v30, s[12:15], 16 offen
                                        ; implicit-def: $vgpr31
	s_waitcnt vmcnt(5)
	v_cvt_f32_f16_e32 v30, v8
	s_waitcnt vmcnt(3)
	v_add_f32_e32 v20, v20, v30
	v_mul_f32_e32 v30, 0x3f3504f3, v20
	v_cmp_nlt_f32_e64 s[14:15], |v30|, 1.0
	s_and_saveexec_b64 s[40:41], s[14:15]
	s_xor_b64 s[14:15], exec, s[40:41]
	s_cbranch_execz .LBB396_11
; %bb.10:                               ;   in Loop: Header=BB396_9 Depth=1
	v_fma_f32 v31, |v30|, s28, v27
	v_fma_f32 v31, |v30|, v31, s29
	v_fma_f32 v31, |v30|, v31, s30
	v_fma_f32 v31, |v30|, v31, s31
	v_fma_f32 v31, |v30|, v31, s33
	v_fma_f32 v31, |v30|, v31, s34
	v_fma_f32 v31, |v30|, v31, |v30|
	v_mul_f32_e32 v32, 0xbfb8aa3b, v31
	v_fma_f32 v33, v31, s35, -v32
	v_rndne_f32_e32 v34, v32
	v_fmac_f32_e32 v33, 0xb2a5705f, v31
	v_sub_f32_e32 v32, v32, v34
	v_add_f32_e32 v32, v32, v33
	v_cvt_i32_f32_e32 v33, v34
	v_exp_f32_e32 v32, v32
	v_cmp_nlt_f32_e32 vcc, s36, v31
	v_ldexp_f32 v32, v32, v33
	s_nop 0
	v_cndmask_b32_e32 v32, 0, v32, vcc
	v_cmp_ngt_f32_e32 vcc, s37, v31
	s_nop 1
	v_cndmask_b32_e32 v31, v28, v32, vcc
	v_sub_f32_e32 v31, 1.0, v31
.LBB396_11:                             ;   in Loop: Header=BB396_9 Depth=1
	s_andn2_saveexec_b64 s[14:15], s[14:15]
; %bb.12:                               ;   in Loop: Header=BB396_9 Depth=1
	v_mul_f32_e32 v31, v30, v30
	v_fmamk_f32 v32, v31, 0xba1345e1, v26
	v_fmaak_f32 v32, v31, v32, 0xbcdac9b8
	v_fmaak_f32 v32, v31, v32, 0x3de703be
	;; [unrolled: 1-line block ×4, first 2 shown]
	v_fma_f32 v31, |v30|, v31, |v30|
; %bb.13:                               ;   in Loop: Header=BB396_9 Depth=1
	s_or_b64 exec, exec, s[14:15]
	v_cvt_f32_f16_sdwa v8, v8 dst_sel:DWORD dst_unused:UNUSED_PAD src0_sel:WORD_1
                                        ; implicit-def: $vgpr32
	v_add_f32_e32 v8, v21, v8
	v_mul_f32_e32 v21, 0x3f3504f3, v8
	v_cmp_nlt_f32_e64 s[14:15], |v21|, 1.0
	s_and_saveexec_b64 s[40:41], s[14:15]
	s_xor_b64 s[14:15], exec, s[40:41]
	s_cbranch_execz .LBB396_15
; %bb.14:                               ;   in Loop: Header=BB396_9 Depth=1
	v_fma_f32 v32, |v21|, s28, v27
	v_fma_f32 v32, |v21|, v32, s29
	;; [unrolled: 1-line block ×6, first 2 shown]
	v_fma_f32 v32, |v21|, v32, |v21|
	v_mul_f32_e32 v33, 0xbfb8aa3b, v32
	v_fma_f32 v34, v32, s35, -v33
	v_rndne_f32_e32 v35, v33
	v_fmac_f32_e32 v34, 0xb2a5705f, v32
	v_sub_f32_e32 v33, v33, v35
	v_add_f32_e32 v33, v33, v34
	v_cvt_i32_f32_e32 v34, v35
	v_exp_f32_e32 v33, v33
	v_cmp_nlt_f32_e32 vcc, s36, v32
	v_ldexp_f32 v33, v33, v34
	s_nop 0
	v_cndmask_b32_e32 v33, 0, v33, vcc
	v_cmp_ngt_f32_e32 vcc, s37, v32
	s_nop 1
	v_cndmask_b32_e32 v32, v28, v33, vcc
	v_sub_f32_e32 v32, 1.0, v32
.LBB396_15:                             ;   in Loop: Header=BB396_9 Depth=1
	s_andn2_saveexec_b64 s[14:15], s[14:15]
; %bb.16:                               ;   in Loop: Header=BB396_9 Depth=1
	v_mul_f32_e32 v32, v21, v21
	v_fmamk_f32 v33, v32, 0xba1345e1, v26
	v_fmaak_f32 v33, v32, v33, 0xbcdac9b8
	v_fmaak_f32 v33, v32, v33, 0x3de703be
	;; [unrolled: 1-line block ×4, first 2 shown]
	v_fma_f32 v32, |v21|, v32, |v21|
; %bb.17:                               ;   in Loop: Header=BB396_9 Depth=1
	s_or_b64 exec, exec, s[14:15]
	v_bfi_b32 v30, s38, v31, v30
	v_cvt_f32_f16_sdwa v31, v0 dst_sel:DWORD dst_unused:UNUSED_PAD src0_sel:WORD_1
	v_cvt_f32_f16_e32 v0, v0
	v_mul_f32_e32 v20, 0.5, v20
	v_add_f32_e32 v30, 1.0, v30
	v_mul_f32_e32 v20, v20, v30
	v_cvt_f32_f16_e32 v30, v9
	s_waitcnt vmcnt(1)
	v_add_f32_e32 v16, v16, v0
	v_mul_f32_e32 v0, 0.5, v8
	v_bfi_b32 v8, s38, v32, v21
	v_add_f32_e32 v8, 1.0, v8
	v_mul_f32_e32 v21, v0, v8
	v_add_f32_e32 v0, v22, v30
	v_mul_f32_e32 v8, 0x3f3504f3, v0
	v_add_f32_e32 v17, v17, v31
	v_cmp_nlt_f32_e64 s[14:15], |v8|, 1.0
	;;#ASMSTART
	v_pk_mul_f32 v[16:17], v[20:21], v[16:17]
	;;#ASMEND
                                        ; implicit-def: $vgpr20
	s_and_saveexec_b64 s[40:41], s[14:15]
	s_xor_b64 s[14:15], exec, s[40:41]
	s_cbranch_execz .LBB396_19
; %bb.18:                               ;   in Loop: Header=BB396_9 Depth=1
	v_fma_f32 v20, |v8|, s28, v27
	v_fma_f32 v20, |v8|, v20, s29
	;; [unrolled: 1-line block ×6, first 2 shown]
	v_fma_f32 v20, |v8|, v20, |v8|
	v_mul_f32_e32 v21, 0xbfb8aa3b, v20
	v_fma_f32 v22, v20, s35, -v21
	v_rndne_f32_e32 v30, v21
	v_fmac_f32_e32 v22, 0xb2a5705f, v20
	v_sub_f32_e32 v21, v21, v30
	v_add_f32_e32 v21, v21, v22
	v_cvt_i32_f32_e32 v22, v30
	v_exp_f32_e32 v21, v21
	v_cmp_nlt_f32_e32 vcc, s36, v20
	v_ldexp_f32 v21, v21, v22
	s_nop 0
	v_cndmask_b32_e32 v21, 0, v21, vcc
	v_cmp_ngt_f32_e32 vcc, s37, v20
	s_nop 1
	v_cndmask_b32_e32 v20, v28, v21, vcc
	v_sub_f32_e32 v20, 1.0, v20
.LBB396_19:                             ;   in Loop: Header=BB396_9 Depth=1
	s_andn2_saveexec_b64 s[14:15], s[14:15]
; %bb.20:                               ;   in Loop: Header=BB396_9 Depth=1
	v_mul_f32_e32 v20, v8, v8
	v_fmamk_f32 v21, v20, 0xba1345e1, v26
	v_fmaak_f32 v21, v20, v21, 0xbcdac9b8
	v_fmaak_f32 v21, v20, v21, 0x3de703be
	;; [unrolled: 1-line block ×4, first 2 shown]
	v_fma_f32 v20, |v8|, v20, |v8|
; %bb.21:                               ;   in Loop: Header=BB396_9 Depth=1
	s_or_b64 exec, exec, s[14:15]
	v_cvt_f32_f16_sdwa v9, v9 dst_sel:DWORD dst_unused:UNUSED_PAD src0_sel:WORD_1
                                        ; implicit-def: $vgpr22
	v_add_f32_e32 v9, v23, v9
	v_mul_f32_e32 v21, 0x3f3504f3, v9
	v_cmp_nlt_f32_e64 s[14:15], |v21|, 1.0
	s_and_saveexec_b64 s[40:41], s[14:15]
	s_xor_b64 s[14:15], exec, s[40:41]
	s_cbranch_execz .LBB396_23
; %bb.22:                               ;   in Loop: Header=BB396_9 Depth=1
	v_fma_f32 v22, |v21|, s28, v27
	v_fma_f32 v22, |v21|, v22, s29
	;; [unrolled: 1-line block ×6, first 2 shown]
	v_fma_f32 v22, |v21|, v22, |v21|
	v_mul_f32_e32 v23, 0xbfb8aa3b, v22
	v_fma_f32 v30, v22, s35, -v23
	v_rndne_f32_e32 v31, v23
	v_fmac_f32_e32 v30, 0xb2a5705f, v22
	v_sub_f32_e32 v23, v23, v31
	v_add_f32_e32 v23, v23, v30
	v_cvt_i32_f32_e32 v30, v31
	v_exp_f32_e32 v23, v23
	v_cmp_nlt_f32_e32 vcc, s36, v22
	v_ldexp_f32 v23, v23, v30
	s_nop 0
	v_cndmask_b32_e32 v23, 0, v23, vcc
	v_cmp_ngt_f32_e32 vcc, s37, v22
	s_nop 1
	v_cndmask_b32_e32 v22, v28, v23, vcc
	v_sub_f32_e32 v22, 1.0, v22
.LBB396_23:                             ;   in Loop: Header=BB396_9 Depth=1
	s_andn2_saveexec_b64 s[14:15], s[14:15]
; %bb.24:                               ;   in Loop: Header=BB396_9 Depth=1
	v_mul_f32_e32 v22, v21, v21
	v_fmamk_f32 v23, v22, 0xba1345e1, v26
	v_fmaak_f32 v23, v22, v23, 0xbcdac9b8
	v_fmaak_f32 v23, v22, v23, 0x3de703be
	;; [unrolled: 1-line block ×4, first 2 shown]
	v_fma_f32 v22, |v21|, v22, |v21|
; %bb.25:                               ;   in Loop: Header=BB396_9 Depth=1
	s_or_b64 exec, exec, s[14:15]
	v_bfi_b32 v8, s38, v20, v8
	v_cvt_f32_f16_sdwa v20, v1 dst_sel:DWORD dst_unused:UNUSED_PAD src0_sel:WORD_1
	v_cvt_f32_f16_e32 v1, v1
	v_mul_f32_e32 v0, 0.5, v0
	v_add_f32_e32 v8, 1.0, v8
	v_mul_f32_e32 v0, v0, v8
	v_add_f32_e32 v18, v18, v1
	v_mul_f32_e32 v1, 0.5, v9
	v_cvt_f32_f16_e32 v9, v10
	v_bfi_b32 v8, s38, v22, v21
	v_add_f32_e32 v8, 1.0, v8
	v_mul_f32_e32 v1, v1, v8
	v_add_f32_e32 v8, v12, v9
	v_mul_f32_e32 v9, 0x3f3504f3, v8
	v_cmp_nlt_f32_e64 s[14:15], |v9|, 1.0
	v_add_f32_e32 v19, v19, v20
	;;#ASMSTART
	v_pk_mul_f32 v[0:1], v[0:1], v[18:19]
	;;#ASMEND
                                        ; implicit-def: $vgpr12
	s_and_saveexec_b64 s[40:41], s[14:15]
	s_xor_b64 s[14:15], exec, s[40:41]
	s_cbranch_execz .LBB396_27
; %bb.26:                               ;   in Loop: Header=BB396_9 Depth=1
	v_fma_f32 v12, |v9|, s28, v27
	v_fma_f32 v12, |v9|, v12, s29
	;; [unrolled: 1-line block ×6, first 2 shown]
	v_fma_f32 v12, |v9|, v12, |v9|
	v_mul_f32_e32 v18, 0xbfb8aa3b, v12
	v_fma_f32 v19, v12, s35, -v18
	v_rndne_f32_e32 v20, v18
	v_fmac_f32_e32 v19, 0xb2a5705f, v12
	v_sub_f32_e32 v18, v18, v20
	v_add_f32_e32 v18, v18, v19
	v_cvt_i32_f32_e32 v19, v20
	v_exp_f32_e32 v18, v18
	v_cmp_nlt_f32_e32 vcc, s36, v12
	v_ldexp_f32 v18, v18, v19
	s_nop 0
	v_cndmask_b32_e32 v18, 0, v18, vcc
	v_cmp_ngt_f32_e32 vcc, s37, v12
	s_nop 1
	v_cndmask_b32_e32 v12, v28, v18, vcc
	v_sub_f32_e32 v12, 1.0, v12
.LBB396_27:                             ;   in Loop: Header=BB396_9 Depth=1
	s_andn2_saveexec_b64 s[14:15], s[14:15]
; %bb.28:                               ;   in Loop: Header=BB396_9 Depth=1
	v_mul_f32_e32 v12, v9, v9
	v_fmamk_f32 v18, v12, 0xba1345e1, v26
	v_fmaak_f32 v18, v12, v18, 0xbcdac9b8
	v_fmaak_f32 v18, v12, v18, 0x3de703be
	;; [unrolled: 1-line block ×4, first 2 shown]
	v_fma_f32 v12, |v9|, v12, |v9|
; %bb.29:                               ;   in Loop: Header=BB396_9 Depth=1
	s_or_b64 exec, exec, s[14:15]
	v_cvt_f32_f16_sdwa v10, v10 dst_sel:DWORD dst_unused:UNUSED_PAD src0_sel:WORD_1
                                        ; implicit-def: $vgpr18
	v_add_f32_e32 v10, v13, v10
	v_mul_f32_e32 v13, 0x3f3504f3, v10
	v_cmp_nlt_f32_e64 s[14:15], |v13|, 1.0
	s_and_saveexec_b64 s[40:41], s[14:15]
	s_xor_b64 s[14:15], exec, s[40:41]
	s_cbranch_execz .LBB396_31
; %bb.30:                               ;   in Loop: Header=BB396_9 Depth=1
	v_fma_f32 v18, |v13|, s28, v27
	v_fma_f32 v18, |v13|, v18, s29
	;; [unrolled: 1-line block ×6, first 2 shown]
	v_fma_f32 v18, |v13|, v18, |v13|
	v_mul_f32_e32 v19, 0xbfb8aa3b, v18
	v_fma_f32 v20, v18, s35, -v19
	v_rndne_f32_e32 v21, v19
	v_fmac_f32_e32 v20, 0xb2a5705f, v18
	v_sub_f32_e32 v19, v19, v21
	v_add_f32_e32 v19, v19, v20
	v_cvt_i32_f32_e32 v20, v21
	v_exp_f32_e32 v19, v19
	v_cmp_nlt_f32_e32 vcc, s36, v18
	v_ldexp_f32 v19, v19, v20
	s_nop 0
	v_cndmask_b32_e32 v19, 0, v19, vcc
	v_cmp_ngt_f32_e32 vcc, s37, v18
	s_nop 1
	v_cndmask_b32_e32 v18, v28, v19, vcc
	v_sub_f32_e32 v18, 1.0, v18
.LBB396_31:                             ;   in Loop: Header=BB396_9 Depth=1
	s_andn2_saveexec_b64 s[14:15], s[14:15]
; %bb.32:                               ;   in Loop: Header=BB396_9 Depth=1
	v_mul_f32_e32 v18, v13, v13
	v_fmamk_f32 v19, v18, 0xba1345e1, v26
	v_fmaak_f32 v19, v18, v19, 0xbcdac9b8
	v_fmaak_f32 v19, v18, v19, 0x3de703be
	;; [unrolled: 1-line block ×4, first 2 shown]
	v_fma_f32 v18, |v13|, v18, |v13|
; %bb.33:                               ;   in Loop: Header=BB396_9 Depth=1
	s_or_b64 exec, exec, s[14:15]
	v_bfi_b32 v9, s38, v12, v9
	v_cvt_f32_f16_sdwa v12, v2 dst_sel:DWORD dst_unused:UNUSED_PAD src0_sel:WORD_1
	v_cvt_f32_f16_e32 v2, v2
	v_mul_f32_e32 v8, 0.5, v8
	v_add_f32_e32 v9, 1.0, v9
	v_mul_f32_e32 v8, v8, v9
	s_waitcnt vmcnt(0)
	v_add_f32_e32 v4, v4, v2
	v_mul_f32_e32 v2, 0.5, v10
	v_cvt_f32_f16_e32 v10, v11
	v_bfi_b32 v9, s38, v18, v13
	v_add_f32_e32 v5, v5, v12
	v_add_f32_e32 v9, 1.0, v9
	v_mul_f32_e32 v9, v2, v9
	;;#ASMSTART
	v_pk_mul_f32 v[4:5], v[8:9], v[4:5]
	;;#ASMEND
	v_add_f32_e32 v8, v14, v10
	v_mul_f32_e32 v2, 0x3f3504f3, v8
	v_cmp_nlt_f32_e64 s[14:15], |v2|, 1.0
                                        ; implicit-def: $vgpr9
	s_and_saveexec_b64 s[40:41], s[14:15]
	s_xor_b64 s[14:15], exec, s[40:41]
	s_cbranch_execz .LBB396_35
; %bb.34:                               ;   in Loop: Header=BB396_9 Depth=1
	v_fma_f32 v9, |v2|, s28, v27
	v_fma_f32 v9, |v2|, v9, s29
	;; [unrolled: 1-line block ×6, first 2 shown]
	v_fma_f32 v9, |v2|, v9, |v2|
	v_mul_f32_e32 v10, 0xbfb8aa3b, v9
	v_fma_f32 v12, v9, s35, -v10
	v_rndne_f32_e32 v13, v10
	v_fmac_f32_e32 v12, 0xb2a5705f, v9
	v_sub_f32_e32 v10, v10, v13
	v_add_f32_e32 v10, v10, v12
	v_cvt_i32_f32_e32 v12, v13
	v_exp_f32_e32 v10, v10
	v_cmp_nlt_f32_e32 vcc, s36, v9
	v_ldexp_f32 v10, v10, v12
	s_nop 0
	v_cndmask_b32_e32 v10, 0, v10, vcc
	v_cmp_ngt_f32_e32 vcc, s37, v9
	s_nop 1
	v_cndmask_b32_e32 v9, v28, v10, vcc
	v_sub_f32_e32 v9, 1.0, v9
.LBB396_35:                             ;   in Loop: Header=BB396_9 Depth=1
	s_andn2_saveexec_b64 s[14:15], s[14:15]
; %bb.36:                               ;   in Loop: Header=BB396_9 Depth=1
	v_mul_f32_e32 v9, v2, v2
	v_fmamk_f32 v10, v9, 0xba1345e1, v26
	v_fmaak_f32 v10, v9, v10, 0xbcdac9b8
	v_fmaak_f32 v10, v9, v10, 0x3de703be
	;; [unrolled: 1-line block ×4, first 2 shown]
	v_fma_f32 v9, |v2|, v9, |v2|
; %bb.37:                               ;   in Loop: Header=BB396_9 Depth=1
	s_or_b64 exec, exec, s[14:15]
	v_cvt_f32_f16_sdwa v10, v11 dst_sel:DWORD dst_unused:UNUSED_PAD src0_sel:WORD_1
                                        ; implicit-def: $vgpr12
	v_add_f32_e32 v10, v15, v10
	v_mul_f32_e32 v11, 0x3f3504f3, v10
	v_cmp_nlt_f32_e64 s[14:15], |v11|, 1.0
	s_and_saveexec_b64 s[40:41], s[14:15]
	s_xor_b64 s[14:15], exec, s[40:41]
	s_cbranch_execz .LBB396_39
; %bb.38:                               ;   in Loop: Header=BB396_9 Depth=1
	v_fma_f32 v12, |v11|, s28, v27
	v_fma_f32 v12, |v11|, v12, s29
	;; [unrolled: 1-line block ×6, first 2 shown]
	v_fma_f32 v12, |v11|, v12, |v11|
	v_mul_f32_e32 v13, 0xbfb8aa3b, v12
	v_fma_f32 v14, v12, s35, -v13
	v_rndne_f32_e32 v15, v13
	v_fmac_f32_e32 v14, 0xb2a5705f, v12
	v_sub_f32_e32 v13, v13, v15
	v_add_f32_e32 v13, v13, v14
	v_cvt_i32_f32_e32 v14, v15
	v_exp_f32_e32 v13, v13
	v_cmp_nlt_f32_e32 vcc, s36, v12
	v_ldexp_f32 v13, v13, v14
	s_nop 0
	v_cndmask_b32_e32 v13, 0, v13, vcc
	v_cmp_ngt_f32_e32 vcc, s37, v12
	s_nop 1
	v_cndmask_b32_e32 v12, v28, v13, vcc
	v_sub_f32_e32 v12, 1.0, v12
.LBB396_39:                             ;   in Loop: Header=BB396_9 Depth=1
	s_andn2_saveexec_b64 s[14:15], s[14:15]
	s_cbranch_execz .LBB396_8
; %bb.40:                               ;   in Loop: Header=BB396_9 Depth=1
	v_mul_f32_e32 v12, v11, v11
	v_fmamk_f32 v13, v12, 0xba1345e1, v26
	v_fmaak_f32 v13, v12, v13, 0xbcdac9b8
	v_fmaak_f32 v13, v12, v13, 0x3de703be
	;; [unrolled: 1-line block ×4, first 2 shown]
	v_fma_f32 v12, |v11|, v12, |v11|
	s_branch .LBB396_8
.LBB396_41:
	s_endpgm
	.section	.rodata,"a",@progbits
	.p2align	6, 0x0
	.amdhsa_kernel _ZN5aiter23act_and_mul_bias_kernelIDF16_DF16_afTnPFfRKT2_EXadL_ZNS_11gelu_kernelIfEEfRKT_EELi8EEEvPT0_PS8_PKT1_PS2_il
		.amdhsa_group_segment_fixed_size 0
		.amdhsa_private_segment_fixed_size 0
		.amdhsa_kernarg_size 304
		.amdhsa_user_sgpr_count 2
		.amdhsa_user_sgpr_dispatch_ptr 0
		.amdhsa_user_sgpr_queue_ptr 0
		.amdhsa_user_sgpr_kernarg_segment_ptr 1
		.amdhsa_user_sgpr_dispatch_id 0
		.amdhsa_user_sgpr_kernarg_preload_length 0
		.amdhsa_user_sgpr_kernarg_preload_offset 0
		.amdhsa_user_sgpr_private_segment_size 0
		.amdhsa_uses_dynamic_stack 0
		.amdhsa_enable_private_segment 0
		.amdhsa_system_sgpr_workgroup_id_x 1
		.amdhsa_system_sgpr_workgroup_id_y 0
		.amdhsa_system_sgpr_workgroup_id_z 0
		.amdhsa_system_sgpr_workgroup_info 0
		.amdhsa_system_vgpr_workitem_id 0
		.amdhsa_next_free_vgpr 36
		.amdhsa_next_free_sgpr 42
		.amdhsa_accum_offset 36
		.amdhsa_reserve_vcc 1
		.amdhsa_float_round_mode_32 0
		.amdhsa_float_round_mode_16_64 0
		.amdhsa_float_denorm_mode_32 3
		.amdhsa_float_denorm_mode_16_64 3
		.amdhsa_dx10_clamp 1
		.amdhsa_ieee_mode 1
		.amdhsa_fp16_overflow 0
		.amdhsa_tg_split 0
		.amdhsa_exception_fp_ieee_invalid_op 0
		.amdhsa_exception_fp_denorm_src 0
		.amdhsa_exception_fp_ieee_div_zero 0
		.amdhsa_exception_fp_ieee_overflow 0
		.amdhsa_exception_fp_ieee_underflow 0
		.amdhsa_exception_fp_ieee_inexact 0
		.amdhsa_exception_int_div_zero 0
	.end_amdhsa_kernel
	.section	.text._ZN5aiter23act_and_mul_bias_kernelIDF16_DF16_afTnPFfRKT2_EXadL_ZNS_11gelu_kernelIfEEfRKT_EELi8EEEvPT0_PS8_PKT1_PS2_il,"axG",@progbits,_ZN5aiter23act_and_mul_bias_kernelIDF16_DF16_afTnPFfRKT2_EXadL_ZNS_11gelu_kernelIfEEfRKT_EELi8EEEvPT0_PS8_PKT1_PS2_il,comdat
.Lfunc_end396:
	.size	_ZN5aiter23act_and_mul_bias_kernelIDF16_DF16_afTnPFfRKT2_EXadL_ZNS_11gelu_kernelIfEEfRKT_EELi8EEEvPT0_PS8_PKT1_PS2_il, .Lfunc_end396-_ZN5aiter23act_and_mul_bias_kernelIDF16_DF16_afTnPFfRKT2_EXadL_ZNS_11gelu_kernelIfEEfRKT_EELi8EEEvPT0_PS8_PKT1_PS2_il
                                        ; -- End function
	.section	.AMDGPU.csdata,"",@progbits
; Kernel info:
; codeLenInByte = 2968
; NumSgprs: 48
; NumVgprs: 36
; NumAgprs: 0
; TotalNumVgprs: 36
; ScratchSize: 0
; MemoryBound: 0
; FloatMode: 240
; IeeeMode: 1
; LDSByteSize: 0 bytes/workgroup (compile time only)
; SGPRBlocks: 5
; VGPRBlocks: 4
; NumSGPRsForWavesPerEU: 48
; NumVGPRsForWavesPerEU: 36
; AccumOffset: 36
; Occupancy: 8
; WaveLimiterHint : 0
; COMPUTE_PGM_RSRC2:SCRATCH_EN: 0
; COMPUTE_PGM_RSRC2:USER_SGPR: 2
; COMPUTE_PGM_RSRC2:TRAP_HANDLER: 0
; COMPUTE_PGM_RSRC2:TGID_X_EN: 1
; COMPUTE_PGM_RSRC2:TGID_Y_EN: 0
; COMPUTE_PGM_RSRC2:TGID_Z_EN: 0
; COMPUTE_PGM_RSRC2:TIDIG_COMP_CNT: 0
; COMPUTE_PGM_RSRC3_GFX90A:ACCUM_OFFSET: 8
; COMPUTE_PGM_RSRC3_GFX90A:TG_SPLIT: 0
	.section	.text._ZN5aiter23act_and_mul_bias_kernelIDF16_DF16_afTnPFfRKT2_EXadL_ZNS_11gelu_kernelIfEEfRKT_EELi4EEEvPT0_PS8_PKT1_PS2_il,"axG",@progbits,_ZN5aiter23act_and_mul_bias_kernelIDF16_DF16_afTnPFfRKT2_EXadL_ZNS_11gelu_kernelIfEEfRKT_EELi4EEEvPT0_PS8_PKT1_PS2_il,comdat
	.protected	_ZN5aiter23act_and_mul_bias_kernelIDF16_DF16_afTnPFfRKT2_EXadL_ZNS_11gelu_kernelIfEEfRKT_EELi4EEEvPT0_PS8_PKT1_PS2_il ; -- Begin function _ZN5aiter23act_and_mul_bias_kernelIDF16_DF16_afTnPFfRKT2_EXadL_ZNS_11gelu_kernelIfEEfRKT_EELi4EEEvPT0_PS8_PKT1_PS2_il
	.globl	_ZN5aiter23act_and_mul_bias_kernelIDF16_DF16_afTnPFfRKT2_EXadL_ZNS_11gelu_kernelIfEEfRKT_EELi4EEEvPT0_PS8_PKT1_PS2_il
	.p2align	8
	.type	_ZN5aiter23act_and_mul_bias_kernelIDF16_DF16_afTnPFfRKT2_EXadL_ZNS_11gelu_kernelIfEEfRKT_EELi4EEEvPT0_PS8_PKT1_PS2_il,@function
_ZN5aiter23act_and_mul_bias_kernelIDF16_DF16_afTnPFfRKT2_EXadL_ZNS_11gelu_kernelIfEEfRKT_EELi4EEEvPT0_PS8_PKT1_PS2_il: ; @_ZN5aiter23act_and_mul_bias_kernelIDF16_DF16_afTnPFfRKT2_EXadL_ZNS_11gelu_kernelIfEEfRKT_EELi4EEEvPT0_PS8_PKT1_PS2_il
; %bb.0:
	s_load_dwordx2 s[4:5], s[0:1], 0x10
	s_load_dword s24, s[0:1], 0x20
	s_load_dwordx2 s[6:7], s[0:1], 0x28
	v_mov_b32_e32 v1, s2
	s_mov_b32 s9, 0
	s_waitcnt lgkmcnt(0)
	global_load_ubyte v1, v1, s[4:5]
	s_add_i32 s3, s24, 1
	v_mov_b64_e32 v[2:3], s[6:7]
	s_lshr_b32 s6, s3, 31
	s_add_i32 s3, s3, s6
	s_load_dwordx2 s[4:5], s[0:1], 0x0
	s_lshl_b32 s3, s3, 1
	s_ashr_i32 s25, s24, 31
	s_and_b32 s6, s3, -4
	s_mul_hi_u32 s8, s24, s2
	s_mul_i32 s7, s25, s2
	s_mul_i32 s12, s24, s2
	s_add_i32 s13, s8, s7
	s_lshl_b64 s[12:13], s[12:13], 1
	s_mov_b64 s[10:11], -1
	v_lshlrev_b32_e32 v8, 2, v0
	s_waitcnt vmcnt(0)
	v_readfirstlane_b32 s3, v1
	s_nop 1
	v_mov_b32_e32 v4, s3
	s_sext_i32_i8 s3, s3
	v_readfirstlane_b32 s8, v4
	s_bfe_i64 s[8:9], s[8:9], 0x80000
	s_waitcnt lgkmcnt(0)
	s_add_u32 s4, s4, s12
	s_addc_u32 s5, s5, s13
	s_and_b32 s5, s5, 0xffff
	s_cmp_gt_i32 s3, -1
	v_cmp_lt_i64_e32 vcc, s[8:9], v[2:3]
	s_cselect_b64 s[12:13], -1, 0
	s_and_b64 s[12:13], s[12:13], vcc
	s_and_b64 vcc, exec, s[12:13]
	s_cbranch_vccnz .LBB397_5
; %bb.1:
	v_cmp_gt_i32_e32 vcc, s24, v8
	s_and_saveexec_b64 s[10:11], vcc
	s_cbranch_execz .LBB397_4
; %bb.2:
	s_load_dword s3, s[0:1], 0x3c
	v_mov_b32_e32 v9, 0
	s_mov_b32 s13, 0
	v_lshlrev_b32_e32 v4, 3, v0
	s_mov_b64 s[14:15], 0
	s_waitcnt lgkmcnt(0)
	s_and_b32 s3, s3, 0xffff
	s_lshl_b32 s12, s3, 2
	s_lshl_b32 s3, s3, 3
	s_mov_b32 s7, 0x20000
	v_mov_b32_e32 v0, v9
	v_mov_b32_e32 v1, v9
	v_mov_b64_e32 v[2:3], v[8:9]
.LBB397_3:                              ; =>This Inner Loop Header: Depth=1
	v_lshl_add_u64 v[2:3], s[12:13], 0, v[2:3]
	v_cmp_le_i64_e32 vcc, s[24:25], v[2:3]
	buffer_store_dwordx2 v[0:1], v4, s[4:7], 0 offen
	s_or_b64 s[14:15], vcc, s[14:15]
	v_add_u32_e32 v4, s3, v4
	s_andn2_b64 exec, exec, s[14:15]
	s_cbranch_execnz .LBB397_3
.LBB397_4:
	s_or_b64 exec, exec, s[10:11]
	s_mov_b64 s[10:11], 0
.LBB397_5:
	s_andn2_b64 vcc, exec, s[10:11]
	s_cbranch_vccnz .LBB397_25
; %bb.6:
	v_cmp_gt_i32_e32 vcc, s24, v8
	s_and_saveexec_b64 s[10:11], vcc
	s_cbranch_execz .LBB397_25
; %bb.7:
	s_load_dwordx2 s[14:15], s[0:1], 0x8
	s_load_dwordx2 s[10:11], s[0:1], 0x18
	s_mul_hi_i32 s9, s24, s8
	s_mul_i32 s8, s24, s8
	s_lshl_b64 s[8:9], s[8:9], 3
	s_mul_i32 s16, s2, s25
	s_waitcnt lgkmcnt(0)
	s_add_u32 s8, s10, s8
	s_addc_u32 s7, s11, s9
	s_lshl_b64 s[10:11], s[24:25], 2
	s_add_u32 s12, s8, s10
	s_mul_hi_u32 s17, s2, s24
	s_addc_u32 s13, s7, s11
	s_add_i32 s17, s17, s16
	s_mul_i32 s16, s2, s24
	s_lshl_b32 s10, s24, 2
	s_and_b32 s9, s7, 0xffff
	s_and_b32 s13, s13, 0xffff
	s_lshl_b64 s[16:17], s[16:17], 2
	s_add_u32 s16, s14, s16
	s_addc_u32 s2, s15, s17
	s_lshl_b64 s[14:15], s[24:25], 1
	s_add_u32 s20, s16, s14
	s_addc_u32 s14, s2, s15
	s_and_b32 s17, s2, 0xffff
	s_and_b32 s21, s14, 0xffff
	s_mov_b32 s7, 0x20000
	s_add_u32 s0, s0, 48
	s_mov_b32 s3, 0
	s_mov_b32 s11, s7
	v_mov_b32_e32 v9, 0
	s_addc_u32 s1, s1, 0
	s_mov_b64 s[26:27], 0
	s_mov_b32 s23, s7
	s_mov_b32 s22, s6
	s_mov_b32 s18, s6
	s_mov_b32 s19, s7
	s_mov_b32 s28, 0x378e98ab
	s_mov_b32 s29, 0x3b7cd369
	s_mov_b32 s30, 0xbcc618b2
	s_mov_b32 s31, 0x3dda74e4
	s_mov_b32 s33, 0x3f228afd
	s_mov_b32 s34, 0x3e03c728
	s_mov_b32 s35, 0xbfb8aa3b
	s_mov_b32 s36, 0x42ce8ed0
	s_mov_b32 s37, 0xc2b17218
	v_mov_b32_e32 v14, 0x3ba10414
	s_brev_b32 s38, -2
	v_mov_b32_e32 v15, 0xb9c68948
	v_mov_b32_e32 v16, 0x7f800000
                                        ; implicit-def: $vgpr0
                                        ; implicit-def: $vgpr0
	;; [unrolled: 1-line block ×4, first 2 shown]
	s_branch .LBB397_9
.LBB397_8:                              ;   in Loop: Header=BB397_9 Depth=1
	s_or_b64 exec, exec, s[14:15]
	v_bfi_b32 v5, s38, v6, v5
	v_mul_f32_e32 v4, 0.5, v4
	v_cvt_f32_f16_sdwa v6, v11 dst_sel:DWORD dst_unused:UNUSED_PAD src0_sel:WORD_1
	v_add_f32_e32 v5, 1.0, v5
	v_mul_f32_e32 v4, v4, v5
	v_cvt_f32_f16_e32 v5, v11
	v_cvt_f16_f32_e32 v11, v1
	v_bfi_b32 v1, s38, v12, v10
	v_add_f32_e32 v3, v3, v6
	v_cvt_f16_f32_e32 v6, v0
	v_mul_f32_e32 v0, 0.5, v7
	v_add_f32_e32 v1, 1.0, v1
	v_add_f32_e32 v2, v2, v5
	v_mul_f32_e32 v5, v0, v1
	;;#ASMSTART
	v_pk_mul_f32 v[0:1], v[4:5], v[2:3]
	;;#ASMEND
	s_load_dword s2, s[0:1], 0xc
	v_cvt_f16_f32_e32 v0, v0
	v_cvt_f16_f32_e32 v1, v1
	s_waitcnt lgkmcnt(0)
	s_and_b32 s2, s2, 0xffff
	s_lshl_b32 s2, s2, 2
	v_lshl_add_u64 v[8:9], s[2:3], 0, v[8:9]
	v_cmp_le_i64_e32 vcc, s[24:25], v[8:9]
	v_pack_b32_f16 v1, v0, v1
	v_pack_b32_f16 v0, v6, v11
	s_or_b64 s[26:27], vcc, s[26:27]
	buffer_store_dwordx2 v[0:1], v17, s[4:7], 0 offen
	s_andn2_b64 exec, exec, s[26:27]
	s_cbranch_execz .LBB397_25
.LBB397_9:                              ; =>This Inner Loop Header: Depth=1
	v_lshlrev_b32_e32 v17, 1, v8
	buffer_load_dwordx2 v[12:13], v17, s[16:19], 0 offen
	buffer_load_dwordx2 v[10:11], v17, s[20:23], 0 offen
	v_lshlrev_b32_e32 v0, 2, v8
	buffer_load_dwordx4 v[4:7], v0, s[8:11], 0 offen
	s_mov_b32 s14, s10
	s_mov_b32 s15, s11
	buffer_load_dwordx4 v[0:3], v0, s[12:15], 0 offen
                                        ; implicit-def: $vgpr19
	s_waitcnt vmcnt(3)
	v_cvt_f32_f16_e32 v18, v12
	s_waitcnt vmcnt(1)
	v_add_f32_e32 v4, v4, v18
	v_mul_f32_e32 v18, 0x3f3504f3, v4
	v_cmp_nlt_f32_e64 s[14:15], |v18|, 1.0
	s_and_saveexec_b64 s[40:41], s[14:15]
	s_xor_b64 s[14:15], exec, s[40:41]
	s_cbranch_execz .LBB397_11
; %bb.10:                               ;   in Loop: Header=BB397_9 Depth=1
	v_fma_f32 v19, |v18|, s28, v15
	v_fma_f32 v19, |v18|, v19, s29
	;; [unrolled: 1-line block ×6, first 2 shown]
	v_fma_f32 v19, |v18|, v19, |v18|
	v_mul_f32_e32 v20, 0xbfb8aa3b, v19
	v_fma_f32 v21, v19, s35, -v20
	v_rndne_f32_e32 v22, v20
	v_fmac_f32_e32 v21, 0xb2a5705f, v19
	v_sub_f32_e32 v20, v20, v22
	v_add_f32_e32 v20, v20, v21
	v_cvt_i32_f32_e32 v21, v22
	v_exp_f32_e32 v20, v20
	v_cmp_nlt_f32_e32 vcc, s36, v19
	v_ldexp_f32 v20, v20, v21
	s_nop 0
	v_cndmask_b32_e32 v20, 0, v20, vcc
	v_cmp_ngt_f32_e32 vcc, s37, v19
	s_nop 1
	v_cndmask_b32_e32 v19, v16, v20, vcc
	v_sub_f32_e32 v19, 1.0, v19
.LBB397_11:                             ;   in Loop: Header=BB397_9 Depth=1
	s_andn2_saveexec_b64 s[14:15], s[14:15]
; %bb.12:                               ;   in Loop: Header=BB397_9 Depth=1
	v_mul_f32_e32 v19, v18, v18
	v_fmamk_f32 v20, v19, 0xba1345e1, v14
	v_fmaak_f32 v20, v19, v20, 0xbcdac9b8
	v_fmaak_f32 v20, v19, v20, 0x3de703be
	;; [unrolled: 1-line block ×4, first 2 shown]
	v_fma_f32 v19, |v18|, v19, |v18|
; %bb.13:                               ;   in Loop: Header=BB397_9 Depth=1
	s_or_b64 exec, exec, s[14:15]
	v_cvt_f32_f16_sdwa v12, v12 dst_sel:DWORD dst_unused:UNUSED_PAD src0_sel:WORD_1
                                        ; implicit-def: $vgpr20
	v_add_f32_e32 v5, v5, v12
	v_mul_f32_e32 v12, 0x3f3504f3, v5
	v_cmp_nlt_f32_e64 s[14:15], |v12|, 1.0
	s_and_saveexec_b64 s[40:41], s[14:15]
	s_xor_b64 s[14:15], exec, s[40:41]
	s_cbranch_execz .LBB397_15
; %bb.14:                               ;   in Loop: Header=BB397_9 Depth=1
	v_fma_f32 v20, |v12|, s28, v15
	v_fma_f32 v20, |v12|, v20, s29
	;; [unrolled: 1-line block ×6, first 2 shown]
	v_fma_f32 v20, |v12|, v20, |v12|
	v_mul_f32_e32 v21, 0xbfb8aa3b, v20
	v_fma_f32 v22, v20, s35, -v21
	v_rndne_f32_e32 v23, v21
	v_fmac_f32_e32 v22, 0xb2a5705f, v20
	v_sub_f32_e32 v21, v21, v23
	v_add_f32_e32 v21, v21, v22
	v_cvt_i32_f32_e32 v22, v23
	v_exp_f32_e32 v21, v21
	v_cmp_nlt_f32_e32 vcc, s36, v20
	v_ldexp_f32 v21, v21, v22
	s_nop 0
	v_cndmask_b32_e32 v21, 0, v21, vcc
	v_cmp_ngt_f32_e32 vcc, s37, v20
	s_nop 1
	v_cndmask_b32_e32 v20, v16, v21, vcc
	v_sub_f32_e32 v20, 1.0, v20
.LBB397_15:                             ;   in Loop: Header=BB397_9 Depth=1
	s_andn2_saveexec_b64 s[14:15], s[14:15]
; %bb.16:                               ;   in Loop: Header=BB397_9 Depth=1
	v_mul_f32_e32 v20, v12, v12
	v_fmamk_f32 v21, v20, 0xba1345e1, v14
	v_fmaak_f32 v21, v20, v21, 0xbcdac9b8
	v_fmaak_f32 v21, v20, v21, 0x3de703be
	;; [unrolled: 1-line block ×4, first 2 shown]
	v_fma_f32 v20, |v12|, v20, |v12|
; %bb.17:                               ;   in Loop: Header=BB397_9 Depth=1
	s_or_b64 exec, exec, s[14:15]
	v_bfi_b32 v18, s38, v19, v18
	v_cvt_f32_f16_sdwa v19, v10 dst_sel:DWORD dst_unused:UNUSED_PAD src0_sel:WORD_1
	v_cvt_f32_f16_e32 v10, v10
	v_mul_f32_e32 v4, 0.5, v4
	v_add_f32_e32 v18, 1.0, v18
	v_mul_f32_e32 v4, v4, v18
	s_waitcnt vmcnt(0)
	v_add_f32_e32 v0, v0, v10
	v_bfi_b32 v10, s38, v20, v12
	v_cvt_f32_f16_e32 v12, v13
	v_add_f32_e32 v1, v1, v19
	v_mul_f32_e32 v5, 0.5, v5
	v_add_f32_e32 v10, 1.0, v10
	v_mul_f32_e32 v5, v5, v10
	;;#ASMSTART
	v_pk_mul_f32 v[0:1], v[4:5], v[0:1]
	;;#ASMEND
	v_add_f32_e32 v4, v6, v12
	v_mul_f32_e32 v5, 0x3f3504f3, v4
	v_cmp_nlt_f32_e64 s[14:15], |v5|, 1.0
                                        ; implicit-def: $vgpr6
	s_and_saveexec_b64 s[40:41], s[14:15]
	s_xor_b64 s[14:15], exec, s[40:41]
	s_cbranch_execz .LBB397_19
; %bb.18:                               ;   in Loop: Header=BB397_9 Depth=1
	v_fma_f32 v6, |v5|, s28, v15
	v_fma_f32 v6, |v5|, v6, s29
	;; [unrolled: 1-line block ×6, first 2 shown]
	v_fma_f32 v6, |v5|, v6, |v5|
	v_mul_f32_e32 v10, 0xbfb8aa3b, v6
	v_fma_f32 v12, v6, s35, -v10
	v_rndne_f32_e32 v18, v10
	v_fmac_f32_e32 v12, 0xb2a5705f, v6
	v_sub_f32_e32 v10, v10, v18
	v_add_f32_e32 v10, v10, v12
	v_cvt_i32_f32_e32 v12, v18
	v_exp_f32_e32 v10, v10
	v_cmp_nlt_f32_e32 vcc, s36, v6
	v_ldexp_f32 v10, v10, v12
	s_nop 0
	v_cndmask_b32_e32 v10, 0, v10, vcc
	v_cmp_ngt_f32_e32 vcc, s37, v6
	s_nop 1
	v_cndmask_b32_e32 v6, v16, v10, vcc
	v_sub_f32_e32 v6, 1.0, v6
.LBB397_19:                             ;   in Loop: Header=BB397_9 Depth=1
	s_andn2_saveexec_b64 s[14:15], s[14:15]
; %bb.20:                               ;   in Loop: Header=BB397_9 Depth=1
	v_mul_f32_e32 v6, v5, v5
	v_fmamk_f32 v10, v6, 0xba1345e1, v14
	v_fmaak_f32 v10, v6, v10, 0xbcdac9b8
	v_fmaak_f32 v10, v6, v10, 0x3de703be
	;; [unrolled: 1-line block ×4, first 2 shown]
	v_fma_f32 v6, |v5|, v6, |v5|
; %bb.21:                               ;   in Loop: Header=BB397_9 Depth=1
	s_or_b64 exec, exec, s[14:15]
	v_cvt_f32_f16_sdwa v10, v13 dst_sel:DWORD dst_unused:UNUSED_PAD src0_sel:WORD_1
                                        ; implicit-def: $vgpr12
	v_add_f32_e32 v7, v7, v10
	v_mul_f32_e32 v10, 0x3f3504f3, v7
	v_cmp_nlt_f32_e64 s[14:15], |v10|, 1.0
	s_and_saveexec_b64 s[40:41], s[14:15]
	s_xor_b64 s[14:15], exec, s[40:41]
	s_cbranch_execz .LBB397_23
; %bb.22:                               ;   in Loop: Header=BB397_9 Depth=1
	v_fma_f32 v12, |v10|, s28, v15
	v_fma_f32 v12, |v10|, v12, s29
	;; [unrolled: 1-line block ×6, first 2 shown]
	v_fma_f32 v12, |v10|, v12, |v10|
	v_mul_f32_e32 v13, 0xbfb8aa3b, v12
	v_fma_f32 v18, v12, s35, -v13
	v_rndne_f32_e32 v19, v13
	v_fmac_f32_e32 v18, 0xb2a5705f, v12
	v_sub_f32_e32 v13, v13, v19
	v_add_f32_e32 v13, v13, v18
	v_cvt_i32_f32_e32 v18, v19
	v_exp_f32_e32 v13, v13
	v_cmp_nlt_f32_e32 vcc, s36, v12
	v_ldexp_f32 v13, v13, v18
	s_nop 0
	v_cndmask_b32_e32 v13, 0, v13, vcc
	v_cmp_ngt_f32_e32 vcc, s37, v12
	s_nop 1
	v_cndmask_b32_e32 v12, v16, v13, vcc
	v_sub_f32_e32 v12, 1.0, v12
.LBB397_23:                             ;   in Loop: Header=BB397_9 Depth=1
	s_andn2_saveexec_b64 s[14:15], s[14:15]
	s_cbranch_execz .LBB397_8
; %bb.24:                               ;   in Loop: Header=BB397_9 Depth=1
	v_mul_f32_e32 v12, v10, v10
	v_fmamk_f32 v13, v12, 0xba1345e1, v14
	v_fmaak_f32 v13, v12, v13, 0xbcdac9b8
	v_fmaak_f32 v13, v12, v13, 0x3de703be
	v_fmaak_f32 v13, v12, v13, 0xbec09330
	v_fmaak_f32 v12, v12, v13, 0x3e0375d0
	v_fma_f32 v12, |v10|, v12, |v10|
	s_branch .LBB397_8
.LBB397_25:
	s_endpgm
	.section	.rodata,"a",@progbits
	.p2align	6, 0x0
	.amdhsa_kernel _ZN5aiter23act_and_mul_bias_kernelIDF16_DF16_afTnPFfRKT2_EXadL_ZNS_11gelu_kernelIfEEfRKT_EELi4EEEvPT0_PS8_PKT1_PS2_il
		.amdhsa_group_segment_fixed_size 0
		.amdhsa_private_segment_fixed_size 0
		.amdhsa_kernarg_size 304
		.amdhsa_user_sgpr_count 2
		.amdhsa_user_sgpr_dispatch_ptr 0
		.amdhsa_user_sgpr_queue_ptr 0
		.amdhsa_user_sgpr_kernarg_segment_ptr 1
		.amdhsa_user_sgpr_dispatch_id 0
		.amdhsa_user_sgpr_kernarg_preload_length 0
		.amdhsa_user_sgpr_kernarg_preload_offset 0
		.amdhsa_user_sgpr_private_segment_size 0
		.amdhsa_uses_dynamic_stack 0
		.amdhsa_enable_private_segment 0
		.amdhsa_system_sgpr_workgroup_id_x 1
		.amdhsa_system_sgpr_workgroup_id_y 0
		.amdhsa_system_sgpr_workgroup_id_z 0
		.amdhsa_system_sgpr_workgroup_info 0
		.amdhsa_system_vgpr_workitem_id 0
		.amdhsa_next_free_vgpr 24
		.amdhsa_next_free_sgpr 42
		.amdhsa_accum_offset 24
		.amdhsa_reserve_vcc 1
		.amdhsa_float_round_mode_32 0
		.amdhsa_float_round_mode_16_64 0
		.amdhsa_float_denorm_mode_32 3
		.amdhsa_float_denorm_mode_16_64 3
		.amdhsa_dx10_clamp 1
		.amdhsa_ieee_mode 1
		.amdhsa_fp16_overflow 0
		.amdhsa_tg_split 0
		.amdhsa_exception_fp_ieee_invalid_op 0
		.amdhsa_exception_fp_denorm_src 0
		.amdhsa_exception_fp_ieee_div_zero 0
		.amdhsa_exception_fp_ieee_overflow 0
		.amdhsa_exception_fp_ieee_underflow 0
		.amdhsa_exception_fp_ieee_inexact 0
		.amdhsa_exception_int_div_zero 0
	.end_amdhsa_kernel
	.section	.text._ZN5aiter23act_and_mul_bias_kernelIDF16_DF16_afTnPFfRKT2_EXadL_ZNS_11gelu_kernelIfEEfRKT_EELi4EEEvPT0_PS8_PKT1_PS2_il,"axG",@progbits,_ZN5aiter23act_and_mul_bias_kernelIDF16_DF16_afTnPFfRKT2_EXadL_ZNS_11gelu_kernelIfEEfRKT_EELi4EEEvPT0_PS8_PKT1_PS2_il,comdat
.Lfunc_end397:
	.size	_ZN5aiter23act_and_mul_bias_kernelIDF16_DF16_afTnPFfRKT2_EXadL_ZNS_11gelu_kernelIfEEfRKT_EELi4EEEvPT0_PS8_PKT1_PS2_il, .Lfunc_end397-_ZN5aiter23act_and_mul_bias_kernelIDF16_DF16_afTnPFfRKT2_EXadL_ZNS_11gelu_kernelIfEEfRKT_EELi4EEEvPT0_PS8_PKT1_PS2_il
                                        ; -- End function
	.section	.AMDGPU.csdata,"",@progbits
; Kernel info:
; codeLenInByte = 1836
; NumSgprs: 48
; NumVgprs: 24
; NumAgprs: 0
; TotalNumVgprs: 24
; ScratchSize: 0
; MemoryBound: 0
; FloatMode: 240
; IeeeMode: 1
; LDSByteSize: 0 bytes/workgroup (compile time only)
; SGPRBlocks: 5
; VGPRBlocks: 2
; NumSGPRsForWavesPerEU: 48
; NumVGPRsForWavesPerEU: 24
; AccumOffset: 24
; Occupancy: 8
; WaveLimiterHint : 0
; COMPUTE_PGM_RSRC2:SCRATCH_EN: 0
; COMPUTE_PGM_RSRC2:USER_SGPR: 2
; COMPUTE_PGM_RSRC2:TRAP_HANDLER: 0
; COMPUTE_PGM_RSRC2:TGID_X_EN: 1
; COMPUTE_PGM_RSRC2:TGID_Y_EN: 0
; COMPUTE_PGM_RSRC2:TGID_Z_EN: 0
; COMPUTE_PGM_RSRC2:TIDIG_COMP_CNT: 0
; COMPUTE_PGM_RSRC3_GFX90A:ACCUM_OFFSET: 5
; COMPUTE_PGM_RSRC3_GFX90A:TG_SPLIT: 0
	.section	.text._ZN5aiter23act_and_mul_bias_kernelIDF16_DF16_afTnPFfRKT2_EXadL_ZNS_11gelu_kernelIfEEfRKT_EELi2EEEvPT0_PS8_PKT1_PS2_il,"axG",@progbits,_ZN5aiter23act_and_mul_bias_kernelIDF16_DF16_afTnPFfRKT2_EXadL_ZNS_11gelu_kernelIfEEfRKT_EELi2EEEvPT0_PS8_PKT1_PS2_il,comdat
	.protected	_ZN5aiter23act_and_mul_bias_kernelIDF16_DF16_afTnPFfRKT2_EXadL_ZNS_11gelu_kernelIfEEfRKT_EELi2EEEvPT0_PS8_PKT1_PS2_il ; -- Begin function _ZN5aiter23act_and_mul_bias_kernelIDF16_DF16_afTnPFfRKT2_EXadL_ZNS_11gelu_kernelIfEEfRKT_EELi2EEEvPT0_PS8_PKT1_PS2_il
	.globl	_ZN5aiter23act_and_mul_bias_kernelIDF16_DF16_afTnPFfRKT2_EXadL_ZNS_11gelu_kernelIfEEfRKT_EELi2EEEvPT0_PS8_PKT1_PS2_il
	.p2align	8
	.type	_ZN5aiter23act_and_mul_bias_kernelIDF16_DF16_afTnPFfRKT2_EXadL_ZNS_11gelu_kernelIfEEfRKT_EELi2EEEvPT0_PS8_PKT1_PS2_il,@function
_ZN5aiter23act_and_mul_bias_kernelIDF16_DF16_afTnPFfRKT2_EXadL_ZNS_11gelu_kernelIfEEfRKT_EELi2EEEvPT0_PS8_PKT1_PS2_il: ; @_ZN5aiter23act_and_mul_bias_kernelIDF16_DF16_afTnPFfRKT2_EXadL_ZNS_11gelu_kernelIfEEfRKT_EELi2EEEvPT0_PS8_PKT1_PS2_il
; %bb.0:
	s_load_dwordx2 s[4:5], s[0:1], 0x10
	s_load_dword s24, s[0:1], 0x20
	s_load_dwordx2 s[6:7], s[0:1], 0x28
	v_mov_b32_e32 v1, s2
	s_mov_b32 s9, 0
	s_waitcnt lgkmcnt(0)
	global_load_ubyte v1, v1, s[4:5]
	s_add_i32 s3, s24, 1
	v_mov_b64_e32 v[2:3], s[6:7]
	s_lshr_b32 s6, s3, 31
	s_add_i32 s3, s3, s6
	s_load_dwordx2 s[4:5], s[0:1], 0x0
	s_lshl_b32 s3, s3, 1
	s_ashr_i32 s25, s24, 31
	s_and_b32 s6, s3, -4
	s_mul_hi_u32 s8, s24, s2
	s_mul_i32 s7, s25, s2
	s_mul_i32 s12, s24, s2
	s_add_i32 s13, s8, s7
	s_lshl_b64 s[12:13], s[12:13], 1
	s_mov_b64 s[10:11], -1
	s_waitcnt vmcnt(0)
	v_readfirstlane_b32 s3, v1
	s_nop 1
	v_mov_b32_e32 v4, s3
	s_sext_i32_i8 s3, s3
	v_readfirstlane_b32 s8, v4
	s_bfe_i64 s[8:9], s[8:9], 0x80000
	s_waitcnt lgkmcnt(0)
	s_add_u32 s4, s4, s12
	s_addc_u32 s5, s5, s13
	s_and_b32 s5, s5, 0xffff
	s_cmp_gt_i32 s3, -1
	v_cmp_lt_i64_e32 vcc, s[8:9], v[2:3]
	s_cselect_b64 s[12:13], -1, 0
	s_and_b64 s[12:13], s[12:13], vcc
	s_and_b64 vcc, exec, s[12:13]
	v_lshlrev_b32_e32 v2, 1, v0
	s_cbranch_vccnz .LBB398_5
; %bb.1:
	v_cmp_gt_i32_e32 vcc, s24, v2
	s_and_saveexec_b64 s[10:11], vcc
	s_cbranch_execz .LBB398_4
; %bb.2:
	s_load_dword s3, s[0:1], 0x3c
	v_mov_b32_e32 v3, 0
	s_mov_b32 s13, 0
	v_lshlrev_b32_e32 v4, 2, v0
	s_mov_b64 s[14:15], 0
	s_waitcnt lgkmcnt(0)
	s_and_b32 s3, s3, 0xffff
	s_lshl_b32 s12, s3, 1
	s_lshl_b32 s3, s3, 2
	s_mov_b32 s7, 0x20000
	v_mov_b64_e32 v[0:1], v[2:3]
.LBB398_3:                              ; =>This Inner Loop Header: Depth=1
	v_lshl_add_u64 v[0:1], s[12:13], 0, v[0:1]
	v_cmp_le_i64_e32 vcc, s[24:25], v[0:1]
	buffer_store_dword v3, v4, s[4:7], 0 offen
	s_or_b64 s[14:15], vcc, s[14:15]
	v_add_u32_e32 v4, s3, v4
	s_andn2_b64 exec, exec, s[14:15]
	s_cbranch_execnz .LBB398_3
.LBB398_4:
	s_or_b64 exec, exec, s[10:11]
	s_mov_b64 s[10:11], 0
.LBB398_5:
	s_andn2_b64 vcc, exec, s[10:11]
	s_cbranch_vccnz .LBB398_13
; %bb.6:
	v_cmp_gt_i32_e32 vcc, s24, v2
	s_and_saveexec_b64 s[10:11], vcc
	s_cbranch_execz .LBB398_13
; %bb.7:
	s_load_dwordx2 s[14:15], s[0:1], 0x8
	s_load_dwordx2 s[10:11], s[0:1], 0x18
	s_mul_hi_i32 s9, s24, s8
	s_mul_i32 s8, s24, s8
	s_lshl_b64 s[8:9], s[8:9], 3
	s_mul_i32 s16, s2, s25
	s_waitcnt lgkmcnt(0)
	s_add_u32 s8, s10, s8
	s_addc_u32 s7, s11, s9
	s_lshl_b64 s[10:11], s[24:25], 2
	s_add_u32 s12, s8, s10
	s_mul_hi_u32 s17, s2, s24
	s_addc_u32 s13, s7, s11
	s_add_i32 s17, s17, s16
	s_mul_i32 s16, s2, s24
	s_lshl_b32 s10, s24, 2
	s_and_b32 s9, s7, 0xffff
	s_and_b32 s13, s13, 0xffff
	s_lshl_b64 s[16:17], s[16:17], 2
	s_add_u32 s16, s14, s16
	s_addc_u32 s2, s15, s17
	s_lshl_b64 s[14:15], s[24:25], 1
	s_add_u32 s20, s16, s14
	s_addc_u32 s14, s2, s15
	s_and_b32 s17, s2, 0xffff
	s_and_b32 s21, s14, 0xffff
	s_mov_b32 s7, 0x20000
	s_add_u32 s0, s0, 48
	s_mov_b32 s3, 0
	s_mov_b32 s11, s7
	v_mov_b32_e32 v3, 0
	s_addc_u32 s1, s1, 0
	s_mov_b64 s[26:27], 0
	s_mov_b32 s23, s7
	s_mov_b32 s22, s6
	;; [unrolled: 1-line block ×14, first 2 shown]
	v_mov_b32_e32 v10, 0x3ba10414
	v_mov_b32_e32 v11, 0xb9c68948
	v_mov_b32_e32 v12, 0x7f800000
	s_brev_b32 s39, -2
                                        ; implicit-def: $vgpr0
                                        ; implicit-def: $vgpr0
	;; [unrolled: 1-line block ×4, first 2 shown]
	s_branch .LBB398_9
.LBB398_8:                              ;   in Loop: Header=BB398_9 Depth=1
	s_or_b64 exec, exec, s[14:15]
	v_fma_f32 v8, |v1|, s29, v11
	v_fma_f32 v8, |v1|, v8, s30
	v_fma_f32 v8, |v1|, v8, s31
	v_fma_f32 v8, |v1|, v8, s33
	v_fma_f32 v8, |v1|, v8, s34
	v_fma_f32 v8, |v1|, v8, s35
	v_fma_f32 v8, |v1|, v8, |v1|
	s_waitcnt vmcnt(1)
	v_cvt_f32_f16_sdwa v17, v14 dst_sel:DWORD dst_unused:UNUSED_PAD src0_sel:WORD_1
	v_cvt_f32_f16_e32 v16, v14
	v_mul_f32_e32 v14, 0xbfb8aa3b, v8
	v_fma_f32 v18, v8, s36, -v14
	v_rndne_f32_e32 v19, v14
	v_fmac_f32_e32 v18, 0xb2a5705f, v8
	v_sub_f32_e32 v14, v14, v19
	v_add_f32_e32 v14, v14, v18
	v_exp_f32_e32 v14, v14
	v_cvt_i32_f32_e32 v18, v19
	v_cmp_nlt_f32_e32 vcc, s37, v8
	v_bfi_b32 v0, s39, v15, v0
	v_mul_f32_e32 v5, 0.5, v5
	v_ldexp_f32 v14, v14, v18
	v_cndmask_b32_e32 v14, 0, v14, vcc
	v_cmp_ngt_f32_e32 vcc, s38, v8
	v_mul_f32_e32 v4, 0.5, v4
	s_waitcnt vmcnt(0)
	v_pk_add_f32 v[6:7], v[6:7], v[16:17]
	v_cndmask_b32_e32 v8, v12, v14, vcc
	v_fmamk_f32 v14, v9, 0xba1345e1, v10
	v_fmaak_f32 v14, v9, v14, 0xbcdac9b8
	v_fmaak_f32 v14, v9, v14, 0x3de703be
	;; [unrolled: 1-line block ×4, first 2 shown]
	v_sub_f32_e32 v8, 1.0, v8
	v_fma_f32 v9, |v1|, v9, |v1|
	v_cmp_lt_f32_e64 vcc, |v1|, 1.0
	s_nop 1
	v_cndmask_b32_e32 v8, v8, v9, vcc
	v_bfi_b32 v1, s39, v8, v1
	v_pk_add_f32 v[0:1], v[0:1], 1.0 op_sel_hi:[1,0]
	s_nop 0
	v_pk_mul_f32 v[0:1], v[4:5], v[0:1]
	s_nop 0
	;;#ASMSTART
	v_pk_mul_f32 v[0:1], v[0:1], v[6:7]
	;;#ASMEND
	s_load_dword s2, s[0:1], 0xc
	v_cvt_f16_f32_e32 v0, v0
	v_cvt_f16_f32_e32 v1, v1
	s_waitcnt lgkmcnt(0)
	s_and_b32 s2, s2, 0xffff
	s_lshl_b32 s2, s2, 1
	v_lshl_add_u64 v[2:3], s[2:3], 0, v[2:3]
	v_cmp_le_i64_e32 vcc, s[24:25], v[2:3]
	v_pack_b32_f16 v0, v0, v1
	s_or_b64 s[26:27], vcc, s[26:27]
	buffer_store_dword v0, v13, s[4:7], 0 offen
	s_andn2_b64 exec, exec, s[26:27]
	s_cbranch_execz .LBB398_13
.LBB398_9:                              ; =>This Inner Loop Header: Depth=1
	v_lshlrev_b32_e32 v13, 1, v2
	buffer_load_dword v5, v13, s[16:19], 0 offen
	v_lshlrev_b32_e32 v4, 2, v2
	buffer_load_dwordx2 v[0:1], v4, s[8:11], 0 offen
	s_mov_b32 s14, s10
	s_mov_b32 s15, s11
	buffer_load_dword v14, v13, s[20:23], 0 offen
	buffer_load_dwordx2 v[6:7], v4, s[12:15], 0 offen
                                        ; implicit-def: $vgpr15
	s_waitcnt vmcnt(3)
	v_cvt_f32_f16_e32 v4, v5
	v_cvt_f32_f16_sdwa v5, v5 dst_sel:DWORD dst_unused:UNUSED_PAD src0_sel:WORD_1
	s_waitcnt vmcnt(2)
	v_pk_add_f32 v[4:5], v[0:1], v[4:5]
	s_nop 0
	v_pk_mul_f32 v[0:1], v[4:5], s[28:29] op_sel_hi:[1,0]
	s_nop 0
	v_cmp_nlt_f32_e64 s[14:15], |v0|, 1.0
	s_and_saveexec_b64 s[40:41], s[14:15]
	s_xor_b64 s[14:15], exec, s[40:41]
	s_cbranch_execz .LBB398_11
; %bb.10:                               ;   in Loop: Header=BB398_9 Depth=1
	v_fma_f32 v8, |v0|, s29, v11
	v_fma_f32 v8, |v0|, v8, s30
	;; [unrolled: 1-line block ×6, first 2 shown]
	v_fma_f32 v8, |v0|, v8, |v0|
	v_mul_f32_e32 v9, 0xbfb8aa3b, v8
	v_fma_f32 v15, v8, s36, -v9
	v_rndne_f32_e32 v16, v9
	v_fmac_f32_e32 v15, 0xb2a5705f, v8
	v_sub_f32_e32 v9, v9, v16
	v_add_f32_e32 v9, v9, v15
	v_cvt_i32_f32_e32 v15, v16
	v_exp_f32_e32 v9, v9
	v_cmp_nlt_f32_e32 vcc, s37, v8
	v_ldexp_f32 v9, v9, v15
	s_nop 0
	v_cndmask_b32_e32 v9, 0, v9, vcc
	v_cmp_ngt_f32_e32 vcc, s38, v8
	s_nop 1
	v_cndmask_b32_e32 v8, v12, v9, vcc
	v_sub_f32_e32 v15, 1.0, v8
.LBB398_11:                             ;   in Loop: Header=BB398_9 Depth=1
	s_or_saveexec_b64 s[14:15], s[14:15]
	v_pk_mul_f32 v[8:9], v[0:1], v[0:1]
	s_xor_b64 exec, exec, s[14:15]
	s_cbranch_execz .LBB398_8
; %bb.12:                               ;   in Loop: Header=BB398_9 Depth=1
	v_fmamk_f32 v15, v8, 0xba1345e1, v10
	v_fmaak_f32 v15, v8, v15, 0xbcdac9b8
	v_fmaak_f32 v15, v8, v15, 0x3de703be
	v_fmaak_f32 v15, v8, v15, 0xbec09330
	v_fmaak_f32 v8, v8, v15, 0x3e0375d0
	v_fma_f32 v15, |v0|, v8, |v0|
	s_branch .LBB398_8
.LBB398_13:
	s_endpgm
	.section	.rodata,"a",@progbits
	.p2align	6, 0x0
	.amdhsa_kernel _ZN5aiter23act_and_mul_bias_kernelIDF16_DF16_afTnPFfRKT2_EXadL_ZNS_11gelu_kernelIfEEfRKT_EELi2EEEvPT0_PS8_PKT1_PS2_il
		.amdhsa_group_segment_fixed_size 0
		.amdhsa_private_segment_fixed_size 0
		.amdhsa_kernarg_size 304
		.amdhsa_user_sgpr_count 2
		.amdhsa_user_sgpr_dispatch_ptr 0
		.amdhsa_user_sgpr_queue_ptr 0
		.amdhsa_user_sgpr_kernarg_segment_ptr 1
		.amdhsa_user_sgpr_dispatch_id 0
		.amdhsa_user_sgpr_kernarg_preload_length 0
		.amdhsa_user_sgpr_kernarg_preload_offset 0
		.amdhsa_user_sgpr_private_segment_size 0
		.amdhsa_uses_dynamic_stack 0
		.amdhsa_enable_private_segment 0
		.amdhsa_system_sgpr_workgroup_id_x 1
		.amdhsa_system_sgpr_workgroup_id_y 0
		.amdhsa_system_sgpr_workgroup_id_z 0
		.amdhsa_system_sgpr_workgroup_info 0
		.amdhsa_system_vgpr_workitem_id 0
		.amdhsa_next_free_vgpr 20
		.amdhsa_next_free_sgpr 42
		.amdhsa_accum_offset 20
		.amdhsa_reserve_vcc 1
		.amdhsa_float_round_mode_32 0
		.amdhsa_float_round_mode_16_64 0
		.amdhsa_float_denorm_mode_32 3
		.amdhsa_float_denorm_mode_16_64 3
		.amdhsa_dx10_clamp 1
		.amdhsa_ieee_mode 1
		.amdhsa_fp16_overflow 0
		.amdhsa_tg_split 0
		.amdhsa_exception_fp_ieee_invalid_op 0
		.amdhsa_exception_fp_denorm_src 0
		.amdhsa_exception_fp_ieee_div_zero 0
		.amdhsa_exception_fp_ieee_overflow 0
		.amdhsa_exception_fp_ieee_underflow 0
		.amdhsa_exception_fp_ieee_inexact 0
		.amdhsa_exception_int_div_zero 0
	.end_amdhsa_kernel
	.section	.text._ZN5aiter23act_and_mul_bias_kernelIDF16_DF16_afTnPFfRKT2_EXadL_ZNS_11gelu_kernelIfEEfRKT_EELi2EEEvPT0_PS8_PKT1_PS2_il,"axG",@progbits,_ZN5aiter23act_and_mul_bias_kernelIDF16_DF16_afTnPFfRKT2_EXadL_ZNS_11gelu_kernelIfEEfRKT_EELi2EEEvPT0_PS8_PKT1_PS2_il,comdat
.Lfunc_end398:
	.size	_ZN5aiter23act_and_mul_bias_kernelIDF16_DF16_afTnPFfRKT2_EXadL_ZNS_11gelu_kernelIfEEfRKT_EELi2EEEvPT0_PS8_PKT1_PS2_il, .Lfunc_end398-_ZN5aiter23act_and_mul_bias_kernelIDF16_DF16_afTnPFfRKT2_EXadL_ZNS_11gelu_kernelIfEEfRKT_EELi2EEEvPT0_PS8_PKT1_PS2_il
                                        ; -- End function
	.section	.AMDGPU.csdata,"",@progbits
; Kernel info:
; codeLenInByte = 1280
; NumSgprs: 48
; NumVgprs: 20
; NumAgprs: 0
; TotalNumVgprs: 20
; ScratchSize: 0
; MemoryBound: 0
; FloatMode: 240
; IeeeMode: 1
; LDSByteSize: 0 bytes/workgroup (compile time only)
; SGPRBlocks: 5
; VGPRBlocks: 2
; NumSGPRsForWavesPerEU: 48
; NumVGPRsForWavesPerEU: 20
; AccumOffset: 20
; Occupancy: 8
; WaveLimiterHint : 0
; COMPUTE_PGM_RSRC2:SCRATCH_EN: 0
; COMPUTE_PGM_RSRC2:USER_SGPR: 2
; COMPUTE_PGM_RSRC2:TRAP_HANDLER: 0
; COMPUTE_PGM_RSRC2:TGID_X_EN: 1
; COMPUTE_PGM_RSRC2:TGID_Y_EN: 0
; COMPUTE_PGM_RSRC2:TGID_Z_EN: 0
; COMPUTE_PGM_RSRC2:TIDIG_COMP_CNT: 0
; COMPUTE_PGM_RSRC3_GFX90A:ACCUM_OFFSET: 4
; COMPUTE_PGM_RSRC3_GFX90A:TG_SPLIT: 0
	.section	.text._ZN5aiter23act_and_mul_bias_kernelIDF16_DF16_afTnPFfRKT2_EXadL_ZNS_11gelu_kernelIfEEfRKT_EELi1EEEvPT0_PS8_PKT1_PS2_il,"axG",@progbits,_ZN5aiter23act_and_mul_bias_kernelIDF16_DF16_afTnPFfRKT2_EXadL_ZNS_11gelu_kernelIfEEfRKT_EELi1EEEvPT0_PS8_PKT1_PS2_il,comdat
	.protected	_ZN5aiter23act_and_mul_bias_kernelIDF16_DF16_afTnPFfRKT2_EXadL_ZNS_11gelu_kernelIfEEfRKT_EELi1EEEvPT0_PS8_PKT1_PS2_il ; -- Begin function _ZN5aiter23act_and_mul_bias_kernelIDF16_DF16_afTnPFfRKT2_EXadL_ZNS_11gelu_kernelIfEEfRKT_EELi1EEEvPT0_PS8_PKT1_PS2_il
	.globl	_ZN5aiter23act_and_mul_bias_kernelIDF16_DF16_afTnPFfRKT2_EXadL_ZNS_11gelu_kernelIfEEfRKT_EELi1EEEvPT0_PS8_PKT1_PS2_il
	.p2align	8
	.type	_ZN5aiter23act_and_mul_bias_kernelIDF16_DF16_afTnPFfRKT2_EXadL_ZNS_11gelu_kernelIfEEfRKT_EELi1EEEvPT0_PS8_PKT1_PS2_il,@function
_ZN5aiter23act_and_mul_bias_kernelIDF16_DF16_afTnPFfRKT2_EXadL_ZNS_11gelu_kernelIfEEfRKT_EELi1EEEvPT0_PS8_PKT1_PS2_il: ; @_ZN5aiter23act_and_mul_bias_kernelIDF16_DF16_afTnPFfRKT2_EXadL_ZNS_11gelu_kernelIfEEfRKT_EELi1EEEvPT0_PS8_PKT1_PS2_il
; %bb.0:
	s_load_dwordx2 s[4:5], s[0:1], 0x10
	s_load_dword s20, s[0:1], 0x20
	s_load_dwordx2 s[6:7], s[0:1], 0x28
	v_mov_b32_e32 v1, s2
	s_mov_b32 s9, 0
	s_waitcnt lgkmcnt(0)
	global_load_ubyte v1, v1, s[4:5]
	s_add_i32 s3, s20, 1
	s_ashr_i32 s21, s20, 31
	v_mov_b64_e32 v[2:3], s[6:7]
	s_lshr_b32 s6, s3, 31
	s_mul_hi_u32 s8, s20, s2
	s_mul_i32 s7, s21, s2
	s_add_i32 s3, s3, s6
	s_load_dwordx2 s[4:5], s[0:1], 0x0
	s_mul_i32 s10, s20, s2
	s_add_i32 s11, s8, s7
	s_lshl_b32 s3, s3, 1
	s_lshl_b64 s[14:15], s[10:11], 1
	s_and_b32 s10, s3, -4
	s_mov_b64 s[12:13], -1
	s_waitcnt vmcnt(0)
	v_readfirstlane_b32 s3, v1
	s_nop 1
	v_mov_b32_e32 v4, s3
	s_sext_i32_i8 s3, s3
	v_readfirstlane_b32 s8, v4
	s_bfe_i64 s[6:7], s[8:9], 0x80000
	s_waitcnt lgkmcnt(0)
	s_add_u32 s8, s4, s14
	s_addc_u32 s4, s5, s15
	s_and_b32 s9, s4, 0xffff
	s_cmp_gt_i32 s3, -1
	v_cmp_lt_i64_e32 vcc, s[6:7], v[2:3]
	s_cselect_b64 s[4:5], -1, 0
	s_and_b64 s[4:5], s[4:5], vcc
	s_and_b64 vcc, exec, s[4:5]
	v_cmp_gt_i32_e64 s[4:5], s20, v0
	s_cbranch_vccnz .LBB399_5
; %bb.1:
	s_and_saveexec_b64 s[12:13], s[4:5]
	s_cbranch_execz .LBB399_4
; %bb.2:
	s_load_dword s3, s[0:1], 0x3c
	v_mov_b32_e32 v1, 0
	s_mov_b32 s5, 0
	v_lshlrev_b32_e32 v4, 1, v0
	s_mov_b64 s[14:15], 0
	s_waitcnt lgkmcnt(0)
	s_and_b32 s4, s3, 0xffff
	s_lshl_b32 s3, s4, 1
	s_mov_b32 s11, 0x20000
	v_mov_b64_e32 v[2:3], v[0:1]
.LBB399_3:                              ; =>This Inner Loop Header: Depth=1
	v_lshl_add_u64 v[2:3], v[2:3], 0, s[4:5]
	v_cmp_le_i64_e32 vcc, s[20:21], v[2:3]
	buffer_store_short v1, v4, s[8:11], 0 offen
	s_or_b64 s[14:15], vcc, s[14:15]
	v_add_u32_e32 v4, s3, v4
	s_andn2_b64 exec, exec, s[14:15]
	s_cbranch_execnz .LBB399_3
.LBB399_4:
	s_or_b64 exec, exec, s[12:13]
	s_mov_b64 s[12:13], 0
.LBB399_5:
	s_andn2_b64 vcc, exec, s[12:13]
	s_cbranch_vccnz .LBB399_13
; %bb.6:
	v_cmp_gt_i32_e32 vcc, s20, v0
	s_and_saveexec_b64 s[4:5], vcc
	s_cbranch_execz .LBB399_13
; %bb.7:
	s_load_dwordx2 s[12:13], s[0:1], 0x8
	s_load_dwordx2 s[4:5], s[0:1], 0x18
	s_mul_hi_i32 s7, s20, s6
	s_mul_i32 s6, s20, s6
	s_lshl_b64 s[6:7], s[6:7], 3
	s_load_dword s14, s[0:1], 0x3c
	s_waitcnt lgkmcnt(0)
	s_add_u32 s4, s4, s6
	s_addc_u32 s3, s5, s7
	s_lshl_b64 s[0:1], s[20:21], 2
	s_add_u32 s0, s4, s0
	s_addc_u32 s1, s3, s1
	s_and_b32 s5, s3, 0xffff
	s_mul_i32 s3, s2, s21
	s_mul_hi_u32 s15, s2, s20
	s_add_i32 s3, s15, s3
	s_mul_i32 s2, s2, s20
	s_lshl_b32 s6, s20, 2
	s_and_b32 s1, s1, 0xffff
	s_lshl_b64 s[2:3], s[2:3], 2
	s_add_u32 s12, s12, s2
	s_addc_u32 s13, s13, s3
	s_lshl_b64 s[2:3], s[20:21], 1
	s_add_u32 s16, s12, s2
	s_mov_b32 s11, 0x20000
	s_addc_u32 s2, s13, s3
	s_and_b32 s22, s14, 0xffff
                                        ; implicit-def: $vgpr5
                                        ; implicit-def: $vgpr5
	;; [unrolled: 1-line block ×4, first 2 shown]
	s_mov_b32 s23, 0
	s_mov_b32 s7, s11
	s_and_b32 s13, s13, 0xffff
	s_mov_b64 s[18:19], s[10:11]
	s_and_b32 s17, s2, 0xffff
	v_mov_b32_e32 v1, 0
	v_lshlrev_b32_e32 v2, 2, v0
	s_lshl_b32 s26, s22, 2
	v_lshlrev_b32_e32 v3, 1, v0
	s_lshl_b32 s27, s22, 1
	s_mov_b64 s[24:25], 0
	s_mov_b32 s28, 0x378e98ab
	s_mov_b32 s29, 0x3b7cd369
	;; [unrolled: 1-line block ×9, first 2 shown]
	v_mov_b32_e32 v4, 0x3ba10414
	s_brev_b32 s38, -2
	s_mov_b32 s14, s10
	s_mov_b32 s15, s11
	v_mov_b32_e32 v5, 0xb9c68948
	v_mov_b32_e32 v6, 0x7f800000
	s_branch .LBB399_9
.LBB399_8:                              ;   in Loop: Header=BB399_9 Depth=1
	s_or_b64 exec, exec, s[2:3]
	v_cvt_f32_f16_e32 v7, v7
	v_bfi_b32 v10, s38, v11, v10
	v_mul_f32_e32 v9, 0.5, v9
	v_add_f32_e32 v10, 1.0, v10
	s_waitcnt vmcnt(0)
	v_add_f32_e32 v7, v7, v8
	v_mul_f32_e32 v8, v9, v10
	v_lshl_add_u64 v[0:1], v[0:1], 0, s[22:23]
	v_fma_mixlo_f16 v7, v7, v8, 0
	v_cmp_le_i64_e32 vcc, s[20:21], v[0:1]
	buffer_store_short v7, v3, s[8:11], 0 offen
	v_add_u32_e32 v2, s26, v2
	s_or_b64 s[24:25], vcc, s[24:25]
	v_add_u32_e32 v3, s27, v3
	s_andn2_b64 exec, exec, s[24:25]
	s_cbranch_execz .LBB399_13
.LBB399_9:                              ; =>This Inner Loop Header: Depth=1
	buffer_load_ushort v9, v3, s[12:15], 0 offen
	buffer_load_ushort v7, v3, s[16:19], 0 offen
	buffer_load_dword v10, v2, s[4:7], 0 offen
	s_mov_b32 s2, s6
	s_mov_b32 s3, s7
	buffer_load_dword v8, v2, s[0:3], 0 offen
                                        ; implicit-def: $vgpr11
	s_waitcnt vmcnt(3)
	v_cvt_f32_f16_e32 v9, v9
	s_waitcnt vmcnt(1)
	v_add_f32_e32 v9, v9, v10
	v_mul_f32_e32 v10, 0x3f3504f3, v9
	v_cmp_nlt_f32_e64 s[2:3], |v10|, 1.0
	s_and_saveexec_b64 s[40:41], s[2:3]
	s_xor_b64 s[2:3], exec, s[40:41]
	s_cbranch_execz .LBB399_11
; %bb.10:                               ;   in Loop: Header=BB399_9 Depth=1
	v_fma_f32 v11, |v10|, s28, v5
	v_fma_f32 v11, |v10|, v11, s29
	;; [unrolled: 1-line block ×6, first 2 shown]
	v_fma_f32 v11, |v10|, v11, |v10|
	v_mul_f32_e32 v12, 0xbfb8aa3b, v11
	v_fma_f32 v13, v11, s35, -v12
	v_rndne_f32_e32 v14, v12
	v_fmac_f32_e32 v13, 0xb2a5705f, v11
	v_sub_f32_e32 v12, v12, v14
	v_add_f32_e32 v12, v12, v13
	v_cvt_i32_f32_e32 v13, v14
	v_exp_f32_e32 v12, v12
	v_cmp_nlt_f32_e32 vcc, s36, v11
	v_ldexp_f32 v12, v12, v13
	s_nop 0
	v_cndmask_b32_e32 v12, 0, v12, vcc
	v_cmp_ngt_f32_e32 vcc, s37, v11
	s_nop 1
	v_cndmask_b32_e32 v11, v6, v12, vcc
	v_sub_f32_e32 v11, 1.0, v11
.LBB399_11:                             ;   in Loop: Header=BB399_9 Depth=1
	s_andn2_saveexec_b64 s[2:3], s[2:3]
	s_cbranch_execz .LBB399_8
; %bb.12:                               ;   in Loop: Header=BB399_9 Depth=1
	v_mul_f32_e32 v11, v10, v10
	v_fmamk_f32 v12, v11, 0xba1345e1, v4
	v_fmaak_f32 v12, v11, v12, 0xbcdac9b8
	v_fmaak_f32 v12, v11, v12, 0x3de703be
	;; [unrolled: 1-line block ×4, first 2 shown]
	v_fma_f32 v11, |v10|, v11, |v10|
	s_branch .LBB399_8
.LBB399_13:
	s_endpgm
	.section	.rodata,"a",@progbits
	.p2align	6, 0x0
	.amdhsa_kernel _ZN5aiter23act_and_mul_bias_kernelIDF16_DF16_afTnPFfRKT2_EXadL_ZNS_11gelu_kernelIfEEfRKT_EELi1EEEvPT0_PS8_PKT1_PS2_il
		.amdhsa_group_segment_fixed_size 0
		.amdhsa_private_segment_fixed_size 0
		.amdhsa_kernarg_size 304
		.amdhsa_user_sgpr_count 2
		.amdhsa_user_sgpr_dispatch_ptr 0
		.amdhsa_user_sgpr_queue_ptr 0
		.amdhsa_user_sgpr_kernarg_segment_ptr 1
		.amdhsa_user_sgpr_dispatch_id 0
		.amdhsa_user_sgpr_kernarg_preload_length 0
		.amdhsa_user_sgpr_kernarg_preload_offset 0
		.amdhsa_user_sgpr_private_segment_size 0
		.amdhsa_uses_dynamic_stack 0
		.amdhsa_enable_private_segment 0
		.amdhsa_system_sgpr_workgroup_id_x 1
		.amdhsa_system_sgpr_workgroup_id_y 0
		.amdhsa_system_sgpr_workgroup_id_z 0
		.amdhsa_system_sgpr_workgroup_info 0
		.amdhsa_system_vgpr_workitem_id 0
		.amdhsa_next_free_vgpr 15
		.amdhsa_next_free_sgpr 42
		.amdhsa_accum_offset 16
		.amdhsa_reserve_vcc 1
		.amdhsa_float_round_mode_32 0
		.amdhsa_float_round_mode_16_64 0
		.amdhsa_float_denorm_mode_32 3
		.amdhsa_float_denorm_mode_16_64 3
		.amdhsa_dx10_clamp 1
		.amdhsa_ieee_mode 1
		.amdhsa_fp16_overflow 0
		.amdhsa_tg_split 0
		.amdhsa_exception_fp_ieee_invalid_op 0
		.amdhsa_exception_fp_denorm_src 0
		.amdhsa_exception_fp_ieee_div_zero 0
		.amdhsa_exception_fp_ieee_overflow 0
		.amdhsa_exception_fp_ieee_underflow 0
		.amdhsa_exception_fp_ieee_inexact 0
		.amdhsa_exception_int_div_zero 0
	.end_amdhsa_kernel
	.section	.text._ZN5aiter23act_and_mul_bias_kernelIDF16_DF16_afTnPFfRKT2_EXadL_ZNS_11gelu_kernelIfEEfRKT_EELi1EEEvPT0_PS8_PKT1_PS2_il,"axG",@progbits,_ZN5aiter23act_and_mul_bias_kernelIDF16_DF16_afTnPFfRKT2_EXadL_ZNS_11gelu_kernelIfEEfRKT_EELi1EEEvPT0_PS8_PKT1_PS2_il,comdat
.Lfunc_end399:
	.size	_ZN5aiter23act_and_mul_bias_kernelIDF16_DF16_afTnPFfRKT2_EXadL_ZNS_11gelu_kernelIfEEfRKT_EELi1EEEvPT0_PS8_PKT1_PS2_il, .Lfunc_end399-_ZN5aiter23act_and_mul_bias_kernelIDF16_DF16_afTnPFfRKT2_EXadL_ZNS_11gelu_kernelIfEEfRKT_EELi1EEEvPT0_PS8_PKT1_PS2_il
                                        ; -- End function
	.section	.AMDGPU.csdata,"",@progbits
; Kernel info:
; codeLenInByte = 984
; NumSgprs: 48
; NumVgprs: 15
; NumAgprs: 0
; TotalNumVgprs: 15
; ScratchSize: 0
; MemoryBound: 0
; FloatMode: 240
; IeeeMode: 1
; LDSByteSize: 0 bytes/workgroup (compile time only)
; SGPRBlocks: 5
; VGPRBlocks: 1
; NumSGPRsForWavesPerEU: 48
; NumVGPRsForWavesPerEU: 15
; AccumOffset: 16
; Occupancy: 8
; WaveLimiterHint : 0
; COMPUTE_PGM_RSRC2:SCRATCH_EN: 0
; COMPUTE_PGM_RSRC2:USER_SGPR: 2
; COMPUTE_PGM_RSRC2:TRAP_HANDLER: 0
; COMPUTE_PGM_RSRC2:TGID_X_EN: 1
; COMPUTE_PGM_RSRC2:TGID_Y_EN: 0
; COMPUTE_PGM_RSRC2:TGID_Z_EN: 0
; COMPUTE_PGM_RSRC2:TIDIG_COMP_CNT: 0
; COMPUTE_PGM_RSRC3_GFX90A:ACCUM_OFFSET: 3
; COMPUTE_PGM_RSRC3_GFX90A:TG_SPLIT: 0
	.section	.text._ZN5aiter23act_and_mul_bias_kernelIttafTnPFfRKT2_EXadL_ZNS_11gelu_kernelIfEEfRKT_EELi32EEEvPT0_PS8_PKT1_PS2_il,"axG",@progbits,_ZN5aiter23act_and_mul_bias_kernelIttafTnPFfRKT2_EXadL_ZNS_11gelu_kernelIfEEfRKT_EELi32EEEvPT0_PS8_PKT1_PS2_il,comdat
	.protected	_ZN5aiter23act_and_mul_bias_kernelIttafTnPFfRKT2_EXadL_ZNS_11gelu_kernelIfEEfRKT_EELi32EEEvPT0_PS8_PKT1_PS2_il ; -- Begin function _ZN5aiter23act_and_mul_bias_kernelIttafTnPFfRKT2_EXadL_ZNS_11gelu_kernelIfEEfRKT_EELi32EEEvPT0_PS8_PKT1_PS2_il
	.globl	_ZN5aiter23act_and_mul_bias_kernelIttafTnPFfRKT2_EXadL_ZNS_11gelu_kernelIfEEfRKT_EELi32EEEvPT0_PS8_PKT1_PS2_il
	.p2align	8
	.type	_ZN5aiter23act_and_mul_bias_kernelIttafTnPFfRKT2_EXadL_ZNS_11gelu_kernelIfEEfRKT_EELi32EEEvPT0_PS8_PKT1_PS2_il,@function
_ZN5aiter23act_and_mul_bias_kernelIttafTnPFfRKT2_EXadL_ZNS_11gelu_kernelIfEEfRKT_EELi32EEEvPT0_PS8_PKT1_PS2_il: ; @_ZN5aiter23act_and_mul_bias_kernelIttafTnPFfRKT2_EXadL_ZNS_11gelu_kernelIfEEfRKT_EELi32EEEvPT0_PS8_PKT1_PS2_il
; %bb.0:
	s_load_dwordx2 s[4:5], s[0:1], 0x10
	s_load_dword s24, s[0:1], 0x20
	s_load_dwordx2 s[6:7], s[0:1], 0x28
	v_mov_b32_e32 v1, s2
	s_mov_b32 s9, 0
	s_waitcnt lgkmcnt(0)
	global_load_ubyte v1, v1, s[4:5]
	s_add_i32 s3, s24, 1
	v_mov_b64_e32 v[2:3], s[6:7]
	s_lshr_b32 s6, s3, 31
	s_add_i32 s3, s3, s6
	s_load_dwordx2 s[4:5], s[0:1], 0x0
	s_lshl_b32 s3, s3, 1
	s_ashr_i32 s25, s24, 31
	s_and_b32 s6, s3, -4
	s_mul_hi_u32 s8, s24, s2
	s_mul_i32 s7, s25, s2
	s_mul_i32 s12, s24, s2
	s_add_i32 s13, s8, s7
	s_lshl_b64 s[12:13], s[12:13], 1
	s_mov_b64 s[10:11], -1
	v_lshlrev_b32_e32 v96, 5, v0
	s_waitcnt vmcnt(0)
	v_readfirstlane_b32 s3, v1
	s_nop 1
	v_mov_b32_e32 v4, s3
	s_sext_i32_i8 s3, s3
	v_readfirstlane_b32 s8, v4
	s_bfe_i64 s[8:9], s[8:9], 0x80000
	s_waitcnt lgkmcnt(0)
	s_add_u32 s4, s4, s12
	s_addc_u32 s5, s5, s13
	s_and_b32 s5, s5, 0xffff
	s_cmp_gt_i32 s3, -1
	v_cmp_lt_i64_e32 vcc, s[8:9], v[2:3]
	s_cselect_b64 s[12:13], -1, 0
	s_and_b64 s[12:13], s[12:13], vcc
	s_and_b64 vcc, exec, s[12:13]
	s_cbranch_vccnz .LBB400_5
; %bb.1:
	v_cmp_gt_i32_e32 vcc, s24, v96
	s_and_saveexec_b64 s[10:11], vcc
	s_cbranch_execz .LBB400_4
; %bb.2:
	s_load_dword s3, s[0:1], 0x3c
	s_mov_b32 s13, 0
	s_mov_b32 s16, s13
	;; [unrolled: 1-line block ×3, first 2 shown]
	v_mov_b32_e32 v97, 0
	v_lshlrev_b32_e32 v6, 6, v0
	s_waitcnt lgkmcnt(0)
	s_and_b32 s3, s3, 0xffff
	s_mov_b32 s18, s13
	s_mov_b32 s19, s13
	v_mov_b64_e32 v[0:1], s[16:17]
	s_lshl_b32 s12, s3, 5
	s_lshl_b32 s3, s3, 6
	s_mov_b64 s[14:15], 0
	s_mov_b32 s7, 0x20000
	v_mov_b64_e32 v[2:3], s[18:19]
	v_mov_b64_e32 v[4:5], v[96:97]
.LBB400_3:                              ; =>This Inner Loop Header: Depth=1
	v_lshl_add_u64 v[4:5], s[12:13], 0, v[4:5]
	v_cmp_le_i64_e32 vcc, s[24:25], v[4:5]
	buffer_store_dwordx4 v[0:3], v6, s[4:7], 0 offen
	buffer_store_dwordx4 v[0:3], v6, s[4:7], 16 offen
	;; [unrolled: 1-line block ×4, first 2 shown]
	s_or_b64 s[14:15], vcc, s[14:15]
	v_add_u32_e32 v6, s3, v6
	s_andn2_b64 exec, exec, s[14:15]
	s_cbranch_execnz .LBB400_3
.LBB400_4:
	s_or_b64 exec, exec, s[10:11]
	s_mov_b64 s[10:11], 0
.LBB400_5:
	s_andn2_b64 vcc, exec, s[10:11]
	s_cbranch_vccnz .LBB400_137
; %bb.6:
	v_cmp_gt_i32_e32 vcc, s24, v96
	s_and_saveexec_b64 s[10:11], vcc
	s_cbranch_execz .LBB400_137
; %bb.7:
	s_load_dwordx2 s[14:15], s[0:1], 0x8
	s_load_dwordx2 s[10:11], s[0:1], 0x18
	s_mul_hi_i32 s9, s24, s8
	s_mul_i32 s8, s24, s8
	s_lshl_b64 s[8:9], s[8:9], 3
	s_mul_i32 s16, s2, s25
	s_waitcnt lgkmcnt(0)
	s_add_u32 s8, s10, s8
	s_addc_u32 s7, s11, s9
	s_lshl_b64 s[10:11], s[24:25], 2
	s_add_u32 s12, s8, s10
	s_mul_hi_u32 s17, s2, s24
	s_addc_u32 s13, s7, s11
	s_add_i32 s17, s17, s16
	s_mul_i32 s16, s2, s24
	s_lshl_b32 s10, s24, 2
	s_and_b32 s9, s7, 0xffff
	s_and_b32 s13, s13, 0xffff
	s_lshl_b64 s[16:17], s[16:17], 2
	s_add_u32 s16, s14, s16
	s_addc_u32 s2, s15, s17
	s_lshl_b64 s[14:15], s[24:25], 1
	s_add_u32 s20, s16, s14
	s_addc_u32 s14, s2, s15
	s_and_b32 s17, s2, 0xffff
	s_and_b32 s21, s14, 0xffff
	s_mov_b32 s7, 0x20000
	s_add_u32 s0, s0, 48
	s_mov_b32 s3, 0
	s_mov_b32 s11, s7
	s_mov_b64 s[22:23], s[6:7]
	v_mov_b32_e32 v97, 0
	s_addc_u32 s1, s1, 0
	s_mov_b64 s[26:27], 0
	s_mov_b32 s18, s6
	s_mov_b32 s19, s7
	s_movk_i32 s28, 0x50
	s_movk_i32 s29, 0x60
	;; [unrolled: 1-line block ×3, first 2 shown]
	s_mov_b32 s31, 0x378e98ab
	s_mov_b32 s33, 0x3b7cd369
	;; [unrolled: 1-line block ×9, first 2 shown]
	v_mov_b32_e32 v98, 0x3ba10414
	s_brev_b32 s41, -2
	s_mov_b32 s42, 0x7060302
	v_mov_b32_e32 v99, 0xb9c68948
	v_mov_b32_e32 v100, 0x7f800000
                                        ; implicit-def: $vgpr0
                                        ; implicit-def: $vgpr0
	;; [unrolled: 1-line block ×4, first 2 shown]
	s_branch .LBB400_9
.LBB400_8:                              ;   in Loop: Header=BB400_9 Depth=1
	s_or_b64 exec, exec, s[14:15]
	v_bfi_b32 v8, s41, v9, v8
	v_mul_f32_e32 v2, 0.5, v2
	v_add_f32_e32 v8, 1.0, v8
	v_mul_f32_e32 v2, v2, v8
	v_and_b32_e32 v8, 0xffff0000, v3
	v_add_f32_e32 v7, v7, v8
	v_lshlrev_b32_e32 v3, 16, v3
	v_bfi_b32 v8, s41, v12, v11
	v_add_f32_e32 v6, v6, v3
	v_mul_f32_e32 v3, 0.5, v10
	v_add_f32_e32 v8, 1.0, v8
	v_mul_f32_e32 v3, v3, v8
	;;#ASMSTART
	v_pk_mul_f32 v[2:3], v[2:3], v[6:7]
	;;#ASMEND
	s_load_dword s2, s[0:1], 0xc
	v_perm_b32 v9, v75, v74, s42
	v_perm_b32 v8, v77, v76, s42
	;; [unrolled: 1-line block ×4, first 2 shown]
	s_waitcnt lgkmcnt(0)
	s_and_b32 s2, s2, 0xffff
	s_lshl_b32 s2, s2, 5
	v_lshl_add_u64 v[96:97], s[2:3], 0, v[96:97]
	buffer_store_dwordx4 v[6:9], v101, s[4:7], 0 offen
	v_cmp_le_i64_e32 vcc, s[24:25], v[96:97]
	v_perm_b32 v3, v3, v2, s42
	v_perm_b32 v9, v51, v50, s42
	;; [unrolled: 1-line block ×5, first 2 shown]
	buffer_store_dwordx4 v[6:9], v101, s[4:7], 16 offen
	v_perm_b32 v2, v5, v4, s42
	v_perm_b32 v1, v1, v0, s42
	;; [unrolled: 1-line block ×7, first 2 shown]
	s_or_b64 s[26:27], vcc, s[26:27]
	buffer_store_dwordx4 v[6:9], v101, s[4:7], 32 offen
	buffer_store_dwordx4 v[0:3], v101, s[4:7], 48 offen
	s_andn2_b64 exec, exec, s[26:27]
	s_cbranch_execz .LBB400_137
.LBB400_9:                              ; =>This Inner Loop Header: Depth=1
	v_lshlrev_b32_e32 v101, 1, v96
	v_lshlrev_b32_e32 v4, 2, v96
	s_mov_b32 s14, s10
	s_mov_b32 s15, s11
	buffer_load_dwordx4 v[80:83], v101, s[16:19], 0 offen
	buffer_load_dwordx4 v[56:59], v101, s[16:19], 16 offen
	;; [unrolled: 1-line block ×23, first 2 shown]
	s_nop 0
	buffer_load_dwordx4 v[4:7], v4, s[12:15], s30 offen
                                        ; implicit-def: $vgpr103
	s_waitcnt vmcnt(23)
	v_lshlrev_b32_e32 v102, 16, v80
	s_waitcnt vmcnt(15)
	v_add_f32_e32 v92, v92, v102
	v_mul_f32_e32 v102, 0x3f3504f3, v92
	v_cmp_nlt_f32_e64 s[14:15], |v102|, 1.0
	s_and_saveexec_b64 s[44:45], s[14:15]
	s_xor_b64 s[14:15], exec, s[44:45]
	s_cbranch_execz .LBB400_11
; %bb.10:                               ;   in Loop: Header=BB400_9 Depth=1
	v_fma_f32 v103, |v102|, s31, v99
	v_fma_f32 v103, |v102|, v103, s33
	v_fma_f32 v103, |v102|, v103, s34
	v_fma_f32 v103, |v102|, v103, s35
	v_fma_f32 v103, |v102|, v103, s36
	v_fma_f32 v103, |v102|, v103, s37
	v_fma_f32 v103, |v102|, v103, |v102|
	v_mul_f32_e32 v104, 0xbfb8aa3b, v103
	v_fma_f32 v105, v103, s38, -v104
	v_rndne_f32_e32 v106, v104
	v_fmac_f32_e32 v105, 0xb2a5705f, v103
	v_sub_f32_e32 v104, v104, v106
	v_add_f32_e32 v104, v104, v105
	v_cvt_i32_f32_e32 v105, v106
	v_exp_f32_e32 v104, v104
	v_cmp_nlt_f32_e32 vcc, s39, v103
	v_ldexp_f32 v104, v104, v105
	s_nop 0
	v_cndmask_b32_e32 v104, 0, v104, vcc
	v_cmp_ngt_f32_e32 vcc, s40, v103
	s_nop 1
	v_cndmask_b32_e32 v103, v100, v104, vcc
	v_sub_f32_e32 v103, 1.0, v103
.LBB400_11:                             ;   in Loop: Header=BB400_9 Depth=1
	s_andn2_saveexec_b64 s[14:15], s[14:15]
; %bb.12:                               ;   in Loop: Header=BB400_9 Depth=1
	v_mul_f32_e32 v103, v102, v102
	v_fmamk_f32 v104, v103, 0xba1345e1, v98
	v_fmaak_f32 v104, v103, v104, 0xbcdac9b8
	v_fmaak_f32 v104, v103, v104, 0x3de703be
	;; [unrolled: 1-line block ×4, first 2 shown]
	v_fma_f32 v103, |v102|, v103, |v102|
; %bb.13:                               ;   in Loop: Header=BB400_9 Depth=1
	s_or_b64 exec, exec, s[14:15]
	v_and_b32_e32 v80, 0xffff0000, v80
	v_add_f32_e32 v80, v93, v80
	v_mul_f32_e32 v93, 0x3f3504f3, v80
	v_cmp_nlt_f32_e64 s[14:15], |v93|, 1.0
                                        ; implicit-def: $vgpr104
	s_and_saveexec_b64 s[44:45], s[14:15]
	s_xor_b64 s[14:15], exec, s[44:45]
	s_cbranch_execz .LBB400_15
; %bb.14:                               ;   in Loop: Header=BB400_9 Depth=1
	v_fma_f32 v104, |v93|, s31, v99
	v_fma_f32 v104, |v93|, v104, s33
	;; [unrolled: 1-line block ×6, first 2 shown]
	v_fma_f32 v104, |v93|, v104, |v93|
	v_mul_f32_e32 v105, 0xbfb8aa3b, v104
	v_fma_f32 v106, v104, s38, -v105
	v_rndne_f32_e32 v107, v105
	v_fmac_f32_e32 v106, 0xb2a5705f, v104
	v_sub_f32_e32 v105, v105, v107
	v_add_f32_e32 v105, v105, v106
	v_cvt_i32_f32_e32 v106, v107
	v_exp_f32_e32 v105, v105
	v_cmp_nlt_f32_e32 vcc, s39, v104
	v_ldexp_f32 v105, v105, v106
	s_nop 0
	v_cndmask_b32_e32 v105, 0, v105, vcc
	v_cmp_ngt_f32_e32 vcc, s40, v104
	s_nop 1
	v_cndmask_b32_e32 v104, v100, v105, vcc
	v_sub_f32_e32 v104, 1.0, v104
.LBB400_15:                             ;   in Loop: Header=BB400_9 Depth=1
	s_andn2_saveexec_b64 s[14:15], s[14:15]
; %bb.16:                               ;   in Loop: Header=BB400_9 Depth=1
	v_mul_f32_e32 v104, v93, v93
	v_fmamk_f32 v105, v104, 0xba1345e1, v98
	v_fmaak_f32 v105, v104, v105, 0xbcdac9b8
	v_fmaak_f32 v105, v104, v105, 0x3de703be
	;; [unrolled: 1-line block ×4, first 2 shown]
	v_fma_f32 v104, |v93|, v104, |v93|
; %bb.17:                               ;   in Loop: Header=BB400_9 Depth=1
	s_or_b64 exec, exec, s[14:15]
	v_bfi_b32 v102, s41, v103, v102
	v_mul_f32_e32 v92, 0.5, v92
	v_add_f32_e32 v102, 1.0, v102
	v_mul_f32_e32 v92, v92, v102
	v_and_b32_e32 v102, 0xffff0000, v72
	v_lshlrev_b32_e32 v72, 16, v72
	s_waitcnt vmcnt(7)
	v_add_f32_e32 v88, v88, v72
	v_mul_f32_e32 v72, 0.5, v80
	v_bfi_b32 v80, s41, v104, v93
	v_add_f32_e32 v80, 1.0, v80
	v_mul_f32_e32 v93, v72, v80
	v_lshlrev_b32_e32 v72, 16, v81
	v_add_f32_e32 v72, v94, v72
	v_mul_f32_e32 v80, 0x3f3504f3, v72
	v_add_f32_e32 v89, v89, v102
	v_cmp_nlt_f32_e64 s[14:15], |v80|, 1.0
	;;#ASMSTART
	v_pk_mul_f32 v[88:89], v[92:93], v[88:89]
	;;#ASMEND
                                        ; implicit-def: $vgpr92
	s_and_saveexec_b64 s[44:45], s[14:15]
	s_xor_b64 s[14:15], exec, s[44:45]
	s_cbranch_execz .LBB400_19
; %bb.18:                               ;   in Loop: Header=BB400_9 Depth=1
	v_fma_f32 v92, |v80|, s31, v99
	v_fma_f32 v92, |v80|, v92, s33
	;; [unrolled: 1-line block ×6, first 2 shown]
	v_fma_f32 v92, |v80|, v92, |v80|
	v_mul_f32_e32 v93, 0xbfb8aa3b, v92
	v_fma_f32 v94, v92, s38, -v93
	v_rndne_f32_e32 v102, v93
	v_fmac_f32_e32 v94, 0xb2a5705f, v92
	v_sub_f32_e32 v93, v93, v102
	v_add_f32_e32 v93, v93, v94
	v_cvt_i32_f32_e32 v94, v102
	v_exp_f32_e32 v93, v93
	v_cmp_nlt_f32_e32 vcc, s39, v92
	v_ldexp_f32 v93, v93, v94
	s_nop 0
	v_cndmask_b32_e32 v93, 0, v93, vcc
	v_cmp_ngt_f32_e32 vcc, s40, v92
	s_nop 1
	v_cndmask_b32_e32 v92, v100, v93, vcc
	v_sub_f32_e32 v92, 1.0, v92
.LBB400_19:                             ;   in Loop: Header=BB400_9 Depth=1
	s_andn2_saveexec_b64 s[14:15], s[14:15]
; %bb.20:                               ;   in Loop: Header=BB400_9 Depth=1
	v_mul_f32_e32 v92, v80, v80
	v_fmamk_f32 v93, v92, 0xba1345e1, v98
	v_fmaak_f32 v93, v92, v93, 0xbcdac9b8
	v_fmaak_f32 v93, v92, v93, 0x3de703be
	;; [unrolled: 1-line block ×4, first 2 shown]
	v_fma_f32 v92, |v80|, v92, |v80|
; %bb.21:                               ;   in Loop: Header=BB400_9 Depth=1
	s_or_b64 exec, exec, s[14:15]
	v_and_b32_e32 v81, 0xffff0000, v81
	v_add_f32_e32 v81, v95, v81
	v_mul_f32_e32 v93, 0x3f3504f3, v81
	v_cmp_nlt_f32_e64 s[14:15], |v93|, 1.0
                                        ; implicit-def: $vgpr94
	s_and_saveexec_b64 s[44:45], s[14:15]
	s_xor_b64 s[14:15], exec, s[44:45]
	s_cbranch_execz .LBB400_23
; %bb.22:                               ;   in Loop: Header=BB400_9 Depth=1
	v_fma_f32 v94, |v93|, s31, v99
	v_fma_f32 v94, |v93|, v94, s33
	v_fma_f32 v94, |v93|, v94, s34
	v_fma_f32 v94, |v93|, v94, s35
	v_fma_f32 v94, |v93|, v94, s36
	v_fma_f32 v94, |v93|, v94, s37
	v_fma_f32 v94, |v93|, v94, |v93|
	v_mul_f32_e32 v95, 0xbfb8aa3b, v94
	v_fma_f32 v102, v94, s38, -v95
	v_rndne_f32_e32 v103, v95
	v_fmac_f32_e32 v102, 0xb2a5705f, v94
	v_sub_f32_e32 v95, v95, v103
	v_add_f32_e32 v95, v95, v102
	v_cvt_i32_f32_e32 v102, v103
	v_exp_f32_e32 v95, v95
	v_cmp_nlt_f32_e32 vcc, s39, v94
	v_ldexp_f32 v95, v95, v102
	s_nop 0
	v_cndmask_b32_e32 v95, 0, v95, vcc
	v_cmp_ngt_f32_e32 vcc, s40, v94
	s_nop 1
	v_cndmask_b32_e32 v94, v100, v95, vcc
	v_sub_f32_e32 v94, 1.0, v94
.LBB400_23:                             ;   in Loop: Header=BB400_9 Depth=1
	s_andn2_saveexec_b64 s[14:15], s[14:15]
; %bb.24:                               ;   in Loop: Header=BB400_9 Depth=1
	v_mul_f32_e32 v94, v93, v93
	v_fmamk_f32 v95, v94, 0xba1345e1, v98
	v_fmaak_f32 v95, v94, v95, 0xbcdac9b8
	v_fmaak_f32 v95, v94, v95, 0x3de703be
	v_fmaak_f32 v95, v94, v95, 0xbec09330
	v_fmaak_f32 v94, v94, v95, 0x3e0375d0
	v_fma_f32 v94, |v93|, v94, |v93|
; %bb.25:                               ;   in Loop: Header=BB400_9 Depth=1
	s_or_b64 exec, exec, s[14:15]
	v_bfi_b32 v80, s41, v92, v80
	v_mul_f32_e32 v72, 0.5, v72
	v_add_f32_e32 v80, 1.0, v80
	v_mul_f32_e32 v72, v72, v80
	v_and_b32_e32 v80, 0xffff0000, v73
	v_add_f32_e32 v91, v91, v80
	v_lshlrev_b32_e32 v73, 16, v73
	v_bfi_b32 v80, s41, v94, v93
	v_add_f32_e32 v90, v90, v73
	v_mul_f32_e32 v73, 0.5, v81
	v_add_f32_e32 v80, 1.0, v80
	v_mul_f32_e32 v73, v73, v80
	v_lshlrev_b32_e32 v80, 16, v82
	v_add_f32_e32 v80, v84, v80
	v_mul_f32_e32 v81, 0x3f3504f3, v80
	v_cmp_nlt_f32_e64 s[14:15], |v81|, 1.0
	;;#ASMSTART
	v_pk_mul_f32 v[72:73], v[72:73], v[90:91]
	;;#ASMEND
                                        ; implicit-def: $vgpr84
	s_and_saveexec_b64 s[44:45], s[14:15]
	s_xor_b64 s[14:15], exec, s[44:45]
	s_cbranch_execz .LBB400_27
; %bb.26:                               ;   in Loop: Header=BB400_9 Depth=1
	v_fma_f32 v84, |v81|, s31, v99
	v_fma_f32 v84, |v81|, v84, s33
	;; [unrolled: 1-line block ×6, first 2 shown]
	v_fma_f32 v84, |v81|, v84, |v81|
	v_mul_f32_e32 v90, 0xbfb8aa3b, v84
	v_fma_f32 v91, v84, s38, -v90
	v_rndne_f32_e32 v92, v90
	v_fmac_f32_e32 v91, 0xb2a5705f, v84
	v_sub_f32_e32 v90, v90, v92
	v_add_f32_e32 v90, v90, v91
	v_cvt_i32_f32_e32 v91, v92
	v_exp_f32_e32 v90, v90
	v_cmp_nlt_f32_e32 vcc, s39, v84
	v_ldexp_f32 v90, v90, v91
	s_nop 0
	v_cndmask_b32_e32 v90, 0, v90, vcc
	v_cmp_ngt_f32_e32 vcc, s40, v84
	s_nop 1
	v_cndmask_b32_e32 v84, v100, v90, vcc
	v_sub_f32_e32 v84, 1.0, v84
.LBB400_27:                             ;   in Loop: Header=BB400_9 Depth=1
	s_andn2_saveexec_b64 s[14:15], s[14:15]
; %bb.28:                               ;   in Loop: Header=BB400_9 Depth=1
	v_mul_f32_e32 v84, v81, v81
	v_fmamk_f32 v90, v84, 0xba1345e1, v98
	v_fmaak_f32 v90, v84, v90, 0xbcdac9b8
	v_fmaak_f32 v90, v84, v90, 0x3de703be
	;; [unrolled: 1-line block ×4, first 2 shown]
	v_fma_f32 v84, |v81|, v84, |v81|
; %bb.29:                               ;   in Loop: Header=BB400_9 Depth=1
	s_or_b64 exec, exec, s[14:15]
	v_and_b32_e32 v82, 0xffff0000, v82
	v_add_f32_e32 v82, v85, v82
	v_mul_f32_e32 v85, 0x3f3504f3, v82
	v_cmp_nlt_f32_e64 s[14:15], |v85|, 1.0
                                        ; implicit-def: $vgpr90
	s_and_saveexec_b64 s[44:45], s[14:15]
	s_xor_b64 s[14:15], exec, s[44:45]
	s_cbranch_execz .LBB400_31
; %bb.30:                               ;   in Loop: Header=BB400_9 Depth=1
	v_fma_f32 v90, |v85|, s31, v99
	v_fma_f32 v90, |v85|, v90, s33
	v_fma_f32 v90, |v85|, v90, s34
	v_fma_f32 v90, |v85|, v90, s35
	v_fma_f32 v90, |v85|, v90, s36
	v_fma_f32 v90, |v85|, v90, s37
	v_fma_f32 v90, |v85|, v90, |v85|
	v_mul_f32_e32 v91, 0xbfb8aa3b, v90
	v_fma_f32 v92, v90, s38, -v91
	v_rndne_f32_e32 v93, v91
	v_fmac_f32_e32 v92, 0xb2a5705f, v90
	v_sub_f32_e32 v91, v91, v93
	v_add_f32_e32 v91, v91, v92
	v_cvt_i32_f32_e32 v92, v93
	v_exp_f32_e32 v91, v91
	v_cmp_nlt_f32_e32 vcc, s39, v90
	v_ldexp_f32 v91, v91, v92
	s_nop 0
	v_cndmask_b32_e32 v91, 0, v91, vcc
	v_cmp_ngt_f32_e32 vcc, s40, v90
	s_nop 1
	v_cndmask_b32_e32 v90, v100, v91, vcc
	v_sub_f32_e32 v90, 1.0, v90
.LBB400_31:                             ;   in Loop: Header=BB400_9 Depth=1
	s_andn2_saveexec_b64 s[14:15], s[14:15]
; %bb.32:                               ;   in Loop: Header=BB400_9 Depth=1
	v_mul_f32_e32 v90, v85, v85
	v_fmamk_f32 v91, v90, 0xba1345e1, v98
	v_fmaak_f32 v91, v90, v91, 0xbcdac9b8
	v_fmaak_f32 v91, v90, v91, 0x3de703be
	;; [unrolled: 1-line block ×4, first 2 shown]
	v_fma_f32 v90, |v85|, v90, |v85|
; %bb.33:                               ;   in Loop: Header=BB400_9 Depth=1
	s_or_b64 exec, exec, s[14:15]
	v_bfi_b32 v81, s41, v84, v81
	v_mul_f32_e32 v80, 0.5, v80
	v_add_f32_e32 v81, 1.0, v81
	v_mul_f32_e32 v80, v80, v81
	v_and_b32_e32 v81, 0xffff0000, v74
	s_waitcnt vmcnt(6)
	v_add_f32_e32 v77, v77, v81
	v_lshlrev_b32_e32 v74, 16, v74
	v_bfi_b32 v81, s41, v90, v85
	v_add_f32_e32 v76, v76, v74
	v_mul_f32_e32 v74, 0.5, v82
	v_add_f32_e32 v81, 1.0, v81
	v_mul_f32_e32 v81, v74, v81
	v_lshlrev_b32_e32 v74, 16, v83
	v_add_f32_e32 v74, v86, v74
	;;#ASMSTART
	v_pk_mul_f32 v[76:77], v[80:81], v[76:77]
	;;#ASMEND
	v_mul_f32_e32 v80, 0x3f3504f3, v74
	v_cmp_nlt_f32_e64 s[14:15], |v80|, 1.0
                                        ; implicit-def: $vgpr81
	s_and_saveexec_b64 s[44:45], s[14:15]
	s_xor_b64 s[14:15], exec, s[44:45]
	s_cbranch_execz .LBB400_35
; %bb.34:                               ;   in Loop: Header=BB400_9 Depth=1
	v_fma_f32 v81, |v80|, s31, v99
	v_fma_f32 v81, |v80|, v81, s33
	;; [unrolled: 1-line block ×6, first 2 shown]
	v_fma_f32 v81, |v80|, v81, |v80|
	v_mul_f32_e32 v82, 0xbfb8aa3b, v81
	v_fma_f32 v84, v81, s38, -v82
	v_rndne_f32_e32 v85, v82
	v_fmac_f32_e32 v84, 0xb2a5705f, v81
	v_sub_f32_e32 v82, v82, v85
	v_add_f32_e32 v82, v82, v84
	v_cvt_i32_f32_e32 v84, v85
	v_exp_f32_e32 v82, v82
	v_cmp_nlt_f32_e32 vcc, s39, v81
	v_ldexp_f32 v82, v82, v84
	s_nop 0
	v_cndmask_b32_e32 v82, 0, v82, vcc
	v_cmp_ngt_f32_e32 vcc, s40, v81
	s_nop 1
	v_cndmask_b32_e32 v81, v100, v82, vcc
	v_sub_f32_e32 v81, 1.0, v81
.LBB400_35:                             ;   in Loop: Header=BB400_9 Depth=1
	s_andn2_saveexec_b64 s[14:15], s[14:15]
; %bb.36:                               ;   in Loop: Header=BB400_9 Depth=1
	v_mul_f32_e32 v81, v80, v80
	v_fmamk_f32 v82, v81, 0xba1345e1, v98
	v_fmaak_f32 v82, v81, v82, 0xbcdac9b8
	v_fmaak_f32 v82, v81, v82, 0x3de703be
	;; [unrolled: 1-line block ×4, first 2 shown]
	v_fma_f32 v81, |v80|, v81, |v80|
; %bb.37:                               ;   in Loop: Header=BB400_9 Depth=1
	s_or_b64 exec, exec, s[14:15]
	v_and_b32_e32 v82, 0xffff0000, v83
	v_add_f32_e32 v82, v87, v82
	v_mul_f32_e32 v83, 0x3f3504f3, v82
	v_cmp_nlt_f32_e64 s[14:15], |v83|, 1.0
                                        ; implicit-def: $vgpr84
	s_and_saveexec_b64 s[44:45], s[14:15]
	s_xor_b64 s[14:15], exec, s[44:45]
	s_cbranch_execz .LBB400_39
; %bb.38:                               ;   in Loop: Header=BB400_9 Depth=1
	v_fma_f32 v84, |v83|, s31, v99
	v_fma_f32 v84, |v83|, v84, s33
	;; [unrolled: 1-line block ×6, first 2 shown]
	v_fma_f32 v84, |v83|, v84, |v83|
	v_mul_f32_e32 v85, 0xbfb8aa3b, v84
	v_fma_f32 v86, v84, s38, -v85
	v_rndne_f32_e32 v87, v85
	v_fmac_f32_e32 v86, 0xb2a5705f, v84
	v_sub_f32_e32 v85, v85, v87
	v_add_f32_e32 v85, v85, v86
	v_cvt_i32_f32_e32 v86, v87
	v_exp_f32_e32 v85, v85
	v_cmp_nlt_f32_e32 vcc, s39, v84
	v_ldexp_f32 v85, v85, v86
	s_nop 0
	v_cndmask_b32_e32 v85, 0, v85, vcc
	v_cmp_ngt_f32_e32 vcc, s40, v84
	s_nop 1
	v_cndmask_b32_e32 v84, v100, v85, vcc
	v_sub_f32_e32 v84, 1.0, v84
.LBB400_39:                             ;   in Loop: Header=BB400_9 Depth=1
	s_andn2_saveexec_b64 s[14:15], s[14:15]
; %bb.40:                               ;   in Loop: Header=BB400_9 Depth=1
	v_mul_f32_e32 v84, v83, v83
	v_fmamk_f32 v85, v84, 0xba1345e1, v98
	v_fmaak_f32 v85, v84, v85, 0xbcdac9b8
	v_fmaak_f32 v85, v84, v85, 0x3de703be
	;; [unrolled: 1-line block ×4, first 2 shown]
	v_fma_f32 v84, |v83|, v84, |v83|
; %bb.41:                               ;   in Loop: Header=BB400_9 Depth=1
	s_or_b64 exec, exec, s[14:15]
	v_bfi_b32 v80, s41, v81, v80
	v_mul_f32_e32 v74, 0.5, v74
	v_add_f32_e32 v80, 1.0, v80
	v_mul_f32_e32 v74, v74, v80
	v_and_b32_e32 v80, 0xffff0000, v75
	v_add_f32_e32 v79, v79, v80
	v_lshlrev_b32_e32 v75, 16, v75
	v_bfi_b32 v80, s41, v84, v83
	v_add_f32_e32 v78, v78, v75
	v_mul_f32_e32 v75, 0.5, v82
	v_add_f32_e32 v80, 1.0, v80
	v_mul_f32_e32 v75, v75, v80
	;;#ASMSTART
	v_pk_mul_f32 v[74:75], v[74:75], v[78:79]
	;;#ASMEND
	v_lshlrev_b32_e32 v78, 16, v56
	v_add_f32_e32 v68, v68, v78
	v_mul_f32_e32 v78, 0x3f3504f3, v68
	v_cmp_nlt_f32_e64 s[14:15], |v78|, 1.0
                                        ; implicit-def: $vgpr79
	s_and_saveexec_b64 s[44:45], s[14:15]
	s_xor_b64 s[14:15], exec, s[44:45]
	s_cbranch_execz .LBB400_43
; %bb.42:                               ;   in Loop: Header=BB400_9 Depth=1
	v_fma_f32 v79, |v78|, s31, v99
	v_fma_f32 v79, |v78|, v79, s33
	;; [unrolled: 1-line block ×6, first 2 shown]
	v_fma_f32 v79, |v78|, v79, |v78|
	v_mul_f32_e32 v80, 0xbfb8aa3b, v79
	v_fma_f32 v81, v79, s38, -v80
	v_rndne_f32_e32 v82, v80
	v_fmac_f32_e32 v81, 0xb2a5705f, v79
	v_sub_f32_e32 v80, v80, v82
	v_add_f32_e32 v80, v80, v81
	v_cvt_i32_f32_e32 v81, v82
	v_exp_f32_e32 v80, v80
	v_cmp_nlt_f32_e32 vcc, s39, v79
	v_ldexp_f32 v80, v80, v81
	s_nop 0
	v_cndmask_b32_e32 v80, 0, v80, vcc
	v_cmp_ngt_f32_e32 vcc, s40, v79
	s_nop 1
	v_cndmask_b32_e32 v79, v100, v80, vcc
	v_sub_f32_e32 v79, 1.0, v79
.LBB400_43:                             ;   in Loop: Header=BB400_9 Depth=1
	s_andn2_saveexec_b64 s[14:15], s[14:15]
; %bb.44:                               ;   in Loop: Header=BB400_9 Depth=1
	v_mul_f32_e32 v79, v78, v78
	v_fmamk_f32 v80, v79, 0xba1345e1, v98
	v_fmaak_f32 v80, v79, v80, 0xbcdac9b8
	v_fmaak_f32 v80, v79, v80, 0x3de703be
	;; [unrolled: 1-line block ×4, first 2 shown]
	v_fma_f32 v79, |v78|, v79, |v78|
; %bb.45:                               ;   in Loop: Header=BB400_9 Depth=1
	s_or_b64 exec, exec, s[14:15]
	v_and_b32_e32 v56, 0xffff0000, v56
	v_add_f32_e32 v56, v69, v56
	v_mul_f32_e32 v69, 0x3f3504f3, v56
	v_cmp_nlt_f32_e64 s[14:15], |v69|, 1.0
                                        ; implicit-def: $vgpr80
	s_and_saveexec_b64 s[44:45], s[14:15]
	s_xor_b64 s[14:15], exec, s[44:45]
	s_cbranch_execz .LBB400_47
; %bb.46:                               ;   in Loop: Header=BB400_9 Depth=1
	v_fma_f32 v80, |v69|, s31, v99
	v_fma_f32 v80, |v69|, v80, s33
	;; [unrolled: 1-line block ×6, first 2 shown]
	v_fma_f32 v80, |v69|, v80, |v69|
	v_mul_f32_e32 v81, 0xbfb8aa3b, v80
	v_fma_f32 v82, v80, s38, -v81
	v_rndne_f32_e32 v83, v81
	v_fmac_f32_e32 v82, 0xb2a5705f, v80
	v_sub_f32_e32 v81, v81, v83
	v_add_f32_e32 v81, v81, v82
	v_cvt_i32_f32_e32 v82, v83
	v_exp_f32_e32 v81, v81
	v_cmp_nlt_f32_e32 vcc, s39, v80
	v_ldexp_f32 v81, v81, v82
	s_nop 0
	v_cndmask_b32_e32 v81, 0, v81, vcc
	v_cmp_ngt_f32_e32 vcc, s40, v80
	s_nop 1
	v_cndmask_b32_e32 v80, v100, v81, vcc
	v_sub_f32_e32 v80, 1.0, v80
.LBB400_47:                             ;   in Loop: Header=BB400_9 Depth=1
	s_andn2_saveexec_b64 s[14:15], s[14:15]
; %bb.48:                               ;   in Loop: Header=BB400_9 Depth=1
	v_mul_f32_e32 v80, v69, v69
	v_fmamk_f32 v81, v80, 0xba1345e1, v98
	v_fmaak_f32 v81, v80, v81, 0xbcdac9b8
	v_fmaak_f32 v81, v80, v81, 0x3de703be
	;; [unrolled: 1-line block ×4, first 2 shown]
	v_fma_f32 v80, |v69|, v80, |v69|
; %bb.49:                               ;   in Loop: Header=BB400_9 Depth=1
	s_or_b64 exec, exec, s[14:15]
	v_bfi_b32 v78, s41, v79, v78
	v_mul_f32_e32 v68, 0.5, v68
	v_add_f32_e32 v78, 1.0, v78
	v_mul_f32_e32 v68, v68, v78
	v_and_b32_e32 v78, 0xffff0000, v48
	v_lshlrev_b32_e32 v48, 16, v48
	s_waitcnt vmcnt(5)
	v_add_f32_e32 v64, v64, v48
	v_mul_f32_e32 v48, 0.5, v56
	v_bfi_b32 v56, s41, v80, v69
	v_add_f32_e32 v56, 1.0, v56
	v_mul_f32_e32 v69, v48, v56
	v_lshlrev_b32_e32 v48, 16, v57
	v_add_f32_e32 v48, v70, v48
	v_mul_f32_e32 v56, 0x3f3504f3, v48
	v_add_f32_e32 v65, v65, v78
	v_cmp_nlt_f32_e64 s[14:15], |v56|, 1.0
	;;#ASMSTART
	v_pk_mul_f32 v[64:65], v[68:69], v[64:65]
	;;#ASMEND
                                        ; implicit-def: $vgpr68
	s_and_saveexec_b64 s[44:45], s[14:15]
	s_xor_b64 s[14:15], exec, s[44:45]
	s_cbranch_execz .LBB400_51
; %bb.50:                               ;   in Loop: Header=BB400_9 Depth=1
	v_fma_f32 v68, |v56|, s31, v99
	v_fma_f32 v68, |v56|, v68, s33
	;; [unrolled: 1-line block ×6, first 2 shown]
	v_fma_f32 v68, |v56|, v68, |v56|
	v_mul_f32_e32 v69, 0xbfb8aa3b, v68
	v_fma_f32 v70, v68, s38, -v69
	v_rndne_f32_e32 v78, v69
	v_fmac_f32_e32 v70, 0xb2a5705f, v68
	v_sub_f32_e32 v69, v69, v78
	v_add_f32_e32 v69, v69, v70
	v_cvt_i32_f32_e32 v70, v78
	v_exp_f32_e32 v69, v69
	v_cmp_nlt_f32_e32 vcc, s39, v68
	v_ldexp_f32 v69, v69, v70
	s_nop 0
	v_cndmask_b32_e32 v69, 0, v69, vcc
	v_cmp_ngt_f32_e32 vcc, s40, v68
	s_nop 1
	v_cndmask_b32_e32 v68, v100, v69, vcc
	v_sub_f32_e32 v68, 1.0, v68
.LBB400_51:                             ;   in Loop: Header=BB400_9 Depth=1
	s_andn2_saveexec_b64 s[14:15], s[14:15]
; %bb.52:                               ;   in Loop: Header=BB400_9 Depth=1
	v_mul_f32_e32 v68, v56, v56
	v_fmamk_f32 v69, v68, 0xba1345e1, v98
	v_fmaak_f32 v69, v68, v69, 0xbcdac9b8
	v_fmaak_f32 v69, v68, v69, 0x3de703be
	v_fmaak_f32 v69, v68, v69, 0xbec09330
	v_fmaak_f32 v68, v68, v69, 0x3e0375d0
	v_fma_f32 v68, |v56|, v68, |v56|
; %bb.53:                               ;   in Loop: Header=BB400_9 Depth=1
	s_or_b64 exec, exec, s[14:15]
	v_and_b32_e32 v57, 0xffff0000, v57
	v_add_f32_e32 v57, v71, v57
	v_mul_f32_e32 v69, 0x3f3504f3, v57
	v_cmp_nlt_f32_e64 s[14:15], |v69|, 1.0
                                        ; implicit-def: $vgpr70
	s_and_saveexec_b64 s[44:45], s[14:15]
	s_xor_b64 s[14:15], exec, s[44:45]
	s_cbranch_execz .LBB400_55
; %bb.54:                               ;   in Loop: Header=BB400_9 Depth=1
	v_fma_f32 v70, |v69|, s31, v99
	v_fma_f32 v70, |v69|, v70, s33
	;; [unrolled: 1-line block ×6, first 2 shown]
	v_fma_f32 v70, |v69|, v70, |v69|
	v_mul_f32_e32 v71, 0xbfb8aa3b, v70
	v_fma_f32 v78, v70, s38, -v71
	v_rndne_f32_e32 v79, v71
	v_fmac_f32_e32 v78, 0xb2a5705f, v70
	v_sub_f32_e32 v71, v71, v79
	v_add_f32_e32 v71, v71, v78
	v_cvt_i32_f32_e32 v78, v79
	v_exp_f32_e32 v71, v71
	v_cmp_nlt_f32_e32 vcc, s39, v70
	v_ldexp_f32 v71, v71, v78
	s_nop 0
	v_cndmask_b32_e32 v71, 0, v71, vcc
	v_cmp_ngt_f32_e32 vcc, s40, v70
	s_nop 1
	v_cndmask_b32_e32 v70, v100, v71, vcc
	v_sub_f32_e32 v70, 1.0, v70
.LBB400_55:                             ;   in Loop: Header=BB400_9 Depth=1
	s_andn2_saveexec_b64 s[14:15], s[14:15]
; %bb.56:                               ;   in Loop: Header=BB400_9 Depth=1
	v_mul_f32_e32 v70, v69, v69
	v_fmamk_f32 v71, v70, 0xba1345e1, v98
	v_fmaak_f32 v71, v70, v71, 0xbcdac9b8
	v_fmaak_f32 v71, v70, v71, 0x3de703be
	;; [unrolled: 1-line block ×4, first 2 shown]
	v_fma_f32 v70, |v69|, v70, |v69|
; %bb.57:                               ;   in Loop: Header=BB400_9 Depth=1
	s_or_b64 exec, exec, s[14:15]
	v_bfi_b32 v56, s41, v68, v56
	v_mul_f32_e32 v48, 0.5, v48
	v_add_f32_e32 v56, 1.0, v56
	v_mul_f32_e32 v48, v48, v56
	v_and_b32_e32 v56, 0xffff0000, v49
	v_add_f32_e32 v67, v67, v56
	v_lshlrev_b32_e32 v49, 16, v49
	v_bfi_b32 v56, s41, v70, v69
	v_add_f32_e32 v66, v66, v49
	v_mul_f32_e32 v49, 0.5, v57
	v_add_f32_e32 v56, 1.0, v56
	v_mul_f32_e32 v49, v49, v56
	v_lshlrev_b32_e32 v56, 16, v58
	v_add_f32_e32 v56, v60, v56
	v_mul_f32_e32 v57, 0x3f3504f3, v56
	v_cmp_nlt_f32_e64 s[14:15], |v57|, 1.0
	;;#ASMSTART
	v_pk_mul_f32 v[48:49], v[48:49], v[66:67]
	;;#ASMEND
                                        ; implicit-def: $vgpr60
	s_and_saveexec_b64 s[44:45], s[14:15]
	s_xor_b64 s[14:15], exec, s[44:45]
	s_cbranch_execz .LBB400_59
; %bb.58:                               ;   in Loop: Header=BB400_9 Depth=1
	v_fma_f32 v60, |v57|, s31, v99
	v_fma_f32 v60, |v57|, v60, s33
	;; [unrolled: 1-line block ×6, first 2 shown]
	v_fma_f32 v60, |v57|, v60, |v57|
	v_mul_f32_e32 v66, 0xbfb8aa3b, v60
	v_fma_f32 v67, v60, s38, -v66
	v_rndne_f32_e32 v68, v66
	v_fmac_f32_e32 v67, 0xb2a5705f, v60
	v_sub_f32_e32 v66, v66, v68
	v_add_f32_e32 v66, v66, v67
	v_cvt_i32_f32_e32 v67, v68
	v_exp_f32_e32 v66, v66
	v_cmp_nlt_f32_e32 vcc, s39, v60
	v_ldexp_f32 v66, v66, v67
	s_nop 0
	v_cndmask_b32_e32 v66, 0, v66, vcc
	v_cmp_ngt_f32_e32 vcc, s40, v60
	s_nop 1
	v_cndmask_b32_e32 v60, v100, v66, vcc
	v_sub_f32_e32 v60, 1.0, v60
.LBB400_59:                             ;   in Loop: Header=BB400_9 Depth=1
	s_andn2_saveexec_b64 s[14:15], s[14:15]
; %bb.60:                               ;   in Loop: Header=BB400_9 Depth=1
	v_mul_f32_e32 v60, v57, v57
	v_fmamk_f32 v66, v60, 0xba1345e1, v98
	v_fmaak_f32 v66, v60, v66, 0xbcdac9b8
	v_fmaak_f32 v66, v60, v66, 0x3de703be
	;; [unrolled: 1-line block ×4, first 2 shown]
	v_fma_f32 v60, |v57|, v60, |v57|
; %bb.61:                               ;   in Loop: Header=BB400_9 Depth=1
	s_or_b64 exec, exec, s[14:15]
	v_and_b32_e32 v58, 0xffff0000, v58
	v_add_f32_e32 v58, v61, v58
	v_mul_f32_e32 v61, 0x3f3504f3, v58
	v_cmp_nlt_f32_e64 s[14:15], |v61|, 1.0
                                        ; implicit-def: $vgpr66
	s_and_saveexec_b64 s[44:45], s[14:15]
	s_xor_b64 s[14:15], exec, s[44:45]
	s_cbranch_execz .LBB400_63
; %bb.62:                               ;   in Loop: Header=BB400_9 Depth=1
	v_fma_f32 v66, |v61|, s31, v99
	v_fma_f32 v66, |v61|, v66, s33
	v_fma_f32 v66, |v61|, v66, s34
	v_fma_f32 v66, |v61|, v66, s35
	v_fma_f32 v66, |v61|, v66, s36
	v_fma_f32 v66, |v61|, v66, s37
	v_fma_f32 v66, |v61|, v66, |v61|
	v_mul_f32_e32 v67, 0xbfb8aa3b, v66
	v_fma_f32 v68, v66, s38, -v67
	v_rndne_f32_e32 v69, v67
	v_fmac_f32_e32 v68, 0xb2a5705f, v66
	v_sub_f32_e32 v67, v67, v69
	v_add_f32_e32 v67, v67, v68
	v_cvt_i32_f32_e32 v68, v69
	v_exp_f32_e32 v67, v67
	v_cmp_nlt_f32_e32 vcc, s39, v66
	v_ldexp_f32 v67, v67, v68
	s_nop 0
	v_cndmask_b32_e32 v67, 0, v67, vcc
	v_cmp_ngt_f32_e32 vcc, s40, v66
	s_nop 1
	v_cndmask_b32_e32 v66, v100, v67, vcc
	v_sub_f32_e32 v66, 1.0, v66
.LBB400_63:                             ;   in Loop: Header=BB400_9 Depth=1
	s_andn2_saveexec_b64 s[14:15], s[14:15]
; %bb.64:                               ;   in Loop: Header=BB400_9 Depth=1
	v_mul_f32_e32 v66, v61, v61
	v_fmamk_f32 v67, v66, 0xba1345e1, v98
	v_fmaak_f32 v67, v66, v67, 0xbcdac9b8
	v_fmaak_f32 v67, v66, v67, 0x3de703be
	;; [unrolled: 1-line block ×4, first 2 shown]
	v_fma_f32 v66, |v61|, v66, |v61|
; %bb.65:                               ;   in Loop: Header=BB400_9 Depth=1
	s_or_b64 exec, exec, s[14:15]
	v_bfi_b32 v57, s41, v60, v57
	v_mul_f32_e32 v56, 0.5, v56
	v_add_f32_e32 v57, 1.0, v57
	v_mul_f32_e32 v56, v56, v57
	v_and_b32_e32 v57, 0xffff0000, v50
	s_waitcnt vmcnt(4)
	v_add_f32_e32 v53, v53, v57
	v_lshlrev_b32_e32 v50, 16, v50
	v_bfi_b32 v57, s41, v66, v61
	v_add_f32_e32 v52, v52, v50
	v_mul_f32_e32 v50, 0.5, v58
	v_add_f32_e32 v57, 1.0, v57
	v_mul_f32_e32 v57, v50, v57
	v_lshlrev_b32_e32 v50, 16, v59
	v_add_f32_e32 v50, v62, v50
	;;#ASMSTART
	v_pk_mul_f32 v[52:53], v[56:57], v[52:53]
	;;#ASMEND
	v_mul_f32_e32 v56, 0x3f3504f3, v50
	v_cmp_nlt_f32_e64 s[14:15], |v56|, 1.0
                                        ; implicit-def: $vgpr57
	s_and_saveexec_b64 s[44:45], s[14:15]
	s_xor_b64 s[14:15], exec, s[44:45]
	s_cbranch_execz .LBB400_67
; %bb.66:                               ;   in Loop: Header=BB400_9 Depth=1
	v_fma_f32 v57, |v56|, s31, v99
	v_fma_f32 v57, |v56|, v57, s33
	;; [unrolled: 1-line block ×6, first 2 shown]
	v_fma_f32 v57, |v56|, v57, |v56|
	v_mul_f32_e32 v58, 0xbfb8aa3b, v57
	v_fma_f32 v60, v57, s38, -v58
	v_rndne_f32_e32 v61, v58
	v_fmac_f32_e32 v60, 0xb2a5705f, v57
	v_sub_f32_e32 v58, v58, v61
	v_add_f32_e32 v58, v58, v60
	v_cvt_i32_f32_e32 v60, v61
	v_exp_f32_e32 v58, v58
	v_cmp_nlt_f32_e32 vcc, s39, v57
	v_ldexp_f32 v58, v58, v60
	s_nop 0
	v_cndmask_b32_e32 v58, 0, v58, vcc
	v_cmp_ngt_f32_e32 vcc, s40, v57
	s_nop 1
	v_cndmask_b32_e32 v57, v100, v58, vcc
	v_sub_f32_e32 v57, 1.0, v57
.LBB400_67:                             ;   in Loop: Header=BB400_9 Depth=1
	s_andn2_saveexec_b64 s[14:15], s[14:15]
; %bb.68:                               ;   in Loop: Header=BB400_9 Depth=1
	v_mul_f32_e32 v57, v56, v56
	v_fmamk_f32 v58, v57, 0xba1345e1, v98
	v_fmaak_f32 v58, v57, v58, 0xbcdac9b8
	v_fmaak_f32 v58, v57, v58, 0x3de703be
	;; [unrolled: 1-line block ×4, first 2 shown]
	v_fma_f32 v57, |v56|, v57, |v56|
; %bb.69:                               ;   in Loop: Header=BB400_9 Depth=1
	s_or_b64 exec, exec, s[14:15]
	v_and_b32_e32 v58, 0xffff0000, v59
	v_add_f32_e32 v58, v63, v58
	v_mul_f32_e32 v59, 0x3f3504f3, v58
	v_cmp_nlt_f32_e64 s[14:15], |v59|, 1.0
                                        ; implicit-def: $vgpr60
	s_and_saveexec_b64 s[44:45], s[14:15]
	s_xor_b64 s[14:15], exec, s[44:45]
	s_cbranch_execz .LBB400_71
; %bb.70:                               ;   in Loop: Header=BB400_9 Depth=1
	v_fma_f32 v60, |v59|, s31, v99
	v_fma_f32 v60, |v59|, v60, s33
	;; [unrolled: 1-line block ×6, first 2 shown]
	v_fma_f32 v60, |v59|, v60, |v59|
	v_mul_f32_e32 v61, 0xbfb8aa3b, v60
	v_fma_f32 v62, v60, s38, -v61
	v_rndne_f32_e32 v63, v61
	v_fmac_f32_e32 v62, 0xb2a5705f, v60
	v_sub_f32_e32 v61, v61, v63
	v_add_f32_e32 v61, v61, v62
	v_cvt_i32_f32_e32 v62, v63
	v_exp_f32_e32 v61, v61
	v_cmp_nlt_f32_e32 vcc, s39, v60
	v_ldexp_f32 v61, v61, v62
	s_nop 0
	v_cndmask_b32_e32 v61, 0, v61, vcc
	v_cmp_ngt_f32_e32 vcc, s40, v60
	s_nop 1
	v_cndmask_b32_e32 v60, v100, v61, vcc
	v_sub_f32_e32 v60, 1.0, v60
.LBB400_71:                             ;   in Loop: Header=BB400_9 Depth=1
	s_andn2_saveexec_b64 s[14:15], s[14:15]
; %bb.72:                               ;   in Loop: Header=BB400_9 Depth=1
	v_mul_f32_e32 v60, v59, v59
	v_fmamk_f32 v61, v60, 0xba1345e1, v98
	v_fmaak_f32 v61, v60, v61, 0xbcdac9b8
	v_fmaak_f32 v61, v60, v61, 0x3de703be
	;; [unrolled: 1-line block ×4, first 2 shown]
	v_fma_f32 v60, |v59|, v60, |v59|
; %bb.73:                               ;   in Loop: Header=BB400_9 Depth=1
	s_or_b64 exec, exec, s[14:15]
	v_bfi_b32 v56, s41, v57, v56
	v_mul_f32_e32 v50, 0.5, v50
	v_add_f32_e32 v56, 1.0, v56
	v_mul_f32_e32 v50, v50, v56
	v_and_b32_e32 v56, 0xffff0000, v51
	v_add_f32_e32 v55, v55, v56
	v_lshlrev_b32_e32 v51, 16, v51
	v_bfi_b32 v56, s41, v60, v59
	v_add_f32_e32 v54, v54, v51
	v_mul_f32_e32 v51, 0.5, v58
	v_add_f32_e32 v56, 1.0, v56
	v_mul_f32_e32 v51, v51, v56
	;;#ASMSTART
	v_pk_mul_f32 v[50:51], v[50:51], v[54:55]
	;;#ASMEND
	v_lshlrev_b32_e32 v54, 16, v32
	v_add_f32_e32 v44, v44, v54
	v_mul_f32_e32 v54, 0x3f3504f3, v44
	v_cmp_nlt_f32_e64 s[14:15], |v54|, 1.0
                                        ; implicit-def: $vgpr55
	s_and_saveexec_b64 s[44:45], s[14:15]
	s_xor_b64 s[14:15], exec, s[44:45]
	s_cbranch_execz .LBB400_75
; %bb.74:                               ;   in Loop: Header=BB400_9 Depth=1
	v_fma_f32 v55, |v54|, s31, v99
	v_fma_f32 v55, |v54|, v55, s33
	;; [unrolled: 1-line block ×6, first 2 shown]
	v_fma_f32 v55, |v54|, v55, |v54|
	v_mul_f32_e32 v56, 0xbfb8aa3b, v55
	v_fma_f32 v57, v55, s38, -v56
	v_rndne_f32_e32 v58, v56
	v_fmac_f32_e32 v57, 0xb2a5705f, v55
	v_sub_f32_e32 v56, v56, v58
	v_add_f32_e32 v56, v56, v57
	v_cvt_i32_f32_e32 v57, v58
	v_exp_f32_e32 v56, v56
	v_cmp_nlt_f32_e32 vcc, s39, v55
	v_ldexp_f32 v56, v56, v57
	s_nop 0
	v_cndmask_b32_e32 v56, 0, v56, vcc
	v_cmp_ngt_f32_e32 vcc, s40, v55
	s_nop 1
	v_cndmask_b32_e32 v55, v100, v56, vcc
	v_sub_f32_e32 v55, 1.0, v55
.LBB400_75:                             ;   in Loop: Header=BB400_9 Depth=1
	s_andn2_saveexec_b64 s[14:15], s[14:15]
; %bb.76:                               ;   in Loop: Header=BB400_9 Depth=1
	v_mul_f32_e32 v55, v54, v54
	v_fmamk_f32 v56, v55, 0xba1345e1, v98
	v_fmaak_f32 v56, v55, v56, 0xbcdac9b8
	v_fmaak_f32 v56, v55, v56, 0x3de703be
	;; [unrolled: 1-line block ×4, first 2 shown]
	v_fma_f32 v55, |v54|, v55, |v54|
; %bb.77:                               ;   in Loop: Header=BB400_9 Depth=1
	s_or_b64 exec, exec, s[14:15]
	v_and_b32_e32 v32, 0xffff0000, v32
	v_add_f32_e32 v32, v45, v32
	v_mul_f32_e32 v45, 0x3f3504f3, v32
	v_cmp_nlt_f32_e64 s[14:15], |v45|, 1.0
                                        ; implicit-def: $vgpr56
	s_and_saveexec_b64 s[44:45], s[14:15]
	s_xor_b64 s[14:15], exec, s[44:45]
	s_cbranch_execz .LBB400_79
; %bb.78:                               ;   in Loop: Header=BB400_9 Depth=1
	v_fma_f32 v56, |v45|, s31, v99
	v_fma_f32 v56, |v45|, v56, s33
	;; [unrolled: 1-line block ×6, first 2 shown]
	v_fma_f32 v56, |v45|, v56, |v45|
	v_mul_f32_e32 v57, 0xbfb8aa3b, v56
	v_fma_f32 v58, v56, s38, -v57
	v_rndne_f32_e32 v59, v57
	v_fmac_f32_e32 v58, 0xb2a5705f, v56
	v_sub_f32_e32 v57, v57, v59
	v_add_f32_e32 v57, v57, v58
	v_cvt_i32_f32_e32 v58, v59
	v_exp_f32_e32 v57, v57
	v_cmp_nlt_f32_e32 vcc, s39, v56
	v_ldexp_f32 v57, v57, v58
	s_nop 0
	v_cndmask_b32_e32 v57, 0, v57, vcc
	v_cmp_ngt_f32_e32 vcc, s40, v56
	s_nop 1
	v_cndmask_b32_e32 v56, v100, v57, vcc
	v_sub_f32_e32 v56, 1.0, v56
.LBB400_79:                             ;   in Loop: Header=BB400_9 Depth=1
	s_andn2_saveexec_b64 s[14:15], s[14:15]
; %bb.80:                               ;   in Loop: Header=BB400_9 Depth=1
	v_mul_f32_e32 v56, v45, v45
	v_fmamk_f32 v57, v56, 0xba1345e1, v98
	v_fmaak_f32 v57, v56, v57, 0xbcdac9b8
	v_fmaak_f32 v57, v56, v57, 0x3de703be
	;; [unrolled: 1-line block ×4, first 2 shown]
	v_fma_f32 v56, |v45|, v56, |v45|
; %bb.81:                               ;   in Loop: Header=BB400_9 Depth=1
	s_or_b64 exec, exec, s[14:15]
	v_bfi_b32 v54, s41, v55, v54
	v_mul_f32_e32 v44, 0.5, v44
	v_add_f32_e32 v54, 1.0, v54
	v_mul_f32_e32 v44, v44, v54
	v_and_b32_e32 v54, 0xffff0000, v24
	v_lshlrev_b32_e32 v24, 16, v24
	s_waitcnt vmcnt(3)
	v_add_f32_e32 v40, v40, v24
	v_mul_f32_e32 v24, 0.5, v32
	v_bfi_b32 v32, s41, v56, v45
	v_add_f32_e32 v32, 1.0, v32
	v_mul_f32_e32 v45, v24, v32
	v_lshlrev_b32_e32 v24, 16, v33
	v_add_f32_e32 v24, v46, v24
	v_mul_f32_e32 v32, 0x3f3504f3, v24
	v_add_f32_e32 v41, v41, v54
	v_cmp_nlt_f32_e64 s[14:15], |v32|, 1.0
	;;#ASMSTART
	v_pk_mul_f32 v[40:41], v[44:45], v[40:41]
	;;#ASMEND
                                        ; implicit-def: $vgpr44
	s_and_saveexec_b64 s[44:45], s[14:15]
	s_xor_b64 s[14:15], exec, s[44:45]
	s_cbranch_execz .LBB400_83
; %bb.82:                               ;   in Loop: Header=BB400_9 Depth=1
	v_fma_f32 v44, |v32|, s31, v99
	v_fma_f32 v44, |v32|, v44, s33
	v_fma_f32 v44, |v32|, v44, s34
	v_fma_f32 v44, |v32|, v44, s35
	v_fma_f32 v44, |v32|, v44, s36
	v_fma_f32 v44, |v32|, v44, s37
	v_fma_f32 v44, |v32|, v44, |v32|
	v_mul_f32_e32 v45, 0xbfb8aa3b, v44
	v_fma_f32 v46, v44, s38, -v45
	v_rndne_f32_e32 v54, v45
	v_fmac_f32_e32 v46, 0xb2a5705f, v44
	v_sub_f32_e32 v45, v45, v54
	v_add_f32_e32 v45, v45, v46
	v_cvt_i32_f32_e32 v46, v54
	v_exp_f32_e32 v45, v45
	v_cmp_nlt_f32_e32 vcc, s39, v44
	v_ldexp_f32 v45, v45, v46
	s_nop 0
	v_cndmask_b32_e32 v45, 0, v45, vcc
	v_cmp_ngt_f32_e32 vcc, s40, v44
	s_nop 1
	v_cndmask_b32_e32 v44, v100, v45, vcc
	v_sub_f32_e32 v44, 1.0, v44
.LBB400_83:                             ;   in Loop: Header=BB400_9 Depth=1
	s_andn2_saveexec_b64 s[14:15], s[14:15]
; %bb.84:                               ;   in Loop: Header=BB400_9 Depth=1
	v_mul_f32_e32 v44, v32, v32
	v_fmamk_f32 v45, v44, 0xba1345e1, v98
	v_fmaak_f32 v45, v44, v45, 0xbcdac9b8
	v_fmaak_f32 v45, v44, v45, 0x3de703be
	;; [unrolled: 1-line block ×4, first 2 shown]
	v_fma_f32 v44, |v32|, v44, |v32|
; %bb.85:                               ;   in Loop: Header=BB400_9 Depth=1
	s_or_b64 exec, exec, s[14:15]
	v_and_b32_e32 v33, 0xffff0000, v33
	v_add_f32_e32 v33, v47, v33
	v_mul_f32_e32 v45, 0x3f3504f3, v33
	v_cmp_nlt_f32_e64 s[14:15], |v45|, 1.0
                                        ; implicit-def: $vgpr46
	s_and_saveexec_b64 s[44:45], s[14:15]
	s_xor_b64 s[14:15], exec, s[44:45]
	s_cbranch_execz .LBB400_87
; %bb.86:                               ;   in Loop: Header=BB400_9 Depth=1
	v_fma_f32 v46, |v45|, s31, v99
	v_fma_f32 v46, |v45|, v46, s33
	;; [unrolled: 1-line block ×6, first 2 shown]
	v_fma_f32 v46, |v45|, v46, |v45|
	v_mul_f32_e32 v47, 0xbfb8aa3b, v46
	v_fma_f32 v54, v46, s38, -v47
	v_rndne_f32_e32 v55, v47
	v_fmac_f32_e32 v54, 0xb2a5705f, v46
	v_sub_f32_e32 v47, v47, v55
	v_add_f32_e32 v47, v47, v54
	v_cvt_i32_f32_e32 v54, v55
	v_exp_f32_e32 v47, v47
	v_cmp_nlt_f32_e32 vcc, s39, v46
	v_ldexp_f32 v47, v47, v54
	s_nop 0
	v_cndmask_b32_e32 v47, 0, v47, vcc
	v_cmp_ngt_f32_e32 vcc, s40, v46
	s_nop 1
	v_cndmask_b32_e32 v46, v100, v47, vcc
	v_sub_f32_e32 v46, 1.0, v46
.LBB400_87:                             ;   in Loop: Header=BB400_9 Depth=1
	s_andn2_saveexec_b64 s[14:15], s[14:15]
; %bb.88:                               ;   in Loop: Header=BB400_9 Depth=1
	v_mul_f32_e32 v46, v45, v45
	v_fmamk_f32 v47, v46, 0xba1345e1, v98
	v_fmaak_f32 v47, v46, v47, 0xbcdac9b8
	v_fmaak_f32 v47, v46, v47, 0x3de703be
	;; [unrolled: 1-line block ×4, first 2 shown]
	v_fma_f32 v46, |v45|, v46, |v45|
; %bb.89:                               ;   in Loop: Header=BB400_9 Depth=1
	s_or_b64 exec, exec, s[14:15]
	v_bfi_b32 v32, s41, v44, v32
	v_mul_f32_e32 v24, 0.5, v24
	v_add_f32_e32 v32, 1.0, v32
	v_mul_f32_e32 v24, v24, v32
	v_and_b32_e32 v32, 0xffff0000, v25
	v_add_f32_e32 v43, v43, v32
	v_lshlrev_b32_e32 v25, 16, v25
	v_bfi_b32 v32, s41, v46, v45
	v_add_f32_e32 v42, v42, v25
	v_mul_f32_e32 v25, 0.5, v33
	v_add_f32_e32 v32, 1.0, v32
	v_mul_f32_e32 v25, v25, v32
	v_lshlrev_b32_e32 v32, 16, v34
	v_add_f32_e32 v32, v36, v32
	v_mul_f32_e32 v33, 0x3f3504f3, v32
	v_cmp_nlt_f32_e64 s[14:15], |v33|, 1.0
	;;#ASMSTART
	v_pk_mul_f32 v[24:25], v[24:25], v[42:43]
	;;#ASMEND
                                        ; implicit-def: $vgpr36
	s_and_saveexec_b64 s[44:45], s[14:15]
	s_xor_b64 s[14:15], exec, s[44:45]
	s_cbranch_execz .LBB400_91
; %bb.90:                               ;   in Loop: Header=BB400_9 Depth=1
	v_fma_f32 v36, |v33|, s31, v99
	v_fma_f32 v36, |v33|, v36, s33
	v_fma_f32 v36, |v33|, v36, s34
	v_fma_f32 v36, |v33|, v36, s35
	v_fma_f32 v36, |v33|, v36, s36
	v_fma_f32 v36, |v33|, v36, s37
	v_fma_f32 v36, |v33|, v36, |v33|
	v_mul_f32_e32 v42, 0xbfb8aa3b, v36
	v_fma_f32 v43, v36, s38, -v42
	v_rndne_f32_e32 v44, v42
	v_fmac_f32_e32 v43, 0xb2a5705f, v36
	v_sub_f32_e32 v42, v42, v44
	v_add_f32_e32 v42, v42, v43
	v_cvt_i32_f32_e32 v43, v44
	v_exp_f32_e32 v42, v42
	v_cmp_nlt_f32_e32 vcc, s39, v36
	v_ldexp_f32 v42, v42, v43
	s_nop 0
	v_cndmask_b32_e32 v42, 0, v42, vcc
	v_cmp_ngt_f32_e32 vcc, s40, v36
	s_nop 1
	v_cndmask_b32_e32 v36, v100, v42, vcc
	v_sub_f32_e32 v36, 1.0, v36
.LBB400_91:                             ;   in Loop: Header=BB400_9 Depth=1
	s_andn2_saveexec_b64 s[14:15], s[14:15]
; %bb.92:                               ;   in Loop: Header=BB400_9 Depth=1
	v_mul_f32_e32 v36, v33, v33
	v_fmamk_f32 v42, v36, 0xba1345e1, v98
	v_fmaak_f32 v42, v36, v42, 0xbcdac9b8
	v_fmaak_f32 v42, v36, v42, 0x3de703be
	;; [unrolled: 1-line block ×4, first 2 shown]
	v_fma_f32 v36, |v33|, v36, |v33|
; %bb.93:                               ;   in Loop: Header=BB400_9 Depth=1
	s_or_b64 exec, exec, s[14:15]
	v_and_b32_e32 v34, 0xffff0000, v34
	v_add_f32_e32 v34, v37, v34
	v_mul_f32_e32 v37, 0x3f3504f3, v34
	v_cmp_nlt_f32_e64 s[14:15], |v37|, 1.0
                                        ; implicit-def: $vgpr42
	s_and_saveexec_b64 s[44:45], s[14:15]
	s_xor_b64 s[14:15], exec, s[44:45]
	s_cbranch_execz .LBB400_95
; %bb.94:                               ;   in Loop: Header=BB400_9 Depth=1
	v_fma_f32 v42, |v37|, s31, v99
	v_fma_f32 v42, |v37|, v42, s33
	;; [unrolled: 1-line block ×6, first 2 shown]
	v_fma_f32 v42, |v37|, v42, |v37|
	v_mul_f32_e32 v43, 0xbfb8aa3b, v42
	v_fma_f32 v44, v42, s38, -v43
	v_rndne_f32_e32 v45, v43
	v_fmac_f32_e32 v44, 0xb2a5705f, v42
	v_sub_f32_e32 v43, v43, v45
	v_add_f32_e32 v43, v43, v44
	v_cvt_i32_f32_e32 v44, v45
	v_exp_f32_e32 v43, v43
	v_cmp_nlt_f32_e32 vcc, s39, v42
	v_ldexp_f32 v43, v43, v44
	s_nop 0
	v_cndmask_b32_e32 v43, 0, v43, vcc
	v_cmp_ngt_f32_e32 vcc, s40, v42
	s_nop 1
	v_cndmask_b32_e32 v42, v100, v43, vcc
	v_sub_f32_e32 v42, 1.0, v42
.LBB400_95:                             ;   in Loop: Header=BB400_9 Depth=1
	s_andn2_saveexec_b64 s[14:15], s[14:15]
; %bb.96:                               ;   in Loop: Header=BB400_9 Depth=1
	v_mul_f32_e32 v42, v37, v37
	v_fmamk_f32 v43, v42, 0xba1345e1, v98
	v_fmaak_f32 v43, v42, v43, 0xbcdac9b8
	v_fmaak_f32 v43, v42, v43, 0x3de703be
	;; [unrolled: 1-line block ×4, first 2 shown]
	v_fma_f32 v42, |v37|, v42, |v37|
; %bb.97:                               ;   in Loop: Header=BB400_9 Depth=1
	s_or_b64 exec, exec, s[14:15]
	v_bfi_b32 v33, s41, v36, v33
	v_mul_f32_e32 v32, 0.5, v32
	v_add_f32_e32 v33, 1.0, v33
	v_mul_f32_e32 v32, v32, v33
	v_and_b32_e32 v33, 0xffff0000, v26
	s_waitcnt vmcnt(2)
	v_add_f32_e32 v29, v29, v33
	v_lshlrev_b32_e32 v26, 16, v26
	v_bfi_b32 v33, s41, v42, v37
	v_add_f32_e32 v28, v28, v26
	v_mul_f32_e32 v26, 0.5, v34
	v_add_f32_e32 v33, 1.0, v33
	v_mul_f32_e32 v33, v26, v33
	v_lshlrev_b32_e32 v26, 16, v35
	v_add_f32_e32 v26, v38, v26
	;;#ASMSTART
	v_pk_mul_f32 v[28:29], v[32:33], v[28:29]
	;;#ASMEND
	v_mul_f32_e32 v32, 0x3f3504f3, v26
	v_cmp_nlt_f32_e64 s[14:15], |v32|, 1.0
                                        ; implicit-def: $vgpr33
	s_and_saveexec_b64 s[44:45], s[14:15]
	s_xor_b64 s[14:15], exec, s[44:45]
	s_cbranch_execz .LBB400_99
; %bb.98:                               ;   in Loop: Header=BB400_9 Depth=1
	v_fma_f32 v33, |v32|, s31, v99
	v_fma_f32 v33, |v32|, v33, s33
	;; [unrolled: 1-line block ×6, first 2 shown]
	v_fma_f32 v33, |v32|, v33, |v32|
	v_mul_f32_e32 v34, 0xbfb8aa3b, v33
	v_fma_f32 v36, v33, s38, -v34
	v_rndne_f32_e32 v37, v34
	v_fmac_f32_e32 v36, 0xb2a5705f, v33
	v_sub_f32_e32 v34, v34, v37
	v_add_f32_e32 v34, v34, v36
	v_cvt_i32_f32_e32 v36, v37
	v_exp_f32_e32 v34, v34
	v_cmp_nlt_f32_e32 vcc, s39, v33
	v_ldexp_f32 v34, v34, v36
	s_nop 0
	v_cndmask_b32_e32 v34, 0, v34, vcc
	v_cmp_ngt_f32_e32 vcc, s40, v33
	s_nop 1
	v_cndmask_b32_e32 v33, v100, v34, vcc
	v_sub_f32_e32 v33, 1.0, v33
.LBB400_99:                             ;   in Loop: Header=BB400_9 Depth=1
	s_andn2_saveexec_b64 s[14:15], s[14:15]
; %bb.100:                              ;   in Loop: Header=BB400_9 Depth=1
	v_mul_f32_e32 v33, v32, v32
	v_fmamk_f32 v34, v33, 0xba1345e1, v98
	v_fmaak_f32 v34, v33, v34, 0xbcdac9b8
	v_fmaak_f32 v34, v33, v34, 0x3de703be
	;; [unrolled: 1-line block ×4, first 2 shown]
	v_fma_f32 v33, |v32|, v33, |v32|
; %bb.101:                              ;   in Loop: Header=BB400_9 Depth=1
	s_or_b64 exec, exec, s[14:15]
	v_and_b32_e32 v34, 0xffff0000, v35
	v_add_f32_e32 v34, v39, v34
	v_mul_f32_e32 v35, 0x3f3504f3, v34
	v_cmp_nlt_f32_e64 s[14:15], |v35|, 1.0
                                        ; implicit-def: $vgpr36
	s_and_saveexec_b64 s[44:45], s[14:15]
	s_xor_b64 s[14:15], exec, s[44:45]
	s_cbranch_execz .LBB400_103
; %bb.102:                              ;   in Loop: Header=BB400_9 Depth=1
	v_fma_f32 v36, |v35|, s31, v99
	v_fma_f32 v36, |v35|, v36, s33
	;; [unrolled: 1-line block ×6, first 2 shown]
	v_fma_f32 v36, |v35|, v36, |v35|
	v_mul_f32_e32 v37, 0xbfb8aa3b, v36
	v_fma_f32 v38, v36, s38, -v37
	v_rndne_f32_e32 v39, v37
	v_fmac_f32_e32 v38, 0xb2a5705f, v36
	v_sub_f32_e32 v37, v37, v39
	v_add_f32_e32 v37, v37, v38
	v_cvt_i32_f32_e32 v38, v39
	v_exp_f32_e32 v37, v37
	v_cmp_nlt_f32_e32 vcc, s39, v36
	v_ldexp_f32 v37, v37, v38
	s_nop 0
	v_cndmask_b32_e32 v37, 0, v37, vcc
	v_cmp_ngt_f32_e32 vcc, s40, v36
	s_nop 1
	v_cndmask_b32_e32 v36, v100, v37, vcc
	v_sub_f32_e32 v36, 1.0, v36
.LBB400_103:                            ;   in Loop: Header=BB400_9 Depth=1
	s_andn2_saveexec_b64 s[14:15], s[14:15]
; %bb.104:                              ;   in Loop: Header=BB400_9 Depth=1
	v_mul_f32_e32 v36, v35, v35
	v_fmamk_f32 v37, v36, 0xba1345e1, v98
	v_fmaak_f32 v37, v36, v37, 0xbcdac9b8
	v_fmaak_f32 v37, v36, v37, 0x3de703be
	v_fmaak_f32 v37, v36, v37, 0xbec09330
	v_fmaak_f32 v36, v36, v37, 0x3e0375d0
	v_fma_f32 v36, |v35|, v36, |v35|
; %bb.105:                              ;   in Loop: Header=BB400_9 Depth=1
	s_or_b64 exec, exec, s[14:15]
	v_bfi_b32 v32, s41, v33, v32
	v_mul_f32_e32 v26, 0.5, v26
	v_add_f32_e32 v32, 1.0, v32
	v_mul_f32_e32 v26, v26, v32
	v_and_b32_e32 v32, 0xffff0000, v27
	v_add_f32_e32 v31, v31, v32
	v_lshlrev_b32_e32 v27, 16, v27
	v_bfi_b32 v32, s41, v36, v35
	v_add_f32_e32 v30, v30, v27
	v_mul_f32_e32 v27, 0.5, v34
	v_add_f32_e32 v32, 1.0, v32
	v_mul_f32_e32 v27, v27, v32
	;;#ASMSTART
	v_pk_mul_f32 v[26:27], v[26:27], v[30:31]
	;;#ASMEND
	v_lshlrev_b32_e32 v30, 16, v8
	v_add_f32_e32 v20, v20, v30
	v_mul_f32_e32 v30, 0x3f3504f3, v20
	v_cmp_nlt_f32_e64 s[14:15], |v30|, 1.0
                                        ; implicit-def: $vgpr31
	s_and_saveexec_b64 s[44:45], s[14:15]
	s_xor_b64 s[14:15], exec, s[44:45]
	s_cbranch_execz .LBB400_107
; %bb.106:                              ;   in Loop: Header=BB400_9 Depth=1
	v_fma_f32 v31, |v30|, s31, v99
	v_fma_f32 v31, |v30|, v31, s33
	;; [unrolled: 1-line block ×6, first 2 shown]
	v_fma_f32 v31, |v30|, v31, |v30|
	v_mul_f32_e32 v32, 0xbfb8aa3b, v31
	v_fma_f32 v33, v31, s38, -v32
	v_rndne_f32_e32 v34, v32
	v_fmac_f32_e32 v33, 0xb2a5705f, v31
	v_sub_f32_e32 v32, v32, v34
	v_add_f32_e32 v32, v32, v33
	v_cvt_i32_f32_e32 v33, v34
	v_exp_f32_e32 v32, v32
	v_cmp_nlt_f32_e32 vcc, s39, v31
	v_ldexp_f32 v32, v32, v33
	s_nop 0
	v_cndmask_b32_e32 v32, 0, v32, vcc
	v_cmp_ngt_f32_e32 vcc, s40, v31
	s_nop 1
	v_cndmask_b32_e32 v31, v100, v32, vcc
	v_sub_f32_e32 v31, 1.0, v31
.LBB400_107:                            ;   in Loop: Header=BB400_9 Depth=1
	s_andn2_saveexec_b64 s[14:15], s[14:15]
; %bb.108:                              ;   in Loop: Header=BB400_9 Depth=1
	v_mul_f32_e32 v31, v30, v30
	v_fmamk_f32 v32, v31, 0xba1345e1, v98
	v_fmaak_f32 v32, v31, v32, 0xbcdac9b8
	v_fmaak_f32 v32, v31, v32, 0x3de703be
	;; [unrolled: 1-line block ×4, first 2 shown]
	v_fma_f32 v31, |v30|, v31, |v30|
; %bb.109:                              ;   in Loop: Header=BB400_9 Depth=1
	s_or_b64 exec, exec, s[14:15]
	v_and_b32_e32 v8, 0xffff0000, v8
	v_add_f32_e32 v8, v21, v8
	v_mul_f32_e32 v21, 0x3f3504f3, v8
	v_cmp_nlt_f32_e64 s[14:15], |v21|, 1.0
                                        ; implicit-def: $vgpr32
	s_and_saveexec_b64 s[44:45], s[14:15]
	s_xor_b64 s[14:15], exec, s[44:45]
	s_cbranch_execz .LBB400_111
; %bb.110:                              ;   in Loop: Header=BB400_9 Depth=1
	v_fma_f32 v32, |v21|, s31, v99
	v_fma_f32 v32, |v21|, v32, s33
	;; [unrolled: 1-line block ×6, first 2 shown]
	v_fma_f32 v32, |v21|, v32, |v21|
	v_mul_f32_e32 v33, 0xbfb8aa3b, v32
	v_fma_f32 v34, v32, s38, -v33
	v_rndne_f32_e32 v35, v33
	v_fmac_f32_e32 v34, 0xb2a5705f, v32
	v_sub_f32_e32 v33, v33, v35
	v_add_f32_e32 v33, v33, v34
	v_cvt_i32_f32_e32 v34, v35
	v_exp_f32_e32 v33, v33
	v_cmp_nlt_f32_e32 vcc, s39, v32
	v_ldexp_f32 v33, v33, v34
	s_nop 0
	v_cndmask_b32_e32 v33, 0, v33, vcc
	v_cmp_ngt_f32_e32 vcc, s40, v32
	s_nop 1
	v_cndmask_b32_e32 v32, v100, v33, vcc
	v_sub_f32_e32 v32, 1.0, v32
.LBB400_111:                            ;   in Loop: Header=BB400_9 Depth=1
	s_andn2_saveexec_b64 s[14:15], s[14:15]
; %bb.112:                              ;   in Loop: Header=BB400_9 Depth=1
	v_mul_f32_e32 v32, v21, v21
	v_fmamk_f32 v33, v32, 0xba1345e1, v98
	v_fmaak_f32 v33, v32, v33, 0xbcdac9b8
	v_fmaak_f32 v33, v32, v33, 0x3de703be
	;; [unrolled: 1-line block ×4, first 2 shown]
	v_fma_f32 v32, |v21|, v32, |v21|
; %bb.113:                              ;   in Loop: Header=BB400_9 Depth=1
	s_or_b64 exec, exec, s[14:15]
	v_bfi_b32 v30, s41, v31, v30
	v_mul_f32_e32 v20, 0.5, v20
	v_add_f32_e32 v30, 1.0, v30
	v_mul_f32_e32 v20, v20, v30
	v_and_b32_e32 v30, 0xffff0000, v0
	v_lshlrev_b32_e32 v0, 16, v0
	s_waitcnt vmcnt(1)
	v_add_f32_e32 v16, v16, v0
	v_mul_f32_e32 v0, 0.5, v8
	v_bfi_b32 v8, s41, v32, v21
	v_add_f32_e32 v8, 1.0, v8
	v_mul_f32_e32 v21, v0, v8
	v_lshlrev_b32_e32 v0, 16, v9
	v_add_f32_e32 v0, v22, v0
	v_mul_f32_e32 v8, 0x3f3504f3, v0
	v_add_f32_e32 v17, v17, v30
	v_cmp_nlt_f32_e64 s[14:15], |v8|, 1.0
	;;#ASMSTART
	v_pk_mul_f32 v[16:17], v[20:21], v[16:17]
	;;#ASMEND
                                        ; implicit-def: $vgpr20
	s_and_saveexec_b64 s[44:45], s[14:15]
	s_xor_b64 s[14:15], exec, s[44:45]
	s_cbranch_execz .LBB400_115
; %bb.114:                              ;   in Loop: Header=BB400_9 Depth=1
	v_fma_f32 v20, |v8|, s31, v99
	v_fma_f32 v20, |v8|, v20, s33
	;; [unrolled: 1-line block ×6, first 2 shown]
	v_fma_f32 v20, |v8|, v20, |v8|
	v_mul_f32_e32 v21, 0xbfb8aa3b, v20
	v_fma_f32 v22, v20, s38, -v21
	v_rndne_f32_e32 v30, v21
	v_fmac_f32_e32 v22, 0xb2a5705f, v20
	v_sub_f32_e32 v21, v21, v30
	v_add_f32_e32 v21, v21, v22
	v_cvt_i32_f32_e32 v22, v30
	v_exp_f32_e32 v21, v21
	v_cmp_nlt_f32_e32 vcc, s39, v20
	v_ldexp_f32 v21, v21, v22
	s_nop 0
	v_cndmask_b32_e32 v21, 0, v21, vcc
	v_cmp_ngt_f32_e32 vcc, s40, v20
	s_nop 1
	v_cndmask_b32_e32 v20, v100, v21, vcc
	v_sub_f32_e32 v20, 1.0, v20
.LBB400_115:                            ;   in Loop: Header=BB400_9 Depth=1
	s_andn2_saveexec_b64 s[14:15], s[14:15]
; %bb.116:                              ;   in Loop: Header=BB400_9 Depth=1
	v_mul_f32_e32 v20, v8, v8
	v_fmamk_f32 v21, v20, 0xba1345e1, v98
	v_fmaak_f32 v21, v20, v21, 0xbcdac9b8
	v_fmaak_f32 v21, v20, v21, 0x3de703be
	;; [unrolled: 1-line block ×4, first 2 shown]
	v_fma_f32 v20, |v8|, v20, |v8|
; %bb.117:                              ;   in Loop: Header=BB400_9 Depth=1
	s_or_b64 exec, exec, s[14:15]
	v_and_b32_e32 v9, 0xffff0000, v9
	v_add_f32_e32 v9, v23, v9
	v_mul_f32_e32 v21, 0x3f3504f3, v9
	v_cmp_nlt_f32_e64 s[14:15], |v21|, 1.0
                                        ; implicit-def: $vgpr22
	s_and_saveexec_b64 s[44:45], s[14:15]
	s_xor_b64 s[14:15], exec, s[44:45]
	s_cbranch_execz .LBB400_119
; %bb.118:                              ;   in Loop: Header=BB400_9 Depth=1
	v_fma_f32 v22, |v21|, s31, v99
	v_fma_f32 v22, |v21|, v22, s33
	;; [unrolled: 1-line block ×6, first 2 shown]
	v_fma_f32 v22, |v21|, v22, |v21|
	v_mul_f32_e32 v23, 0xbfb8aa3b, v22
	v_fma_f32 v30, v22, s38, -v23
	v_rndne_f32_e32 v31, v23
	v_fmac_f32_e32 v30, 0xb2a5705f, v22
	v_sub_f32_e32 v23, v23, v31
	v_add_f32_e32 v23, v23, v30
	v_cvt_i32_f32_e32 v30, v31
	v_exp_f32_e32 v23, v23
	v_cmp_nlt_f32_e32 vcc, s39, v22
	v_ldexp_f32 v23, v23, v30
	s_nop 0
	v_cndmask_b32_e32 v23, 0, v23, vcc
	v_cmp_ngt_f32_e32 vcc, s40, v22
	s_nop 1
	v_cndmask_b32_e32 v22, v100, v23, vcc
	v_sub_f32_e32 v22, 1.0, v22
.LBB400_119:                            ;   in Loop: Header=BB400_9 Depth=1
	s_andn2_saveexec_b64 s[14:15], s[14:15]
; %bb.120:                              ;   in Loop: Header=BB400_9 Depth=1
	v_mul_f32_e32 v22, v21, v21
	v_fmamk_f32 v23, v22, 0xba1345e1, v98
	v_fmaak_f32 v23, v22, v23, 0xbcdac9b8
	v_fmaak_f32 v23, v22, v23, 0x3de703be
	;; [unrolled: 1-line block ×4, first 2 shown]
	v_fma_f32 v22, |v21|, v22, |v21|
; %bb.121:                              ;   in Loop: Header=BB400_9 Depth=1
	s_or_b64 exec, exec, s[14:15]
	v_bfi_b32 v8, s41, v20, v8
	v_mul_f32_e32 v0, 0.5, v0
	v_add_f32_e32 v8, 1.0, v8
	v_mul_f32_e32 v0, v0, v8
	v_and_b32_e32 v8, 0xffff0000, v1
	v_add_f32_e32 v19, v19, v8
	v_lshlrev_b32_e32 v1, 16, v1
	v_bfi_b32 v8, s41, v22, v21
	v_add_f32_e32 v18, v18, v1
	v_mul_f32_e32 v1, 0.5, v9
	v_add_f32_e32 v8, 1.0, v8
	v_mul_f32_e32 v1, v1, v8
	v_lshlrev_b32_e32 v8, 16, v10
	v_add_f32_e32 v8, v12, v8
	v_mul_f32_e32 v9, 0x3f3504f3, v8
	v_cmp_nlt_f32_e64 s[14:15], |v9|, 1.0
	;;#ASMSTART
	v_pk_mul_f32 v[0:1], v[0:1], v[18:19]
	;;#ASMEND
                                        ; implicit-def: $vgpr12
	s_and_saveexec_b64 s[44:45], s[14:15]
	s_xor_b64 s[14:15], exec, s[44:45]
	s_cbranch_execz .LBB400_123
; %bb.122:                              ;   in Loop: Header=BB400_9 Depth=1
	v_fma_f32 v12, |v9|, s31, v99
	v_fma_f32 v12, |v9|, v12, s33
	;; [unrolled: 1-line block ×6, first 2 shown]
	v_fma_f32 v12, |v9|, v12, |v9|
	v_mul_f32_e32 v18, 0xbfb8aa3b, v12
	v_fma_f32 v19, v12, s38, -v18
	v_rndne_f32_e32 v20, v18
	v_fmac_f32_e32 v19, 0xb2a5705f, v12
	v_sub_f32_e32 v18, v18, v20
	v_add_f32_e32 v18, v18, v19
	v_cvt_i32_f32_e32 v19, v20
	v_exp_f32_e32 v18, v18
	v_cmp_nlt_f32_e32 vcc, s39, v12
	v_ldexp_f32 v18, v18, v19
	s_nop 0
	v_cndmask_b32_e32 v18, 0, v18, vcc
	v_cmp_ngt_f32_e32 vcc, s40, v12
	s_nop 1
	v_cndmask_b32_e32 v12, v100, v18, vcc
	v_sub_f32_e32 v12, 1.0, v12
.LBB400_123:                            ;   in Loop: Header=BB400_9 Depth=1
	s_andn2_saveexec_b64 s[14:15], s[14:15]
; %bb.124:                              ;   in Loop: Header=BB400_9 Depth=1
	v_mul_f32_e32 v12, v9, v9
	v_fmamk_f32 v18, v12, 0xba1345e1, v98
	v_fmaak_f32 v18, v12, v18, 0xbcdac9b8
	v_fmaak_f32 v18, v12, v18, 0x3de703be
	;; [unrolled: 1-line block ×4, first 2 shown]
	v_fma_f32 v12, |v9|, v12, |v9|
; %bb.125:                              ;   in Loop: Header=BB400_9 Depth=1
	s_or_b64 exec, exec, s[14:15]
	v_and_b32_e32 v10, 0xffff0000, v10
	v_add_f32_e32 v10, v13, v10
	v_mul_f32_e32 v13, 0x3f3504f3, v10
	v_cmp_nlt_f32_e64 s[14:15], |v13|, 1.0
                                        ; implicit-def: $vgpr18
	s_and_saveexec_b64 s[44:45], s[14:15]
	s_xor_b64 s[14:15], exec, s[44:45]
	s_cbranch_execz .LBB400_127
; %bb.126:                              ;   in Loop: Header=BB400_9 Depth=1
	v_fma_f32 v18, |v13|, s31, v99
	v_fma_f32 v18, |v13|, v18, s33
	;; [unrolled: 1-line block ×6, first 2 shown]
	v_fma_f32 v18, |v13|, v18, |v13|
	v_mul_f32_e32 v19, 0xbfb8aa3b, v18
	v_fma_f32 v20, v18, s38, -v19
	v_rndne_f32_e32 v21, v19
	v_fmac_f32_e32 v20, 0xb2a5705f, v18
	v_sub_f32_e32 v19, v19, v21
	v_add_f32_e32 v19, v19, v20
	v_cvt_i32_f32_e32 v20, v21
	v_exp_f32_e32 v19, v19
	v_cmp_nlt_f32_e32 vcc, s39, v18
	v_ldexp_f32 v19, v19, v20
	s_nop 0
	v_cndmask_b32_e32 v19, 0, v19, vcc
	v_cmp_ngt_f32_e32 vcc, s40, v18
	s_nop 1
	v_cndmask_b32_e32 v18, v100, v19, vcc
	v_sub_f32_e32 v18, 1.0, v18
.LBB400_127:                            ;   in Loop: Header=BB400_9 Depth=1
	s_andn2_saveexec_b64 s[14:15], s[14:15]
; %bb.128:                              ;   in Loop: Header=BB400_9 Depth=1
	v_mul_f32_e32 v18, v13, v13
	v_fmamk_f32 v19, v18, 0xba1345e1, v98
	v_fmaak_f32 v19, v18, v19, 0xbcdac9b8
	v_fmaak_f32 v19, v18, v19, 0x3de703be
	;; [unrolled: 1-line block ×4, first 2 shown]
	v_fma_f32 v18, |v13|, v18, |v13|
; %bb.129:                              ;   in Loop: Header=BB400_9 Depth=1
	s_or_b64 exec, exec, s[14:15]
	v_bfi_b32 v9, s41, v12, v9
	v_mul_f32_e32 v8, 0.5, v8
	v_add_f32_e32 v9, 1.0, v9
	v_mul_f32_e32 v8, v8, v9
	v_and_b32_e32 v9, 0xffff0000, v2
	s_waitcnt vmcnt(0)
	v_add_f32_e32 v5, v5, v9
	v_lshlrev_b32_e32 v2, 16, v2
	v_bfi_b32 v9, s41, v18, v13
	v_add_f32_e32 v4, v4, v2
	v_mul_f32_e32 v2, 0.5, v10
	v_add_f32_e32 v9, 1.0, v9
	v_mul_f32_e32 v9, v2, v9
	v_lshlrev_b32_e32 v2, 16, v11
	v_add_f32_e32 v2, v14, v2
	;;#ASMSTART
	v_pk_mul_f32 v[4:5], v[8:9], v[4:5]
	;;#ASMEND
	v_mul_f32_e32 v8, 0x3f3504f3, v2
	v_cmp_nlt_f32_e64 s[14:15], |v8|, 1.0
                                        ; implicit-def: $vgpr9
	s_and_saveexec_b64 s[44:45], s[14:15]
	s_xor_b64 s[14:15], exec, s[44:45]
	s_cbranch_execz .LBB400_131
; %bb.130:                              ;   in Loop: Header=BB400_9 Depth=1
	v_fma_f32 v9, |v8|, s31, v99
	v_fma_f32 v9, |v8|, v9, s33
	;; [unrolled: 1-line block ×6, first 2 shown]
	v_fma_f32 v9, |v8|, v9, |v8|
	v_mul_f32_e32 v10, 0xbfb8aa3b, v9
	v_fma_f32 v12, v9, s38, -v10
	v_rndne_f32_e32 v13, v10
	v_fmac_f32_e32 v12, 0xb2a5705f, v9
	v_sub_f32_e32 v10, v10, v13
	v_add_f32_e32 v10, v10, v12
	v_cvt_i32_f32_e32 v12, v13
	v_exp_f32_e32 v10, v10
	v_cmp_nlt_f32_e32 vcc, s39, v9
	v_ldexp_f32 v10, v10, v12
	s_nop 0
	v_cndmask_b32_e32 v10, 0, v10, vcc
	v_cmp_ngt_f32_e32 vcc, s40, v9
	s_nop 1
	v_cndmask_b32_e32 v9, v100, v10, vcc
	v_sub_f32_e32 v9, 1.0, v9
.LBB400_131:                            ;   in Loop: Header=BB400_9 Depth=1
	s_andn2_saveexec_b64 s[14:15], s[14:15]
; %bb.132:                              ;   in Loop: Header=BB400_9 Depth=1
	v_mul_f32_e32 v9, v8, v8
	v_fmamk_f32 v10, v9, 0xba1345e1, v98
	v_fmaak_f32 v10, v9, v10, 0xbcdac9b8
	v_fmaak_f32 v10, v9, v10, 0x3de703be
	;; [unrolled: 1-line block ×4, first 2 shown]
	v_fma_f32 v9, |v8|, v9, |v8|
; %bb.133:                              ;   in Loop: Header=BB400_9 Depth=1
	s_or_b64 exec, exec, s[14:15]
	v_and_b32_e32 v10, 0xffff0000, v11
	v_add_f32_e32 v10, v15, v10
	v_mul_f32_e32 v11, 0x3f3504f3, v10
	v_cmp_nlt_f32_e64 s[14:15], |v11|, 1.0
                                        ; implicit-def: $vgpr12
	s_and_saveexec_b64 s[44:45], s[14:15]
	s_xor_b64 s[14:15], exec, s[44:45]
	s_cbranch_execz .LBB400_135
; %bb.134:                              ;   in Loop: Header=BB400_9 Depth=1
	v_fma_f32 v12, |v11|, s31, v99
	v_fma_f32 v12, |v11|, v12, s33
	v_fma_f32 v12, |v11|, v12, s34
	v_fma_f32 v12, |v11|, v12, s35
	v_fma_f32 v12, |v11|, v12, s36
	v_fma_f32 v12, |v11|, v12, s37
	v_fma_f32 v12, |v11|, v12, |v11|
	v_mul_f32_e32 v13, 0xbfb8aa3b, v12
	v_fma_f32 v14, v12, s38, -v13
	v_rndne_f32_e32 v15, v13
	v_fmac_f32_e32 v14, 0xb2a5705f, v12
	v_sub_f32_e32 v13, v13, v15
	v_add_f32_e32 v13, v13, v14
	v_cvt_i32_f32_e32 v14, v15
	v_exp_f32_e32 v13, v13
	v_cmp_nlt_f32_e32 vcc, s39, v12
	v_ldexp_f32 v13, v13, v14
	s_nop 0
	v_cndmask_b32_e32 v13, 0, v13, vcc
	v_cmp_ngt_f32_e32 vcc, s40, v12
	s_nop 1
	v_cndmask_b32_e32 v12, v100, v13, vcc
	v_sub_f32_e32 v12, 1.0, v12
.LBB400_135:                            ;   in Loop: Header=BB400_9 Depth=1
	s_andn2_saveexec_b64 s[14:15], s[14:15]
	s_cbranch_execz .LBB400_8
; %bb.136:                              ;   in Loop: Header=BB400_9 Depth=1
	v_mul_f32_e32 v12, v11, v11
	v_fmamk_f32 v13, v12, 0xba1345e1, v98
	v_fmaak_f32 v13, v12, v13, 0xbcdac9b8
	v_fmaak_f32 v13, v12, v13, 0x3de703be
	v_fmaak_f32 v13, v12, v13, 0xbec09330
	v_fmaak_f32 v12, v12, v13, 0x3e0375d0
	v_fma_f32 v12, |v11|, v12, |v11|
	s_branch .LBB400_8
.LBB400_137:
	s_endpgm
	.section	.rodata,"a",@progbits
	.p2align	6, 0x0
	.amdhsa_kernel _ZN5aiter23act_and_mul_bias_kernelIttafTnPFfRKT2_EXadL_ZNS_11gelu_kernelIfEEfRKT_EELi32EEEvPT0_PS8_PKT1_PS2_il
		.amdhsa_group_segment_fixed_size 0
		.amdhsa_private_segment_fixed_size 0
		.amdhsa_kernarg_size 304
		.amdhsa_user_sgpr_count 2
		.amdhsa_user_sgpr_dispatch_ptr 0
		.amdhsa_user_sgpr_queue_ptr 0
		.amdhsa_user_sgpr_kernarg_segment_ptr 1
		.amdhsa_user_sgpr_dispatch_id 0
		.amdhsa_user_sgpr_kernarg_preload_length 0
		.amdhsa_user_sgpr_kernarg_preload_offset 0
		.amdhsa_user_sgpr_private_segment_size 0
		.amdhsa_uses_dynamic_stack 0
		.amdhsa_enable_private_segment 0
		.amdhsa_system_sgpr_workgroup_id_x 1
		.amdhsa_system_sgpr_workgroup_id_y 0
		.amdhsa_system_sgpr_workgroup_id_z 0
		.amdhsa_system_sgpr_workgroup_info 0
		.amdhsa_system_vgpr_workitem_id 0
		.amdhsa_next_free_vgpr 108
		.amdhsa_next_free_sgpr 46
		.amdhsa_accum_offset 108
		.amdhsa_reserve_vcc 1
		.amdhsa_float_round_mode_32 0
		.amdhsa_float_round_mode_16_64 0
		.amdhsa_float_denorm_mode_32 3
		.amdhsa_float_denorm_mode_16_64 3
		.amdhsa_dx10_clamp 1
		.amdhsa_ieee_mode 1
		.amdhsa_fp16_overflow 0
		.amdhsa_tg_split 0
		.amdhsa_exception_fp_ieee_invalid_op 0
		.amdhsa_exception_fp_denorm_src 0
		.amdhsa_exception_fp_ieee_div_zero 0
		.amdhsa_exception_fp_ieee_overflow 0
		.amdhsa_exception_fp_ieee_underflow 0
		.amdhsa_exception_fp_ieee_inexact 0
		.amdhsa_exception_int_div_zero 0
	.end_amdhsa_kernel
	.section	.text._ZN5aiter23act_and_mul_bias_kernelIttafTnPFfRKT2_EXadL_ZNS_11gelu_kernelIfEEfRKT_EELi32EEEvPT0_PS8_PKT1_PS2_il,"axG",@progbits,_ZN5aiter23act_and_mul_bias_kernelIttafTnPFfRKT2_EXadL_ZNS_11gelu_kernelIfEEfRKT_EELi32EEEvPT0_PS8_PKT1_PS2_il,comdat
.Lfunc_end400:
	.size	_ZN5aiter23act_and_mul_bias_kernelIttafTnPFfRKT2_EXadL_ZNS_11gelu_kernelIfEEfRKT_EELi32EEEvPT0_PS8_PKT1_PS2_il, .Lfunc_end400-_ZN5aiter23act_and_mul_bias_kernelIttafTnPFfRKT2_EXadL_ZNS_11gelu_kernelIfEEfRKT_EELi32EEEvPT0_PS8_PKT1_PS2_il
                                        ; -- End function
	.section	.AMDGPU.csdata,"",@progbits
; Kernel info:
; codeLenInByte = 9708
; NumSgprs: 52
; NumVgprs: 108
; NumAgprs: 0
; TotalNumVgprs: 108
; ScratchSize: 0
; MemoryBound: 0
; FloatMode: 240
; IeeeMode: 1
; LDSByteSize: 0 bytes/workgroup (compile time only)
; SGPRBlocks: 6
; VGPRBlocks: 13
; NumSGPRsForWavesPerEU: 52
; NumVGPRsForWavesPerEU: 108
; AccumOffset: 108
; Occupancy: 4
; WaveLimiterHint : 0
; COMPUTE_PGM_RSRC2:SCRATCH_EN: 0
; COMPUTE_PGM_RSRC2:USER_SGPR: 2
; COMPUTE_PGM_RSRC2:TRAP_HANDLER: 0
; COMPUTE_PGM_RSRC2:TGID_X_EN: 1
; COMPUTE_PGM_RSRC2:TGID_Y_EN: 0
; COMPUTE_PGM_RSRC2:TGID_Z_EN: 0
; COMPUTE_PGM_RSRC2:TIDIG_COMP_CNT: 0
; COMPUTE_PGM_RSRC3_GFX90A:ACCUM_OFFSET: 26
; COMPUTE_PGM_RSRC3_GFX90A:TG_SPLIT: 0
	.section	.text._ZN5aiter23act_and_mul_bias_kernelIttafTnPFfRKT2_EXadL_ZNS_11gelu_kernelIfEEfRKT_EELi16EEEvPT0_PS8_PKT1_PS2_il,"axG",@progbits,_ZN5aiter23act_and_mul_bias_kernelIttafTnPFfRKT2_EXadL_ZNS_11gelu_kernelIfEEfRKT_EELi16EEEvPT0_PS8_PKT1_PS2_il,comdat
	.protected	_ZN5aiter23act_and_mul_bias_kernelIttafTnPFfRKT2_EXadL_ZNS_11gelu_kernelIfEEfRKT_EELi16EEEvPT0_PS8_PKT1_PS2_il ; -- Begin function _ZN5aiter23act_and_mul_bias_kernelIttafTnPFfRKT2_EXadL_ZNS_11gelu_kernelIfEEfRKT_EELi16EEEvPT0_PS8_PKT1_PS2_il
	.globl	_ZN5aiter23act_and_mul_bias_kernelIttafTnPFfRKT2_EXadL_ZNS_11gelu_kernelIfEEfRKT_EELi16EEEvPT0_PS8_PKT1_PS2_il
	.p2align	8
	.type	_ZN5aiter23act_and_mul_bias_kernelIttafTnPFfRKT2_EXadL_ZNS_11gelu_kernelIfEEfRKT_EELi16EEEvPT0_PS8_PKT1_PS2_il,@function
_ZN5aiter23act_and_mul_bias_kernelIttafTnPFfRKT2_EXadL_ZNS_11gelu_kernelIfEEfRKT_EELi16EEEvPT0_PS8_PKT1_PS2_il: ; @_ZN5aiter23act_and_mul_bias_kernelIttafTnPFfRKT2_EXadL_ZNS_11gelu_kernelIfEEfRKT_EELi16EEEvPT0_PS8_PKT1_PS2_il
; %bb.0:
	s_load_dwordx2 s[4:5], s[0:1], 0x10
	s_load_dword s24, s[0:1], 0x20
	s_load_dwordx2 s[6:7], s[0:1], 0x28
	v_mov_b32_e32 v1, s2
	s_mov_b32 s9, 0
	s_waitcnt lgkmcnt(0)
	global_load_ubyte v1, v1, s[4:5]
	s_add_i32 s3, s24, 1
	v_mov_b64_e32 v[2:3], s[6:7]
	s_lshr_b32 s6, s3, 31
	s_add_i32 s3, s3, s6
	s_load_dwordx2 s[4:5], s[0:1], 0x0
	s_lshl_b32 s3, s3, 1
	s_ashr_i32 s25, s24, 31
	s_and_b32 s6, s3, -4
	s_mul_hi_u32 s8, s24, s2
	s_mul_i32 s7, s25, s2
	s_mul_i32 s12, s24, s2
	s_add_i32 s13, s8, s7
	s_lshl_b64 s[12:13], s[12:13], 1
	s_mov_b64 s[10:11], -1
	v_lshlrev_b32_e32 v48, 4, v0
	s_waitcnt vmcnt(0)
	v_readfirstlane_b32 s3, v1
	s_nop 1
	v_mov_b32_e32 v4, s3
	s_sext_i32_i8 s3, s3
	v_readfirstlane_b32 s8, v4
	s_bfe_i64 s[8:9], s[8:9], 0x80000
	s_waitcnt lgkmcnt(0)
	s_add_u32 s4, s4, s12
	s_addc_u32 s5, s5, s13
	s_and_b32 s5, s5, 0xffff
	s_cmp_gt_i32 s3, -1
	v_cmp_lt_i64_e32 vcc, s[8:9], v[2:3]
	s_cselect_b64 s[12:13], -1, 0
	s_and_b64 s[12:13], s[12:13], vcc
	s_and_b64 vcc, exec, s[12:13]
	s_cbranch_vccnz .LBB401_5
; %bb.1:
	v_cmp_gt_i32_e32 vcc, s24, v48
	s_and_saveexec_b64 s[10:11], vcc
	s_cbranch_execz .LBB401_4
; %bb.2:
	s_load_dword s3, s[0:1], 0x3c
	s_mov_b32 s13, 0
	s_mov_b32 s16, s13
	;; [unrolled: 1-line block ×3, first 2 shown]
	v_mov_b32_e32 v49, 0
	v_lshlrev_b32_e32 v6, 5, v0
	s_waitcnt lgkmcnt(0)
	s_and_b32 s3, s3, 0xffff
	s_mov_b32 s18, s13
	s_mov_b32 s19, s13
	v_mov_b64_e32 v[0:1], s[16:17]
	s_lshl_b32 s12, s3, 4
	s_lshl_b32 s3, s3, 5
	s_mov_b64 s[14:15], 0
	s_mov_b32 s7, 0x20000
	v_mov_b64_e32 v[2:3], s[18:19]
	v_mov_b64_e32 v[4:5], v[48:49]
.LBB401_3:                              ; =>This Inner Loop Header: Depth=1
	v_lshl_add_u64 v[4:5], s[12:13], 0, v[4:5]
	v_cmp_le_i64_e32 vcc, s[24:25], v[4:5]
	buffer_store_dwordx4 v[0:3], v6, s[4:7], 0 offen
	buffer_store_dwordx4 v[0:3], v6, s[4:7], 16 offen
	s_or_b64 s[14:15], vcc, s[14:15]
	v_add_u32_e32 v6, s3, v6
	s_andn2_b64 exec, exec, s[14:15]
	s_cbranch_execnz .LBB401_3
.LBB401_4:
	s_or_b64 exec, exec, s[10:11]
	s_mov_b64 s[10:11], 0
.LBB401_5:
	s_andn2_b64 vcc, exec, s[10:11]
	s_cbranch_vccnz .LBB401_73
; %bb.6:
	v_cmp_gt_i32_e32 vcc, s24, v48
	s_and_saveexec_b64 s[10:11], vcc
	s_cbranch_execz .LBB401_73
; %bb.7:
	s_load_dwordx2 s[14:15], s[0:1], 0x8
	s_load_dwordx2 s[10:11], s[0:1], 0x18
	s_mul_hi_i32 s9, s24, s8
	s_mul_i32 s8, s24, s8
	s_lshl_b64 s[8:9], s[8:9], 3
	s_mul_i32 s16, s2, s25
	s_waitcnt lgkmcnt(0)
	s_add_u32 s8, s10, s8
	s_addc_u32 s7, s11, s9
	s_lshl_b64 s[10:11], s[24:25], 2
	s_add_u32 s12, s8, s10
	s_mul_hi_u32 s17, s2, s24
	s_addc_u32 s13, s7, s11
	s_add_i32 s17, s17, s16
	s_mul_i32 s16, s2, s24
	s_lshl_b32 s10, s24, 2
	s_and_b32 s9, s7, 0xffff
	s_and_b32 s13, s13, 0xffff
	s_lshl_b64 s[16:17], s[16:17], 2
	s_add_u32 s16, s14, s16
	s_addc_u32 s2, s15, s17
	s_lshl_b64 s[14:15], s[24:25], 1
	s_add_u32 s20, s16, s14
	s_addc_u32 s14, s2, s15
	s_and_b32 s17, s2, 0xffff
	s_and_b32 s21, s14, 0xffff
	s_mov_b32 s7, 0x20000
	s_add_u32 s0, s0, 48
	s_mov_b32 s3, 0
	s_mov_b32 s11, s7
	s_mov_b64 s[22:23], s[6:7]
	v_mov_b32_e32 v49, 0
	s_addc_u32 s1, s1, 0
	s_mov_b64 s[26:27], 0
	s_mov_b32 s18, s6
	s_mov_b32 s19, s7
	;; [unrolled: 1-line block ×11, first 2 shown]
	v_mov_b32_e32 v50, 0x3ba10414
	s_brev_b32 s38, -2
	s_mov_b32 s39, 0x7060302
	v_mov_b32_e32 v51, 0xb9c68948
	v_mov_b32_e32 v52, 0x7f800000
                                        ; implicit-def: $vgpr0
                                        ; implicit-def: $vgpr0
	;; [unrolled: 1-line block ×4, first 2 shown]
	s_branch .LBB401_9
.LBB401_8:                              ;   in Loop: Header=BB401_9 Depth=1
	s_or_b64 exec, exec, s[14:15]
	v_bfi_b32 v8, s38, v9, v8
	v_mul_f32_e32 v2, 0.5, v2
	v_add_f32_e32 v8, 1.0, v8
	v_mul_f32_e32 v2, v2, v8
	v_and_b32_e32 v8, 0xffff0000, v3
	v_add_f32_e32 v7, v7, v8
	v_lshlrev_b32_e32 v3, 16, v3
	v_bfi_b32 v8, s38, v12, v11
	v_add_f32_e32 v6, v6, v3
	v_mul_f32_e32 v3, 0.5, v10
	v_add_f32_e32 v8, 1.0, v8
	v_mul_f32_e32 v3, v3, v8
	;;#ASMSTART
	v_pk_mul_f32 v[2:3], v[2:3], v[6:7]
	;;#ASMEND
	s_load_dword s2, s[0:1], 0xc
	v_perm_b32 v9, v27, v26, s39
	v_perm_b32 v8, v29, v28, s39
	;; [unrolled: 1-line block ×4, first 2 shown]
	s_waitcnt lgkmcnt(0)
	s_and_b32 s2, s2, 0xffff
	s_lshl_b32 s2, s2, 4
	v_lshl_add_u64 v[48:49], s[2:3], 0, v[48:49]
	v_cmp_le_i64_e32 vcc, s[24:25], v[48:49]
	v_perm_b32 v3, v3, v2, s39
	v_perm_b32 v2, v5, v4, s39
	;; [unrolled: 1-line block ×4, first 2 shown]
	s_or_b64 s[26:27], vcc, s[26:27]
	buffer_store_dwordx4 v[6:9], v53, s[4:7], 0 offen
	buffer_store_dwordx4 v[0:3], v53, s[4:7], 16 offen
	s_andn2_b64 exec, exec, s[26:27]
	s_cbranch_execz .LBB401_73
.LBB401_9:                              ; =>This Inner Loop Header: Depth=1
	v_lshlrev_b32_e32 v53, 1, v48
	v_lshlrev_b32_e32 v54, 2, v48
	s_mov_b32 s14, s10
	s_mov_b32 s15, s11
	buffer_load_dwordx4 v[32:35], v53, s[16:19], 0 offen
	buffer_load_dwordx4 v[8:11], v53, s[16:19], 16 offen
	;; [unrolled: 1-line block ×12, first 2 shown]
                                        ; implicit-def: $vgpr55
	s_waitcnt vmcnt(11)
	v_lshlrev_b32_e32 v54, 16, v32
	s_waitcnt vmcnt(7)
	v_add_f32_e32 v44, v44, v54
	v_mul_f32_e32 v54, 0x3f3504f3, v44
	v_cmp_nlt_f32_e64 s[14:15], |v54|, 1.0
	s_and_saveexec_b64 s[40:41], s[14:15]
	s_xor_b64 s[14:15], exec, s[40:41]
	s_cbranch_execz .LBB401_11
; %bb.10:                               ;   in Loop: Header=BB401_9 Depth=1
	v_fma_f32 v55, |v54|, s28, v51
	v_fma_f32 v55, |v54|, v55, s29
	;; [unrolled: 1-line block ×6, first 2 shown]
	v_fma_f32 v55, |v54|, v55, |v54|
	v_mul_f32_e32 v56, 0xbfb8aa3b, v55
	v_fma_f32 v57, v55, s35, -v56
	v_rndne_f32_e32 v58, v56
	v_fmac_f32_e32 v57, 0xb2a5705f, v55
	v_sub_f32_e32 v56, v56, v58
	v_add_f32_e32 v56, v56, v57
	v_cvt_i32_f32_e32 v57, v58
	v_exp_f32_e32 v56, v56
	v_cmp_nlt_f32_e32 vcc, s36, v55
	v_ldexp_f32 v56, v56, v57
	s_nop 0
	v_cndmask_b32_e32 v56, 0, v56, vcc
	v_cmp_ngt_f32_e32 vcc, s37, v55
	s_nop 1
	v_cndmask_b32_e32 v55, v52, v56, vcc
	v_sub_f32_e32 v55, 1.0, v55
.LBB401_11:                             ;   in Loop: Header=BB401_9 Depth=1
	s_andn2_saveexec_b64 s[14:15], s[14:15]
; %bb.12:                               ;   in Loop: Header=BB401_9 Depth=1
	v_mul_f32_e32 v55, v54, v54
	v_fmamk_f32 v56, v55, 0xba1345e1, v50
	v_fmaak_f32 v56, v55, v56, 0xbcdac9b8
	v_fmaak_f32 v56, v55, v56, 0x3de703be
	;; [unrolled: 1-line block ×4, first 2 shown]
	v_fma_f32 v55, |v54|, v55, |v54|
; %bb.13:                               ;   in Loop: Header=BB401_9 Depth=1
	s_or_b64 exec, exec, s[14:15]
	v_and_b32_e32 v32, 0xffff0000, v32
	v_add_f32_e32 v32, v45, v32
	v_mul_f32_e32 v45, 0x3f3504f3, v32
	v_cmp_nlt_f32_e64 s[14:15], |v45|, 1.0
                                        ; implicit-def: $vgpr56
	s_and_saveexec_b64 s[40:41], s[14:15]
	s_xor_b64 s[14:15], exec, s[40:41]
	s_cbranch_execz .LBB401_15
; %bb.14:                               ;   in Loop: Header=BB401_9 Depth=1
	v_fma_f32 v56, |v45|, s28, v51
	v_fma_f32 v56, |v45|, v56, s29
	;; [unrolled: 1-line block ×6, first 2 shown]
	v_fma_f32 v56, |v45|, v56, |v45|
	v_mul_f32_e32 v57, 0xbfb8aa3b, v56
	v_fma_f32 v58, v56, s35, -v57
	v_rndne_f32_e32 v59, v57
	v_fmac_f32_e32 v58, 0xb2a5705f, v56
	v_sub_f32_e32 v57, v57, v59
	v_add_f32_e32 v57, v57, v58
	v_cvt_i32_f32_e32 v58, v59
	v_exp_f32_e32 v57, v57
	v_cmp_nlt_f32_e32 vcc, s36, v56
	v_ldexp_f32 v57, v57, v58
	s_nop 0
	v_cndmask_b32_e32 v57, 0, v57, vcc
	v_cmp_ngt_f32_e32 vcc, s37, v56
	s_nop 1
	v_cndmask_b32_e32 v56, v52, v57, vcc
	v_sub_f32_e32 v56, 1.0, v56
.LBB401_15:                             ;   in Loop: Header=BB401_9 Depth=1
	s_andn2_saveexec_b64 s[14:15], s[14:15]
; %bb.16:                               ;   in Loop: Header=BB401_9 Depth=1
	v_mul_f32_e32 v56, v45, v45
	v_fmamk_f32 v57, v56, 0xba1345e1, v50
	v_fmaak_f32 v57, v56, v57, 0xbcdac9b8
	v_fmaak_f32 v57, v56, v57, 0x3de703be
	;; [unrolled: 1-line block ×4, first 2 shown]
	v_fma_f32 v56, |v45|, v56, |v45|
; %bb.17:                               ;   in Loop: Header=BB401_9 Depth=1
	s_or_b64 exec, exec, s[14:15]
	v_bfi_b32 v54, s38, v55, v54
	v_mul_f32_e32 v44, 0.5, v44
	v_add_f32_e32 v54, 1.0, v54
	v_mul_f32_e32 v44, v44, v54
	v_and_b32_e32 v54, 0xffff0000, v24
	v_lshlrev_b32_e32 v24, 16, v24
	s_waitcnt vmcnt(3)
	v_add_f32_e32 v40, v40, v24
	v_mul_f32_e32 v24, 0.5, v32
	v_bfi_b32 v32, s38, v56, v45
	v_add_f32_e32 v32, 1.0, v32
	v_mul_f32_e32 v45, v24, v32
	v_lshlrev_b32_e32 v24, 16, v33
	v_add_f32_e32 v24, v46, v24
	v_mul_f32_e32 v32, 0x3f3504f3, v24
	v_add_f32_e32 v41, v41, v54
	v_cmp_nlt_f32_e64 s[14:15], |v32|, 1.0
	;;#ASMSTART
	v_pk_mul_f32 v[40:41], v[44:45], v[40:41]
	;;#ASMEND
                                        ; implicit-def: $vgpr44
	s_and_saveexec_b64 s[40:41], s[14:15]
	s_xor_b64 s[14:15], exec, s[40:41]
	s_cbranch_execz .LBB401_19
; %bb.18:                               ;   in Loop: Header=BB401_9 Depth=1
	v_fma_f32 v44, |v32|, s28, v51
	v_fma_f32 v44, |v32|, v44, s29
	;; [unrolled: 1-line block ×6, first 2 shown]
	v_fma_f32 v44, |v32|, v44, |v32|
	v_mul_f32_e32 v45, 0xbfb8aa3b, v44
	v_fma_f32 v46, v44, s35, -v45
	v_rndne_f32_e32 v54, v45
	v_fmac_f32_e32 v46, 0xb2a5705f, v44
	v_sub_f32_e32 v45, v45, v54
	v_add_f32_e32 v45, v45, v46
	v_cvt_i32_f32_e32 v46, v54
	v_exp_f32_e32 v45, v45
	v_cmp_nlt_f32_e32 vcc, s36, v44
	v_ldexp_f32 v45, v45, v46
	s_nop 0
	v_cndmask_b32_e32 v45, 0, v45, vcc
	v_cmp_ngt_f32_e32 vcc, s37, v44
	s_nop 1
	v_cndmask_b32_e32 v44, v52, v45, vcc
	v_sub_f32_e32 v44, 1.0, v44
.LBB401_19:                             ;   in Loop: Header=BB401_9 Depth=1
	s_andn2_saveexec_b64 s[14:15], s[14:15]
; %bb.20:                               ;   in Loop: Header=BB401_9 Depth=1
	v_mul_f32_e32 v44, v32, v32
	v_fmamk_f32 v45, v44, 0xba1345e1, v50
	v_fmaak_f32 v45, v44, v45, 0xbcdac9b8
	v_fmaak_f32 v45, v44, v45, 0x3de703be
	;; [unrolled: 1-line block ×4, first 2 shown]
	v_fma_f32 v44, |v32|, v44, |v32|
; %bb.21:                               ;   in Loop: Header=BB401_9 Depth=1
	s_or_b64 exec, exec, s[14:15]
	v_and_b32_e32 v33, 0xffff0000, v33
	v_add_f32_e32 v33, v47, v33
	v_mul_f32_e32 v45, 0x3f3504f3, v33
	v_cmp_nlt_f32_e64 s[14:15], |v45|, 1.0
                                        ; implicit-def: $vgpr46
	s_and_saveexec_b64 s[40:41], s[14:15]
	s_xor_b64 s[14:15], exec, s[40:41]
	s_cbranch_execz .LBB401_23
; %bb.22:                               ;   in Loop: Header=BB401_9 Depth=1
	v_fma_f32 v46, |v45|, s28, v51
	v_fma_f32 v46, |v45|, v46, s29
	;; [unrolled: 1-line block ×6, first 2 shown]
	v_fma_f32 v46, |v45|, v46, |v45|
	v_mul_f32_e32 v47, 0xbfb8aa3b, v46
	v_fma_f32 v54, v46, s35, -v47
	v_rndne_f32_e32 v55, v47
	v_fmac_f32_e32 v54, 0xb2a5705f, v46
	v_sub_f32_e32 v47, v47, v55
	v_add_f32_e32 v47, v47, v54
	v_cvt_i32_f32_e32 v54, v55
	v_exp_f32_e32 v47, v47
	v_cmp_nlt_f32_e32 vcc, s36, v46
	v_ldexp_f32 v47, v47, v54
	s_nop 0
	v_cndmask_b32_e32 v47, 0, v47, vcc
	v_cmp_ngt_f32_e32 vcc, s37, v46
	s_nop 1
	v_cndmask_b32_e32 v46, v52, v47, vcc
	v_sub_f32_e32 v46, 1.0, v46
.LBB401_23:                             ;   in Loop: Header=BB401_9 Depth=1
	s_andn2_saveexec_b64 s[14:15], s[14:15]
; %bb.24:                               ;   in Loop: Header=BB401_9 Depth=1
	v_mul_f32_e32 v46, v45, v45
	v_fmamk_f32 v47, v46, 0xba1345e1, v50
	v_fmaak_f32 v47, v46, v47, 0xbcdac9b8
	v_fmaak_f32 v47, v46, v47, 0x3de703be
	;; [unrolled: 1-line block ×4, first 2 shown]
	v_fma_f32 v46, |v45|, v46, |v45|
; %bb.25:                               ;   in Loop: Header=BB401_9 Depth=1
	s_or_b64 exec, exec, s[14:15]
	v_bfi_b32 v32, s38, v44, v32
	v_mul_f32_e32 v24, 0.5, v24
	v_add_f32_e32 v32, 1.0, v32
	v_mul_f32_e32 v24, v24, v32
	v_and_b32_e32 v32, 0xffff0000, v25
	v_add_f32_e32 v43, v43, v32
	v_lshlrev_b32_e32 v25, 16, v25
	v_bfi_b32 v32, s38, v46, v45
	v_add_f32_e32 v42, v42, v25
	v_mul_f32_e32 v25, 0.5, v33
	v_add_f32_e32 v32, 1.0, v32
	v_mul_f32_e32 v25, v25, v32
	v_lshlrev_b32_e32 v32, 16, v34
	v_add_f32_e32 v32, v36, v32
	v_mul_f32_e32 v33, 0x3f3504f3, v32
	v_cmp_nlt_f32_e64 s[14:15], |v33|, 1.0
	;;#ASMSTART
	v_pk_mul_f32 v[24:25], v[24:25], v[42:43]
	;;#ASMEND
                                        ; implicit-def: $vgpr36
	s_and_saveexec_b64 s[40:41], s[14:15]
	s_xor_b64 s[14:15], exec, s[40:41]
	s_cbranch_execz .LBB401_27
; %bb.26:                               ;   in Loop: Header=BB401_9 Depth=1
	v_fma_f32 v36, |v33|, s28, v51
	v_fma_f32 v36, |v33|, v36, s29
	;; [unrolled: 1-line block ×6, first 2 shown]
	v_fma_f32 v36, |v33|, v36, |v33|
	v_mul_f32_e32 v42, 0xbfb8aa3b, v36
	v_fma_f32 v43, v36, s35, -v42
	v_rndne_f32_e32 v44, v42
	v_fmac_f32_e32 v43, 0xb2a5705f, v36
	v_sub_f32_e32 v42, v42, v44
	v_add_f32_e32 v42, v42, v43
	v_cvt_i32_f32_e32 v43, v44
	v_exp_f32_e32 v42, v42
	v_cmp_nlt_f32_e32 vcc, s36, v36
	v_ldexp_f32 v42, v42, v43
	s_nop 0
	v_cndmask_b32_e32 v42, 0, v42, vcc
	v_cmp_ngt_f32_e32 vcc, s37, v36
	s_nop 1
	v_cndmask_b32_e32 v36, v52, v42, vcc
	v_sub_f32_e32 v36, 1.0, v36
.LBB401_27:                             ;   in Loop: Header=BB401_9 Depth=1
	s_andn2_saveexec_b64 s[14:15], s[14:15]
; %bb.28:                               ;   in Loop: Header=BB401_9 Depth=1
	v_mul_f32_e32 v36, v33, v33
	v_fmamk_f32 v42, v36, 0xba1345e1, v50
	v_fmaak_f32 v42, v36, v42, 0xbcdac9b8
	v_fmaak_f32 v42, v36, v42, 0x3de703be
	;; [unrolled: 1-line block ×4, first 2 shown]
	v_fma_f32 v36, |v33|, v36, |v33|
; %bb.29:                               ;   in Loop: Header=BB401_9 Depth=1
	s_or_b64 exec, exec, s[14:15]
	v_and_b32_e32 v34, 0xffff0000, v34
	v_add_f32_e32 v34, v37, v34
	v_mul_f32_e32 v37, 0x3f3504f3, v34
	v_cmp_nlt_f32_e64 s[14:15], |v37|, 1.0
                                        ; implicit-def: $vgpr42
	s_and_saveexec_b64 s[40:41], s[14:15]
	s_xor_b64 s[14:15], exec, s[40:41]
	s_cbranch_execz .LBB401_31
; %bb.30:                               ;   in Loop: Header=BB401_9 Depth=1
	v_fma_f32 v42, |v37|, s28, v51
	v_fma_f32 v42, |v37|, v42, s29
	;; [unrolled: 1-line block ×6, first 2 shown]
	v_fma_f32 v42, |v37|, v42, |v37|
	v_mul_f32_e32 v43, 0xbfb8aa3b, v42
	v_fma_f32 v44, v42, s35, -v43
	v_rndne_f32_e32 v45, v43
	v_fmac_f32_e32 v44, 0xb2a5705f, v42
	v_sub_f32_e32 v43, v43, v45
	v_add_f32_e32 v43, v43, v44
	v_cvt_i32_f32_e32 v44, v45
	v_exp_f32_e32 v43, v43
	v_cmp_nlt_f32_e32 vcc, s36, v42
	v_ldexp_f32 v43, v43, v44
	s_nop 0
	v_cndmask_b32_e32 v43, 0, v43, vcc
	v_cmp_ngt_f32_e32 vcc, s37, v42
	s_nop 1
	v_cndmask_b32_e32 v42, v52, v43, vcc
	v_sub_f32_e32 v42, 1.0, v42
.LBB401_31:                             ;   in Loop: Header=BB401_9 Depth=1
	s_andn2_saveexec_b64 s[14:15], s[14:15]
; %bb.32:                               ;   in Loop: Header=BB401_9 Depth=1
	v_mul_f32_e32 v42, v37, v37
	v_fmamk_f32 v43, v42, 0xba1345e1, v50
	v_fmaak_f32 v43, v42, v43, 0xbcdac9b8
	v_fmaak_f32 v43, v42, v43, 0x3de703be
	;; [unrolled: 1-line block ×4, first 2 shown]
	v_fma_f32 v42, |v37|, v42, |v37|
; %bb.33:                               ;   in Loop: Header=BB401_9 Depth=1
	s_or_b64 exec, exec, s[14:15]
	v_bfi_b32 v33, s38, v36, v33
	v_mul_f32_e32 v32, 0.5, v32
	v_add_f32_e32 v33, 1.0, v33
	v_mul_f32_e32 v32, v32, v33
	v_and_b32_e32 v33, 0xffff0000, v26
	s_waitcnt vmcnt(2)
	v_add_f32_e32 v29, v29, v33
	v_lshlrev_b32_e32 v26, 16, v26
	v_bfi_b32 v33, s38, v42, v37
	v_add_f32_e32 v28, v28, v26
	v_mul_f32_e32 v26, 0.5, v34
	v_add_f32_e32 v33, 1.0, v33
	v_mul_f32_e32 v33, v26, v33
	v_lshlrev_b32_e32 v26, 16, v35
	v_add_f32_e32 v26, v38, v26
	;;#ASMSTART
	v_pk_mul_f32 v[28:29], v[32:33], v[28:29]
	;;#ASMEND
	v_mul_f32_e32 v32, 0x3f3504f3, v26
	v_cmp_nlt_f32_e64 s[14:15], |v32|, 1.0
                                        ; implicit-def: $vgpr33
	s_and_saveexec_b64 s[40:41], s[14:15]
	s_xor_b64 s[14:15], exec, s[40:41]
	s_cbranch_execz .LBB401_35
; %bb.34:                               ;   in Loop: Header=BB401_9 Depth=1
	v_fma_f32 v33, |v32|, s28, v51
	v_fma_f32 v33, |v32|, v33, s29
	;; [unrolled: 1-line block ×6, first 2 shown]
	v_fma_f32 v33, |v32|, v33, |v32|
	v_mul_f32_e32 v34, 0xbfb8aa3b, v33
	v_fma_f32 v36, v33, s35, -v34
	v_rndne_f32_e32 v37, v34
	v_fmac_f32_e32 v36, 0xb2a5705f, v33
	v_sub_f32_e32 v34, v34, v37
	v_add_f32_e32 v34, v34, v36
	v_cvt_i32_f32_e32 v36, v37
	v_exp_f32_e32 v34, v34
	v_cmp_nlt_f32_e32 vcc, s36, v33
	v_ldexp_f32 v34, v34, v36
	s_nop 0
	v_cndmask_b32_e32 v34, 0, v34, vcc
	v_cmp_ngt_f32_e32 vcc, s37, v33
	s_nop 1
	v_cndmask_b32_e32 v33, v52, v34, vcc
	v_sub_f32_e32 v33, 1.0, v33
.LBB401_35:                             ;   in Loop: Header=BB401_9 Depth=1
	s_andn2_saveexec_b64 s[14:15], s[14:15]
; %bb.36:                               ;   in Loop: Header=BB401_9 Depth=1
	v_mul_f32_e32 v33, v32, v32
	v_fmamk_f32 v34, v33, 0xba1345e1, v50
	v_fmaak_f32 v34, v33, v34, 0xbcdac9b8
	v_fmaak_f32 v34, v33, v34, 0x3de703be
	;; [unrolled: 1-line block ×4, first 2 shown]
	v_fma_f32 v33, |v32|, v33, |v32|
; %bb.37:                               ;   in Loop: Header=BB401_9 Depth=1
	s_or_b64 exec, exec, s[14:15]
	v_and_b32_e32 v34, 0xffff0000, v35
	v_add_f32_e32 v34, v39, v34
	v_mul_f32_e32 v35, 0x3f3504f3, v34
	v_cmp_nlt_f32_e64 s[14:15], |v35|, 1.0
                                        ; implicit-def: $vgpr36
	s_and_saveexec_b64 s[40:41], s[14:15]
	s_xor_b64 s[14:15], exec, s[40:41]
	s_cbranch_execz .LBB401_39
; %bb.38:                               ;   in Loop: Header=BB401_9 Depth=1
	v_fma_f32 v36, |v35|, s28, v51
	v_fma_f32 v36, |v35|, v36, s29
	;; [unrolled: 1-line block ×6, first 2 shown]
	v_fma_f32 v36, |v35|, v36, |v35|
	v_mul_f32_e32 v37, 0xbfb8aa3b, v36
	v_fma_f32 v38, v36, s35, -v37
	v_rndne_f32_e32 v39, v37
	v_fmac_f32_e32 v38, 0xb2a5705f, v36
	v_sub_f32_e32 v37, v37, v39
	v_add_f32_e32 v37, v37, v38
	v_cvt_i32_f32_e32 v38, v39
	v_exp_f32_e32 v37, v37
	v_cmp_nlt_f32_e32 vcc, s36, v36
	v_ldexp_f32 v37, v37, v38
	s_nop 0
	v_cndmask_b32_e32 v37, 0, v37, vcc
	v_cmp_ngt_f32_e32 vcc, s37, v36
	s_nop 1
	v_cndmask_b32_e32 v36, v52, v37, vcc
	v_sub_f32_e32 v36, 1.0, v36
.LBB401_39:                             ;   in Loop: Header=BB401_9 Depth=1
	s_andn2_saveexec_b64 s[14:15], s[14:15]
; %bb.40:                               ;   in Loop: Header=BB401_9 Depth=1
	v_mul_f32_e32 v36, v35, v35
	v_fmamk_f32 v37, v36, 0xba1345e1, v50
	v_fmaak_f32 v37, v36, v37, 0xbcdac9b8
	v_fmaak_f32 v37, v36, v37, 0x3de703be
	;; [unrolled: 1-line block ×4, first 2 shown]
	v_fma_f32 v36, |v35|, v36, |v35|
; %bb.41:                               ;   in Loop: Header=BB401_9 Depth=1
	s_or_b64 exec, exec, s[14:15]
	v_bfi_b32 v32, s38, v33, v32
	v_mul_f32_e32 v26, 0.5, v26
	v_add_f32_e32 v32, 1.0, v32
	v_mul_f32_e32 v26, v26, v32
	v_and_b32_e32 v32, 0xffff0000, v27
	v_add_f32_e32 v31, v31, v32
	v_lshlrev_b32_e32 v27, 16, v27
	v_bfi_b32 v32, s38, v36, v35
	v_add_f32_e32 v30, v30, v27
	v_mul_f32_e32 v27, 0.5, v34
	v_add_f32_e32 v32, 1.0, v32
	v_mul_f32_e32 v27, v27, v32
	;;#ASMSTART
	v_pk_mul_f32 v[26:27], v[26:27], v[30:31]
	;;#ASMEND
	v_lshlrev_b32_e32 v30, 16, v8
	v_add_f32_e32 v20, v20, v30
	v_mul_f32_e32 v30, 0x3f3504f3, v20
	v_cmp_nlt_f32_e64 s[14:15], |v30|, 1.0
                                        ; implicit-def: $vgpr31
	s_and_saveexec_b64 s[40:41], s[14:15]
	s_xor_b64 s[14:15], exec, s[40:41]
	s_cbranch_execz .LBB401_43
; %bb.42:                               ;   in Loop: Header=BB401_9 Depth=1
	v_fma_f32 v31, |v30|, s28, v51
	v_fma_f32 v31, |v30|, v31, s29
	;; [unrolled: 1-line block ×6, first 2 shown]
	v_fma_f32 v31, |v30|, v31, |v30|
	v_mul_f32_e32 v32, 0xbfb8aa3b, v31
	v_fma_f32 v33, v31, s35, -v32
	v_rndne_f32_e32 v34, v32
	v_fmac_f32_e32 v33, 0xb2a5705f, v31
	v_sub_f32_e32 v32, v32, v34
	v_add_f32_e32 v32, v32, v33
	v_cvt_i32_f32_e32 v33, v34
	v_exp_f32_e32 v32, v32
	v_cmp_nlt_f32_e32 vcc, s36, v31
	v_ldexp_f32 v32, v32, v33
	s_nop 0
	v_cndmask_b32_e32 v32, 0, v32, vcc
	v_cmp_ngt_f32_e32 vcc, s37, v31
	s_nop 1
	v_cndmask_b32_e32 v31, v52, v32, vcc
	v_sub_f32_e32 v31, 1.0, v31
.LBB401_43:                             ;   in Loop: Header=BB401_9 Depth=1
	s_andn2_saveexec_b64 s[14:15], s[14:15]
; %bb.44:                               ;   in Loop: Header=BB401_9 Depth=1
	v_mul_f32_e32 v31, v30, v30
	v_fmamk_f32 v32, v31, 0xba1345e1, v50
	v_fmaak_f32 v32, v31, v32, 0xbcdac9b8
	v_fmaak_f32 v32, v31, v32, 0x3de703be
	;; [unrolled: 1-line block ×4, first 2 shown]
	v_fma_f32 v31, |v30|, v31, |v30|
; %bb.45:                               ;   in Loop: Header=BB401_9 Depth=1
	s_or_b64 exec, exec, s[14:15]
	v_and_b32_e32 v8, 0xffff0000, v8
	v_add_f32_e32 v8, v21, v8
	v_mul_f32_e32 v21, 0x3f3504f3, v8
	v_cmp_nlt_f32_e64 s[14:15], |v21|, 1.0
                                        ; implicit-def: $vgpr32
	s_and_saveexec_b64 s[40:41], s[14:15]
	s_xor_b64 s[14:15], exec, s[40:41]
	s_cbranch_execz .LBB401_47
; %bb.46:                               ;   in Loop: Header=BB401_9 Depth=1
	v_fma_f32 v32, |v21|, s28, v51
	v_fma_f32 v32, |v21|, v32, s29
	;; [unrolled: 1-line block ×6, first 2 shown]
	v_fma_f32 v32, |v21|, v32, |v21|
	v_mul_f32_e32 v33, 0xbfb8aa3b, v32
	v_fma_f32 v34, v32, s35, -v33
	v_rndne_f32_e32 v35, v33
	v_fmac_f32_e32 v34, 0xb2a5705f, v32
	v_sub_f32_e32 v33, v33, v35
	v_add_f32_e32 v33, v33, v34
	v_cvt_i32_f32_e32 v34, v35
	v_exp_f32_e32 v33, v33
	v_cmp_nlt_f32_e32 vcc, s36, v32
	v_ldexp_f32 v33, v33, v34
	s_nop 0
	v_cndmask_b32_e32 v33, 0, v33, vcc
	v_cmp_ngt_f32_e32 vcc, s37, v32
	s_nop 1
	v_cndmask_b32_e32 v32, v52, v33, vcc
	v_sub_f32_e32 v32, 1.0, v32
.LBB401_47:                             ;   in Loop: Header=BB401_9 Depth=1
	s_andn2_saveexec_b64 s[14:15], s[14:15]
; %bb.48:                               ;   in Loop: Header=BB401_9 Depth=1
	v_mul_f32_e32 v32, v21, v21
	v_fmamk_f32 v33, v32, 0xba1345e1, v50
	v_fmaak_f32 v33, v32, v33, 0xbcdac9b8
	v_fmaak_f32 v33, v32, v33, 0x3de703be
	;; [unrolled: 1-line block ×4, first 2 shown]
	v_fma_f32 v32, |v21|, v32, |v21|
; %bb.49:                               ;   in Loop: Header=BB401_9 Depth=1
	s_or_b64 exec, exec, s[14:15]
	v_bfi_b32 v30, s38, v31, v30
	v_mul_f32_e32 v20, 0.5, v20
	v_add_f32_e32 v30, 1.0, v30
	v_mul_f32_e32 v20, v20, v30
	v_and_b32_e32 v30, 0xffff0000, v0
	v_lshlrev_b32_e32 v0, 16, v0
	s_waitcnt vmcnt(1)
	v_add_f32_e32 v16, v16, v0
	v_mul_f32_e32 v0, 0.5, v8
	v_bfi_b32 v8, s38, v32, v21
	v_add_f32_e32 v8, 1.0, v8
	v_mul_f32_e32 v21, v0, v8
	v_lshlrev_b32_e32 v0, 16, v9
	v_add_f32_e32 v0, v22, v0
	v_mul_f32_e32 v8, 0x3f3504f3, v0
	v_add_f32_e32 v17, v17, v30
	v_cmp_nlt_f32_e64 s[14:15], |v8|, 1.0
	;;#ASMSTART
	v_pk_mul_f32 v[16:17], v[20:21], v[16:17]
	;;#ASMEND
                                        ; implicit-def: $vgpr20
	s_and_saveexec_b64 s[40:41], s[14:15]
	s_xor_b64 s[14:15], exec, s[40:41]
	s_cbranch_execz .LBB401_51
; %bb.50:                               ;   in Loop: Header=BB401_9 Depth=1
	v_fma_f32 v20, |v8|, s28, v51
	v_fma_f32 v20, |v8|, v20, s29
	;; [unrolled: 1-line block ×6, first 2 shown]
	v_fma_f32 v20, |v8|, v20, |v8|
	v_mul_f32_e32 v21, 0xbfb8aa3b, v20
	v_fma_f32 v22, v20, s35, -v21
	v_rndne_f32_e32 v30, v21
	v_fmac_f32_e32 v22, 0xb2a5705f, v20
	v_sub_f32_e32 v21, v21, v30
	v_add_f32_e32 v21, v21, v22
	v_cvt_i32_f32_e32 v22, v30
	v_exp_f32_e32 v21, v21
	v_cmp_nlt_f32_e32 vcc, s36, v20
	v_ldexp_f32 v21, v21, v22
	s_nop 0
	v_cndmask_b32_e32 v21, 0, v21, vcc
	v_cmp_ngt_f32_e32 vcc, s37, v20
	s_nop 1
	v_cndmask_b32_e32 v20, v52, v21, vcc
	v_sub_f32_e32 v20, 1.0, v20
.LBB401_51:                             ;   in Loop: Header=BB401_9 Depth=1
	s_andn2_saveexec_b64 s[14:15], s[14:15]
; %bb.52:                               ;   in Loop: Header=BB401_9 Depth=1
	v_mul_f32_e32 v20, v8, v8
	v_fmamk_f32 v21, v20, 0xba1345e1, v50
	v_fmaak_f32 v21, v20, v21, 0xbcdac9b8
	v_fmaak_f32 v21, v20, v21, 0x3de703be
	;; [unrolled: 1-line block ×4, first 2 shown]
	v_fma_f32 v20, |v8|, v20, |v8|
; %bb.53:                               ;   in Loop: Header=BB401_9 Depth=1
	s_or_b64 exec, exec, s[14:15]
	v_and_b32_e32 v9, 0xffff0000, v9
	v_add_f32_e32 v9, v23, v9
	v_mul_f32_e32 v21, 0x3f3504f3, v9
	v_cmp_nlt_f32_e64 s[14:15], |v21|, 1.0
                                        ; implicit-def: $vgpr22
	s_and_saveexec_b64 s[40:41], s[14:15]
	s_xor_b64 s[14:15], exec, s[40:41]
	s_cbranch_execz .LBB401_55
; %bb.54:                               ;   in Loop: Header=BB401_9 Depth=1
	v_fma_f32 v22, |v21|, s28, v51
	v_fma_f32 v22, |v21|, v22, s29
	;; [unrolled: 1-line block ×6, first 2 shown]
	v_fma_f32 v22, |v21|, v22, |v21|
	v_mul_f32_e32 v23, 0xbfb8aa3b, v22
	v_fma_f32 v30, v22, s35, -v23
	v_rndne_f32_e32 v31, v23
	v_fmac_f32_e32 v30, 0xb2a5705f, v22
	v_sub_f32_e32 v23, v23, v31
	v_add_f32_e32 v23, v23, v30
	v_cvt_i32_f32_e32 v30, v31
	v_exp_f32_e32 v23, v23
	v_cmp_nlt_f32_e32 vcc, s36, v22
	v_ldexp_f32 v23, v23, v30
	s_nop 0
	v_cndmask_b32_e32 v23, 0, v23, vcc
	v_cmp_ngt_f32_e32 vcc, s37, v22
	s_nop 1
	v_cndmask_b32_e32 v22, v52, v23, vcc
	v_sub_f32_e32 v22, 1.0, v22
.LBB401_55:                             ;   in Loop: Header=BB401_9 Depth=1
	s_andn2_saveexec_b64 s[14:15], s[14:15]
; %bb.56:                               ;   in Loop: Header=BB401_9 Depth=1
	v_mul_f32_e32 v22, v21, v21
	v_fmamk_f32 v23, v22, 0xba1345e1, v50
	v_fmaak_f32 v23, v22, v23, 0xbcdac9b8
	v_fmaak_f32 v23, v22, v23, 0x3de703be
	;; [unrolled: 1-line block ×4, first 2 shown]
	v_fma_f32 v22, |v21|, v22, |v21|
; %bb.57:                               ;   in Loop: Header=BB401_9 Depth=1
	s_or_b64 exec, exec, s[14:15]
	v_bfi_b32 v8, s38, v20, v8
	v_mul_f32_e32 v0, 0.5, v0
	v_add_f32_e32 v8, 1.0, v8
	v_mul_f32_e32 v0, v0, v8
	v_and_b32_e32 v8, 0xffff0000, v1
	v_add_f32_e32 v19, v19, v8
	v_lshlrev_b32_e32 v1, 16, v1
	v_bfi_b32 v8, s38, v22, v21
	v_add_f32_e32 v18, v18, v1
	v_mul_f32_e32 v1, 0.5, v9
	v_add_f32_e32 v8, 1.0, v8
	v_mul_f32_e32 v1, v1, v8
	v_lshlrev_b32_e32 v8, 16, v10
	v_add_f32_e32 v8, v12, v8
	v_mul_f32_e32 v9, 0x3f3504f3, v8
	v_cmp_nlt_f32_e64 s[14:15], |v9|, 1.0
	;;#ASMSTART
	v_pk_mul_f32 v[0:1], v[0:1], v[18:19]
	;;#ASMEND
                                        ; implicit-def: $vgpr12
	s_and_saveexec_b64 s[40:41], s[14:15]
	s_xor_b64 s[14:15], exec, s[40:41]
	s_cbranch_execz .LBB401_59
; %bb.58:                               ;   in Loop: Header=BB401_9 Depth=1
	v_fma_f32 v12, |v9|, s28, v51
	v_fma_f32 v12, |v9|, v12, s29
	;; [unrolled: 1-line block ×6, first 2 shown]
	v_fma_f32 v12, |v9|, v12, |v9|
	v_mul_f32_e32 v18, 0xbfb8aa3b, v12
	v_fma_f32 v19, v12, s35, -v18
	v_rndne_f32_e32 v20, v18
	v_fmac_f32_e32 v19, 0xb2a5705f, v12
	v_sub_f32_e32 v18, v18, v20
	v_add_f32_e32 v18, v18, v19
	v_cvt_i32_f32_e32 v19, v20
	v_exp_f32_e32 v18, v18
	v_cmp_nlt_f32_e32 vcc, s36, v12
	v_ldexp_f32 v18, v18, v19
	s_nop 0
	v_cndmask_b32_e32 v18, 0, v18, vcc
	v_cmp_ngt_f32_e32 vcc, s37, v12
	s_nop 1
	v_cndmask_b32_e32 v12, v52, v18, vcc
	v_sub_f32_e32 v12, 1.0, v12
.LBB401_59:                             ;   in Loop: Header=BB401_9 Depth=1
	s_andn2_saveexec_b64 s[14:15], s[14:15]
; %bb.60:                               ;   in Loop: Header=BB401_9 Depth=1
	v_mul_f32_e32 v12, v9, v9
	v_fmamk_f32 v18, v12, 0xba1345e1, v50
	v_fmaak_f32 v18, v12, v18, 0xbcdac9b8
	v_fmaak_f32 v18, v12, v18, 0x3de703be
	;; [unrolled: 1-line block ×4, first 2 shown]
	v_fma_f32 v12, |v9|, v12, |v9|
; %bb.61:                               ;   in Loop: Header=BB401_9 Depth=1
	s_or_b64 exec, exec, s[14:15]
	v_and_b32_e32 v10, 0xffff0000, v10
	v_add_f32_e32 v10, v13, v10
	v_mul_f32_e32 v13, 0x3f3504f3, v10
	v_cmp_nlt_f32_e64 s[14:15], |v13|, 1.0
                                        ; implicit-def: $vgpr18
	s_and_saveexec_b64 s[40:41], s[14:15]
	s_xor_b64 s[14:15], exec, s[40:41]
	s_cbranch_execz .LBB401_63
; %bb.62:                               ;   in Loop: Header=BB401_9 Depth=1
	v_fma_f32 v18, |v13|, s28, v51
	v_fma_f32 v18, |v13|, v18, s29
	;; [unrolled: 1-line block ×6, first 2 shown]
	v_fma_f32 v18, |v13|, v18, |v13|
	v_mul_f32_e32 v19, 0xbfb8aa3b, v18
	v_fma_f32 v20, v18, s35, -v19
	v_rndne_f32_e32 v21, v19
	v_fmac_f32_e32 v20, 0xb2a5705f, v18
	v_sub_f32_e32 v19, v19, v21
	v_add_f32_e32 v19, v19, v20
	v_cvt_i32_f32_e32 v20, v21
	v_exp_f32_e32 v19, v19
	v_cmp_nlt_f32_e32 vcc, s36, v18
	v_ldexp_f32 v19, v19, v20
	s_nop 0
	v_cndmask_b32_e32 v19, 0, v19, vcc
	v_cmp_ngt_f32_e32 vcc, s37, v18
	s_nop 1
	v_cndmask_b32_e32 v18, v52, v19, vcc
	v_sub_f32_e32 v18, 1.0, v18
.LBB401_63:                             ;   in Loop: Header=BB401_9 Depth=1
	s_andn2_saveexec_b64 s[14:15], s[14:15]
; %bb.64:                               ;   in Loop: Header=BB401_9 Depth=1
	v_mul_f32_e32 v18, v13, v13
	v_fmamk_f32 v19, v18, 0xba1345e1, v50
	v_fmaak_f32 v19, v18, v19, 0xbcdac9b8
	v_fmaak_f32 v19, v18, v19, 0x3de703be
	;; [unrolled: 1-line block ×4, first 2 shown]
	v_fma_f32 v18, |v13|, v18, |v13|
; %bb.65:                               ;   in Loop: Header=BB401_9 Depth=1
	s_or_b64 exec, exec, s[14:15]
	v_bfi_b32 v9, s38, v12, v9
	v_mul_f32_e32 v8, 0.5, v8
	v_add_f32_e32 v9, 1.0, v9
	v_mul_f32_e32 v8, v8, v9
	v_and_b32_e32 v9, 0xffff0000, v2
	s_waitcnt vmcnt(0)
	v_add_f32_e32 v5, v5, v9
	v_lshlrev_b32_e32 v2, 16, v2
	v_bfi_b32 v9, s38, v18, v13
	v_add_f32_e32 v4, v4, v2
	v_mul_f32_e32 v2, 0.5, v10
	v_add_f32_e32 v9, 1.0, v9
	v_mul_f32_e32 v9, v2, v9
	v_lshlrev_b32_e32 v2, 16, v11
	v_add_f32_e32 v2, v14, v2
	;;#ASMSTART
	v_pk_mul_f32 v[4:5], v[8:9], v[4:5]
	;;#ASMEND
	v_mul_f32_e32 v8, 0x3f3504f3, v2
	v_cmp_nlt_f32_e64 s[14:15], |v8|, 1.0
                                        ; implicit-def: $vgpr9
	s_and_saveexec_b64 s[40:41], s[14:15]
	s_xor_b64 s[14:15], exec, s[40:41]
	s_cbranch_execz .LBB401_67
; %bb.66:                               ;   in Loop: Header=BB401_9 Depth=1
	v_fma_f32 v9, |v8|, s28, v51
	v_fma_f32 v9, |v8|, v9, s29
	;; [unrolled: 1-line block ×6, first 2 shown]
	v_fma_f32 v9, |v8|, v9, |v8|
	v_mul_f32_e32 v10, 0xbfb8aa3b, v9
	v_fma_f32 v12, v9, s35, -v10
	v_rndne_f32_e32 v13, v10
	v_fmac_f32_e32 v12, 0xb2a5705f, v9
	v_sub_f32_e32 v10, v10, v13
	v_add_f32_e32 v10, v10, v12
	v_cvt_i32_f32_e32 v12, v13
	v_exp_f32_e32 v10, v10
	v_cmp_nlt_f32_e32 vcc, s36, v9
	v_ldexp_f32 v10, v10, v12
	s_nop 0
	v_cndmask_b32_e32 v10, 0, v10, vcc
	v_cmp_ngt_f32_e32 vcc, s37, v9
	s_nop 1
	v_cndmask_b32_e32 v9, v52, v10, vcc
	v_sub_f32_e32 v9, 1.0, v9
.LBB401_67:                             ;   in Loop: Header=BB401_9 Depth=1
	s_andn2_saveexec_b64 s[14:15], s[14:15]
; %bb.68:                               ;   in Loop: Header=BB401_9 Depth=1
	v_mul_f32_e32 v9, v8, v8
	v_fmamk_f32 v10, v9, 0xba1345e1, v50
	v_fmaak_f32 v10, v9, v10, 0xbcdac9b8
	v_fmaak_f32 v10, v9, v10, 0x3de703be
	;; [unrolled: 1-line block ×4, first 2 shown]
	v_fma_f32 v9, |v8|, v9, |v8|
; %bb.69:                               ;   in Loop: Header=BB401_9 Depth=1
	s_or_b64 exec, exec, s[14:15]
	v_and_b32_e32 v10, 0xffff0000, v11
	v_add_f32_e32 v10, v15, v10
	v_mul_f32_e32 v11, 0x3f3504f3, v10
	v_cmp_nlt_f32_e64 s[14:15], |v11|, 1.0
                                        ; implicit-def: $vgpr12
	s_and_saveexec_b64 s[40:41], s[14:15]
	s_xor_b64 s[14:15], exec, s[40:41]
	s_cbranch_execz .LBB401_71
; %bb.70:                               ;   in Loop: Header=BB401_9 Depth=1
	v_fma_f32 v12, |v11|, s28, v51
	v_fma_f32 v12, |v11|, v12, s29
	;; [unrolled: 1-line block ×6, first 2 shown]
	v_fma_f32 v12, |v11|, v12, |v11|
	v_mul_f32_e32 v13, 0xbfb8aa3b, v12
	v_fma_f32 v14, v12, s35, -v13
	v_rndne_f32_e32 v15, v13
	v_fmac_f32_e32 v14, 0xb2a5705f, v12
	v_sub_f32_e32 v13, v13, v15
	v_add_f32_e32 v13, v13, v14
	v_cvt_i32_f32_e32 v14, v15
	v_exp_f32_e32 v13, v13
	v_cmp_nlt_f32_e32 vcc, s36, v12
	v_ldexp_f32 v13, v13, v14
	s_nop 0
	v_cndmask_b32_e32 v13, 0, v13, vcc
	v_cmp_ngt_f32_e32 vcc, s37, v12
	s_nop 1
	v_cndmask_b32_e32 v12, v52, v13, vcc
	v_sub_f32_e32 v12, 1.0, v12
.LBB401_71:                             ;   in Loop: Header=BB401_9 Depth=1
	s_andn2_saveexec_b64 s[14:15], s[14:15]
	s_cbranch_execz .LBB401_8
; %bb.72:                               ;   in Loop: Header=BB401_9 Depth=1
	v_mul_f32_e32 v12, v11, v11
	v_fmamk_f32 v13, v12, 0xba1345e1, v50
	v_fmaak_f32 v13, v12, v13, 0xbcdac9b8
	v_fmaak_f32 v13, v12, v13, 0x3de703be
	;; [unrolled: 1-line block ×4, first 2 shown]
	v_fma_f32 v12, |v11|, v12, |v11|
	s_branch .LBB401_8
.LBB401_73:
	s_endpgm
	.section	.rodata,"a",@progbits
	.p2align	6, 0x0
	.amdhsa_kernel _ZN5aiter23act_and_mul_bias_kernelIttafTnPFfRKT2_EXadL_ZNS_11gelu_kernelIfEEfRKT_EELi16EEEvPT0_PS8_PKT1_PS2_il
		.amdhsa_group_segment_fixed_size 0
		.amdhsa_private_segment_fixed_size 0
		.amdhsa_kernarg_size 304
		.amdhsa_user_sgpr_count 2
		.amdhsa_user_sgpr_dispatch_ptr 0
		.amdhsa_user_sgpr_queue_ptr 0
		.amdhsa_user_sgpr_kernarg_segment_ptr 1
		.amdhsa_user_sgpr_dispatch_id 0
		.amdhsa_user_sgpr_kernarg_preload_length 0
		.amdhsa_user_sgpr_kernarg_preload_offset 0
		.amdhsa_user_sgpr_private_segment_size 0
		.amdhsa_uses_dynamic_stack 0
		.amdhsa_enable_private_segment 0
		.amdhsa_system_sgpr_workgroup_id_x 1
		.amdhsa_system_sgpr_workgroup_id_y 0
		.amdhsa_system_sgpr_workgroup_id_z 0
		.amdhsa_system_sgpr_workgroup_info 0
		.amdhsa_system_vgpr_workitem_id 0
		.amdhsa_next_free_vgpr 60
		.amdhsa_next_free_sgpr 42
		.amdhsa_accum_offset 60
		.amdhsa_reserve_vcc 1
		.amdhsa_float_round_mode_32 0
		.amdhsa_float_round_mode_16_64 0
		.amdhsa_float_denorm_mode_32 3
		.amdhsa_float_denorm_mode_16_64 3
		.amdhsa_dx10_clamp 1
		.amdhsa_ieee_mode 1
		.amdhsa_fp16_overflow 0
		.amdhsa_tg_split 0
		.amdhsa_exception_fp_ieee_invalid_op 0
		.amdhsa_exception_fp_denorm_src 0
		.amdhsa_exception_fp_ieee_div_zero 0
		.amdhsa_exception_fp_ieee_overflow 0
		.amdhsa_exception_fp_ieee_underflow 0
		.amdhsa_exception_fp_ieee_inexact 0
		.amdhsa_exception_int_div_zero 0
	.end_amdhsa_kernel
	.section	.text._ZN5aiter23act_and_mul_bias_kernelIttafTnPFfRKT2_EXadL_ZNS_11gelu_kernelIfEEfRKT_EELi16EEEvPT0_PS8_PKT1_PS2_il,"axG",@progbits,_ZN5aiter23act_and_mul_bias_kernelIttafTnPFfRKT2_EXadL_ZNS_11gelu_kernelIfEEfRKT_EELi16EEEvPT0_PS8_PKT1_PS2_il,comdat
.Lfunc_end401:
	.size	_ZN5aiter23act_and_mul_bias_kernelIttafTnPFfRKT2_EXadL_ZNS_11gelu_kernelIfEEfRKT_EELi16EEEvPT0_PS8_PKT1_PS2_il, .Lfunc_end401-_ZN5aiter23act_and_mul_bias_kernelIttafTnPFfRKT2_EXadL_ZNS_11gelu_kernelIfEEfRKT_EELi16EEEvPT0_PS8_PKT1_PS2_il
                                        ; -- End function
	.section	.AMDGPU.csdata,"",@progbits
; Kernel info:
; codeLenInByte = 5196
; NumSgprs: 48
; NumVgprs: 60
; NumAgprs: 0
; TotalNumVgprs: 60
; ScratchSize: 0
; MemoryBound: 0
; FloatMode: 240
; IeeeMode: 1
; LDSByteSize: 0 bytes/workgroup (compile time only)
; SGPRBlocks: 5
; VGPRBlocks: 7
; NumSGPRsForWavesPerEU: 48
; NumVGPRsForWavesPerEU: 60
; AccumOffset: 60
; Occupancy: 8
; WaveLimiterHint : 0
; COMPUTE_PGM_RSRC2:SCRATCH_EN: 0
; COMPUTE_PGM_RSRC2:USER_SGPR: 2
; COMPUTE_PGM_RSRC2:TRAP_HANDLER: 0
; COMPUTE_PGM_RSRC2:TGID_X_EN: 1
; COMPUTE_PGM_RSRC2:TGID_Y_EN: 0
; COMPUTE_PGM_RSRC2:TGID_Z_EN: 0
; COMPUTE_PGM_RSRC2:TIDIG_COMP_CNT: 0
; COMPUTE_PGM_RSRC3_GFX90A:ACCUM_OFFSET: 14
; COMPUTE_PGM_RSRC3_GFX90A:TG_SPLIT: 0
	.section	.text._ZN5aiter23act_and_mul_bias_kernelIttafTnPFfRKT2_EXadL_ZNS_11gelu_kernelIfEEfRKT_EELi8EEEvPT0_PS8_PKT1_PS2_il,"axG",@progbits,_ZN5aiter23act_and_mul_bias_kernelIttafTnPFfRKT2_EXadL_ZNS_11gelu_kernelIfEEfRKT_EELi8EEEvPT0_PS8_PKT1_PS2_il,comdat
	.protected	_ZN5aiter23act_and_mul_bias_kernelIttafTnPFfRKT2_EXadL_ZNS_11gelu_kernelIfEEfRKT_EELi8EEEvPT0_PS8_PKT1_PS2_il ; -- Begin function _ZN5aiter23act_and_mul_bias_kernelIttafTnPFfRKT2_EXadL_ZNS_11gelu_kernelIfEEfRKT_EELi8EEEvPT0_PS8_PKT1_PS2_il
	.globl	_ZN5aiter23act_and_mul_bias_kernelIttafTnPFfRKT2_EXadL_ZNS_11gelu_kernelIfEEfRKT_EELi8EEEvPT0_PS8_PKT1_PS2_il
	.p2align	8
	.type	_ZN5aiter23act_and_mul_bias_kernelIttafTnPFfRKT2_EXadL_ZNS_11gelu_kernelIfEEfRKT_EELi8EEEvPT0_PS8_PKT1_PS2_il,@function
_ZN5aiter23act_and_mul_bias_kernelIttafTnPFfRKT2_EXadL_ZNS_11gelu_kernelIfEEfRKT_EELi8EEEvPT0_PS8_PKT1_PS2_il: ; @_ZN5aiter23act_and_mul_bias_kernelIttafTnPFfRKT2_EXadL_ZNS_11gelu_kernelIfEEfRKT_EELi8EEEvPT0_PS8_PKT1_PS2_il
; %bb.0:
	s_load_dwordx2 s[4:5], s[0:1], 0x10
	s_load_dword s24, s[0:1], 0x20
	s_load_dwordx2 s[6:7], s[0:1], 0x28
	v_mov_b32_e32 v1, s2
	s_mov_b32 s9, 0
	s_waitcnt lgkmcnt(0)
	global_load_ubyte v1, v1, s[4:5]
	s_add_i32 s3, s24, 1
	v_mov_b64_e32 v[2:3], s[6:7]
	s_lshr_b32 s6, s3, 31
	s_add_i32 s3, s3, s6
	s_load_dwordx2 s[4:5], s[0:1], 0x0
	s_lshl_b32 s3, s3, 1
	s_ashr_i32 s25, s24, 31
	s_and_b32 s6, s3, -4
	s_mul_hi_u32 s8, s24, s2
	s_mul_i32 s7, s25, s2
	s_mul_i32 s12, s24, s2
	s_add_i32 s13, s8, s7
	s_lshl_b64 s[12:13], s[12:13], 1
	s_mov_b64 s[10:11], -1
	v_lshlrev_b32_e32 v24, 3, v0
	s_waitcnt vmcnt(0)
	v_readfirstlane_b32 s3, v1
	s_nop 1
	v_mov_b32_e32 v4, s3
	s_sext_i32_i8 s3, s3
	v_readfirstlane_b32 s8, v4
	s_bfe_i64 s[8:9], s[8:9], 0x80000
	s_waitcnt lgkmcnt(0)
	s_add_u32 s4, s4, s12
	s_addc_u32 s5, s5, s13
	s_and_b32 s5, s5, 0xffff
	s_cmp_gt_i32 s3, -1
	v_cmp_lt_i64_e32 vcc, s[8:9], v[2:3]
	s_cselect_b64 s[12:13], -1, 0
	s_and_b64 s[12:13], s[12:13], vcc
	s_and_b64 vcc, exec, s[12:13]
	s_cbranch_vccnz .LBB402_5
; %bb.1:
	v_cmp_gt_i32_e32 vcc, s24, v24
	s_and_saveexec_b64 s[10:11], vcc
	s_cbranch_execz .LBB402_4
; %bb.2:
	s_load_dword s3, s[0:1], 0x3c
	v_mov_b32_e32 v25, 0
	s_mov_b32 s13, 0
	v_lshlrev_b32_e32 v6, 4, v0
	s_mov_b64 s[14:15], 0
	s_waitcnt lgkmcnt(0)
	s_and_b32 s3, s3, 0xffff
	s_lshl_b32 s12, s3, 3
	s_lshl_b32 s3, s3, 4
	s_mov_b32 s7, 0x20000
	v_mov_b32_e32 v0, v25
	v_mov_b32_e32 v1, v25
	;; [unrolled: 1-line block ×4, first 2 shown]
	v_mov_b64_e32 v[4:5], v[24:25]
.LBB402_3:                              ; =>This Inner Loop Header: Depth=1
	v_lshl_add_u64 v[4:5], s[12:13], 0, v[4:5]
	v_cmp_le_i64_e32 vcc, s[24:25], v[4:5]
	buffer_store_dwordx4 v[0:3], v6, s[4:7], 0 offen
	s_or_b64 s[14:15], vcc, s[14:15]
	v_add_u32_e32 v6, s3, v6
	s_andn2_b64 exec, exec, s[14:15]
	s_cbranch_execnz .LBB402_3
.LBB402_4:
	s_or_b64 exec, exec, s[10:11]
	s_mov_b64 s[10:11], 0
.LBB402_5:
	s_andn2_b64 vcc, exec, s[10:11]
	s_cbranch_vccnz .LBB402_41
; %bb.6:
	v_cmp_gt_i32_e32 vcc, s24, v24
	s_and_saveexec_b64 s[10:11], vcc
	s_cbranch_execz .LBB402_41
; %bb.7:
	s_load_dwordx2 s[14:15], s[0:1], 0x8
	s_load_dwordx2 s[10:11], s[0:1], 0x18
	s_mul_hi_i32 s9, s24, s8
	s_mul_i32 s8, s24, s8
	s_lshl_b64 s[8:9], s[8:9], 3
	s_mul_i32 s16, s2, s25
	s_waitcnt lgkmcnt(0)
	s_add_u32 s8, s10, s8
	s_addc_u32 s7, s11, s9
	s_lshl_b64 s[10:11], s[24:25], 2
	s_add_u32 s12, s8, s10
	s_mul_hi_u32 s17, s2, s24
	s_addc_u32 s13, s7, s11
	s_add_i32 s17, s17, s16
	s_mul_i32 s16, s2, s24
	s_lshl_b32 s10, s24, 2
	s_and_b32 s9, s7, 0xffff
	s_and_b32 s13, s13, 0xffff
	s_lshl_b64 s[16:17], s[16:17], 2
	s_add_u32 s16, s14, s16
	s_addc_u32 s2, s15, s17
	s_lshl_b64 s[14:15], s[24:25], 1
	s_add_u32 s20, s16, s14
	s_addc_u32 s14, s2, s15
	s_and_b32 s17, s2, 0xffff
	s_and_b32 s21, s14, 0xffff
	s_mov_b32 s7, 0x20000
	s_add_u32 s0, s0, 48
	s_mov_b32 s3, 0
	s_mov_b32 s11, s7
	s_mov_b64 s[22:23], s[6:7]
	v_mov_b32_e32 v25, 0
	s_addc_u32 s1, s1, 0
	s_mov_b64 s[26:27], 0
	s_mov_b32 s18, s6
	s_mov_b32 s19, s7
	;; [unrolled: 1-line block ×11, first 2 shown]
	v_mov_b32_e32 v26, 0x3ba10414
	s_brev_b32 s38, -2
	s_mov_b32 s39, 0x7060302
	v_mov_b32_e32 v27, 0xb9c68948
	v_mov_b32_e32 v28, 0x7f800000
                                        ; implicit-def: $vgpr0
                                        ; implicit-def: $vgpr0
	;; [unrolled: 1-line block ×4, first 2 shown]
	s_branch .LBB402_9
.LBB402_8:                              ;   in Loop: Header=BB402_9 Depth=1
	s_or_b64 exec, exec, s[14:15]
	v_bfi_b32 v8, s38, v9, v8
	v_mul_f32_e32 v2, 0.5, v2
	v_add_f32_e32 v8, 1.0, v8
	v_mul_f32_e32 v2, v2, v8
	v_and_b32_e32 v8, 0xffff0000, v3
	v_add_f32_e32 v7, v7, v8
	v_lshlrev_b32_e32 v3, 16, v3
	v_bfi_b32 v8, s38, v12, v11
	v_add_f32_e32 v6, v6, v3
	v_mul_f32_e32 v3, 0.5, v10
	v_add_f32_e32 v8, 1.0, v8
	v_mul_f32_e32 v3, v3, v8
	;;#ASMSTART
	v_pk_mul_f32 v[2:3], v[2:3], v[6:7]
	;;#ASMEND
	s_load_dword s2, s[0:1], 0xc
	v_perm_b32 v3, v3, v2, s39
	v_perm_b32 v2, v5, v4, s39
	;; [unrolled: 1-line block ×4, first 2 shown]
	s_waitcnt lgkmcnt(0)
	s_and_b32 s2, s2, 0xffff
	s_lshl_b32 s2, s2, 3
	v_lshl_add_u64 v[24:25], s[2:3], 0, v[24:25]
	v_cmp_le_i64_e32 vcc, s[24:25], v[24:25]
	s_or_b64 s[26:27], vcc, s[26:27]
	buffer_store_dwordx4 v[0:3], v29, s[4:7], 0 offen
	s_andn2_b64 exec, exec, s[26:27]
	s_cbranch_execz .LBB402_41
.LBB402_9:                              ; =>This Inner Loop Header: Depth=1
	v_lshlrev_b32_e32 v29, 1, v24
	buffer_load_dwordx4 v[8:11], v29, s[16:19], 0 offen
	buffer_load_dwordx4 v[0:3], v29, s[20:23], 0 offen
	v_lshlrev_b32_e32 v30, 2, v24
	buffer_load_dwordx4 v[20:23], v30, s[8:11], 0 offen
	buffer_load_dwordx4 v[12:15], v30, s[8:11], 16 offen
	s_mov_b32 s14, s10
	s_mov_b32 s15, s11
	buffer_load_dwordx4 v[16:19], v30, s[12:15], 0 offen
	buffer_load_dwordx4 v[4:7], v30, s[12:15], 16 offen
                                        ; implicit-def: $vgpr31
	s_waitcnt vmcnt(5)
	v_lshlrev_b32_e32 v30, 16, v8
	s_waitcnt vmcnt(3)
	v_add_f32_e32 v20, v20, v30
	v_mul_f32_e32 v30, 0x3f3504f3, v20
	v_cmp_nlt_f32_e64 s[14:15], |v30|, 1.0
	s_and_saveexec_b64 s[40:41], s[14:15]
	s_xor_b64 s[14:15], exec, s[40:41]
	s_cbranch_execz .LBB402_11
; %bb.10:                               ;   in Loop: Header=BB402_9 Depth=1
	v_fma_f32 v31, |v30|, s28, v27
	v_fma_f32 v31, |v30|, v31, s29
	;; [unrolled: 1-line block ×6, first 2 shown]
	v_fma_f32 v31, |v30|, v31, |v30|
	v_mul_f32_e32 v32, 0xbfb8aa3b, v31
	v_fma_f32 v33, v31, s35, -v32
	v_rndne_f32_e32 v34, v32
	v_fmac_f32_e32 v33, 0xb2a5705f, v31
	v_sub_f32_e32 v32, v32, v34
	v_add_f32_e32 v32, v32, v33
	v_cvt_i32_f32_e32 v33, v34
	v_exp_f32_e32 v32, v32
	v_cmp_nlt_f32_e32 vcc, s36, v31
	v_ldexp_f32 v32, v32, v33
	s_nop 0
	v_cndmask_b32_e32 v32, 0, v32, vcc
	v_cmp_ngt_f32_e32 vcc, s37, v31
	s_nop 1
	v_cndmask_b32_e32 v31, v28, v32, vcc
	v_sub_f32_e32 v31, 1.0, v31
.LBB402_11:                             ;   in Loop: Header=BB402_9 Depth=1
	s_andn2_saveexec_b64 s[14:15], s[14:15]
; %bb.12:                               ;   in Loop: Header=BB402_9 Depth=1
	v_mul_f32_e32 v31, v30, v30
	v_fmamk_f32 v32, v31, 0xba1345e1, v26
	v_fmaak_f32 v32, v31, v32, 0xbcdac9b8
	v_fmaak_f32 v32, v31, v32, 0x3de703be
	;; [unrolled: 1-line block ×4, first 2 shown]
	v_fma_f32 v31, |v30|, v31, |v30|
; %bb.13:                               ;   in Loop: Header=BB402_9 Depth=1
	s_or_b64 exec, exec, s[14:15]
	v_and_b32_e32 v8, 0xffff0000, v8
	v_add_f32_e32 v8, v21, v8
	v_mul_f32_e32 v21, 0x3f3504f3, v8
	v_cmp_nlt_f32_e64 s[14:15], |v21|, 1.0
                                        ; implicit-def: $vgpr32
	s_and_saveexec_b64 s[40:41], s[14:15]
	s_xor_b64 s[14:15], exec, s[40:41]
	s_cbranch_execz .LBB402_15
; %bb.14:                               ;   in Loop: Header=BB402_9 Depth=1
	v_fma_f32 v32, |v21|, s28, v27
	v_fma_f32 v32, |v21|, v32, s29
	;; [unrolled: 1-line block ×6, first 2 shown]
	v_fma_f32 v32, |v21|, v32, |v21|
	v_mul_f32_e32 v33, 0xbfb8aa3b, v32
	v_fma_f32 v34, v32, s35, -v33
	v_rndne_f32_e32 v35, v33
	v_fmac_f32_e32 v34, 0xb2a5705f, v32
	v_sub_f32_e32 v33, v33, v35
	v_add_f32_e32 v33, v33, v34
	v_cvt_i32_f32_e32 v34, v35
	v_exp_f32_e32 v33, v33
	v_cmp_nlt_f32_e32 vcc, s36, v32
	v_ldexp_f32 v33, v33, v34
	s_nop 0
	v_cndmask_b32_e32 v33, 0, v33, vcc
	v_cmp_ngt_f32_e32 vcc, s37, v32
	s_nop 1
	v_cndmask_b32_e32 v32, v28, v33, vcc
	v_sub_f32_e32 v32, 1.0, v32
.LBB402_15:                             ;   in Loop: Header=BB402_9 Depth=1
	s_andn2_saveexec_b64 s[14:15], s[14:15]
; %bb.16:                               ;   in Loop: Header=BB402_9 Depth=1
	v_mul_f32_e32 v32, v21, v21
	v_fmamk_f32 v33, v32, 0xba1345e1, v26
	v_fmaak_f32 v33, v32, v33, 0xbcdac9b8
	v_fmaak_f32 v33, v32, v33, 0x3de703be
	;; [unrolled: 1-line block ×4, first 2 shown]
	v_fma_f32 v32, |v21|, v32, |v21|
; %bb.17:                               ;   in Loop: Header=BB402_9 Depth=1
	s_or_b64 exec, exec, s[14:15]
	v_bfi_b32 v30, s38, v31, v30
	v_mul_f32_e32 v20, 0.5, v20
	v_add_f32_e32 v30, 1.0, v30
	v_mul_f32_e32 v20, v20, v30
	v_and_b32_e32 v30, 0xffff0000, v0
	v_lshlrev_b32_e32 v0, 16, v0
	s_waitcnt vmcnt(1)
	v_add_f32_e32 v16, v16, v0
	v_mul_f32_e32 v0, 0.5, v8
	v_bfi_b32 v8, s38, v32, v21
	v_add_f32_e32 v8, 1.0, v8
	v_mul_f32_e32 v21, v0, v8
	v_lshlrev_b32_e32 v0, 16, v9
	v_add_f32_e32 v0, v22, v0
	v_mul_f32_e32 v8, 0x3f3504f3, v0
	v_add_f32_e32 v17, v17, v30
	v_cmp_nlt_f32_e64 s[14:15], |v8|, 1.0
	;;#ASMSTART
	v_pk_mul_f32 v[16:17], v[20:21], v[16:17]
	;;#ASMEND
                                        ; implicit-def: $vgpr20
	s_and_saveexec_b64 s[40:41], s[14:15]
	s_xor_b64 s[14:15], exec, s[40:41]
	s_cbranch_execz .LBB402_19
; %bb.18:                               ;   in Loop: Header=BB402_9 Depth=1
	v_fma_f32 v20, |v8|, s28, v27
	v_fma_f32 v20, |v8|, v20, s29
	;; [unrolled: 1-line block ×6, first 2 shown]
	v_fma_f32 v20, |v8|, v20, |v8|
	v_mul_f32_e32 v21, 0xbfb8aa3b, v20
	v_fma_f32 v22, v20, s35, -v21
	v_rndne_f32_e32 v30, v21
	v_fmac_f32_e32 v22, 0xb2a5705f, v20
	v_sub_f32_e32 v21, v21, v30
	v_add_f32_e32 v21, v21, v22
	v_cvt_i32_f32_e32 v22, v30
	v_exp_f32_e32 v21, v21
	v_cmp_nlt_f32_e32 vcc, s36, v20
	v_ldexp_f32 v21, v21, v22
	s_nop 0
	v_cndmask_b32_e32 v21, 0, v21, vcc
	v_cmp_ngt_f32_e32 vcc, s37, v20
	s_nop 1
	v_cndmask_b32_e32 v20, v28, v21, vcc
	v_sub_f32_e32 v20, 1.0, v20
.LBB402_19:                             ;   in Loop: Header=BB402_9 Depth=1
	s_andn2_saveexec_b64 s[14:15], s[14:15]
; %bb.20:                               ;   in Loop: Header=BB402_9 Depth=1
	v_mul_f32_e32 v20, v8, v8
	v_fmamk_f32 v21, v20, 0xba1345e1, v26
	v_fmaak_f32 v21, v20, v21, 0xbcdac9b8
	v_fmaak_f32 v21, v20, v21, 0x3de703be
	;; [unrolled: 1-line block ×4, first 2 shown]
	v_fma_f32 v20, |v8|, v20, |v8|
; %bb.21:                               ;   in Loop: Header=BB402_9 Depth=1
	s_or_b64 exec, exec, s[14:15]
	v_and_b32_e32 v9, 0xffff0000, v9
	v_add_f32_e32 v9, v23, v9
	v_mul_f32_e32 v21, 0x3f3504f3, v9
	v_cmp_nlt_f32_e64 s[14:15], |v21|, 1.0
                                        ; implicit-def: $vgpr22
	s_and_saveexec_b64 s[40:41], s[14:15]
	s_xor_b64 s[14:15], exec, s[40:41]
	s_cbranch_execz .LBB402_23
; %bb.22:                               ;   in Loop: Header=BB402_9 Depth=1
	v_fma_f32 v22, |v21|, s28, v27
	v_fma_f32 v22, |v21|, v22, s29
	;; [unrolled: 1-line block ×6, first 2 shown]
	v_fma_f32 v22, |v21|, v22, |v21|
	v_mul_f32_e32 v23, 0xbfb8aa3b, v22
	v_fma_f32 v30, v22, s35, -v23
	v_rndne_f32_e32 v31, v23
	v_fmac_f32_e32 v30, 0xb2a5705f, v22
	v_sub_f32_e32 v23, v23, v31
	v_add_f32_e32 v23, v23, v30
	v_cvt_i32_f32_e32 v30, v31
	v_exp_f32_e32 v23, v23
	v_cmp_nlt_f32_e32 vcc, s36, v22
	v_ldexp_f32 v23, v23, v30
	s_nop 0
	v_cndmask_b32_e32 v23, 0, v23, vcc
	v_cmp_ngt_f32_e32 vcc, s37, v22
	s_nop 1
	v_cndmask_b32_e32 v22, v28, v23, vcc
	v_sub_f32_e32 v22, 1.0, v22
.LBB402_23:                             ;   in Loop: Header=BB402_9 Depth=1
	s_andn2_saveexec_b64 s[14:15], s[14:15]
; %bb.24:                               ;   in Loop: Header=BB402_9 Depth=1
	v_mul_f32_e32 v22, v21, v21
	v_fmamk_f32 v23, v22, 0xba1345e1, v26
	v_fmaak_f32 v23, v22, v23, 0xbcdac9b8
	v_fmaak_f32 v23, v22, v23, 0x3de703be
	;; [unrolled: 1-line block ×4, first 2 shown]
	v_fma_f32 v22, |v21|, v22, |v21|
; %bb.25:                               ;   in Loop: Header=BB402_9 Depth=1
	s_or_b64 exec, exec, s[14:15]
	v_bfi_b32 v8, s38, v20, v8
	v_mul_f32_e32 v0, 0.5, v0
	v_add_f32_e32 v8, 1.0, v8
	v_mul_f32_e32 v0, v0, v8
	v_and_b32_e32 v8, 0xffff0000, v1
	v_add_f32_e32 v19, v19, v8
	v_lshlrev_b32_e32 v1, 16, v1
	v_bfi_b32 v8, s38, v22, v21
	v_add_f32_e32 v18, v18, v1
	v_mul_f32_e32 v1, 0.5, v9
	v_add_f32_e32 v8, 1.0, v8
	v_mul_f32_e32 v1, v1, v8
	v_lshlrev_b32_e32 v8, 16, v10
	v_add_f32_e32 v8, v12, v8
	v_mul_f32_e32 v9, 0x3f3504f3, v8
	v_cmp_nlt_f32_e64 s[14:15], |v9|, 1.0
	;;#ASMSTART
	v_pk_mul_f32 v[0:1], v[0:1], v[18:19]
	;;#ASMEND
                                        ; implicit-def: $vgpr12
	s_and_saveexec_b64 s[40:41], s[14:15]
	s_xor_b64 s[14:15], exec, s[40:41]
	s_cbranch_execz .LBB402_27
; %bb.26:                               ;   in Loop: Header=BB402_9 Depth=1
	v_fma_f32 v12, |v9|, s28, v27
	v_fma_f32 v12, |v9|, v12, s29
	;; [unrolled: 1-line block ×6, first 2 shown]
	v_fma_f32 v12, |v9|, v12, |v9|
	v_mul_f32_e32 v18, 0xbfb8aa3b, v12
	v_fma_f32 v19, v12, s35, -v18
	v_rndne_f32_e32 v20, v18
	v_fmac_f32_e32 v19, 0xb2a5705f, v12
	v_sub_f32_e32 v18, v18, v20
	v_add_f32_e32 v18, v18, v19
	v_cvt_i32_f32_e32 v19, v20
	v_exp_f32_e32 v18, v18
	v_cmp_nlt_f32_e32 vcc, s36, v12
	v_ldexp_f32 v18, v18, v19
	s_nop 0
	v_cndmask_b32_e32 v18, 0, v18, vcc
	v_cmp_ngt_f32_e32 vcc, s37, v12
	s_nop 1
	v_cndmask_b32_e32 v12, v28, v18, vcc
	v_sub_f32_e32 v12, 1.0, v12
.LBB402_27:                             ;   in Loop: Header=BB402_9 Depth=1
	s_andn2_saveexec_b64 s[14:15], s[14:15]
; %bb.28:                               ;   in Loop: Header=BB402_9 Depth=1
	v_mul_f32_e32 v12, v9, v9
	v_fmamk_f32 v18, v12, 0xba1345e1, v26
	v_fmaak_f32 v18, v12, v18, 0xbcdac9b8
	v_fmaak_f32 v18, v12, v18, 0x3de703be
	;; [unrolled: 1-line block ×4, first 2 shown]
	v_fma_f32 v12, |v9|, v12, |v9|
; %bb.29:                               ;   in Loop: Header=BB402_9 Depth=1
	s_or_b64 exec, exec, s[14:15]
	v_and_b32_e32 v10, 0xffff0000, v10
	v_add_f32_e32 v10, v13, v10
	v_mul_f32_e32 v13, 0x3f3504f3, v10
	v_cmp_nlt_f32_e64 s[14:15], |v13|, 1.0
                                        ; implicit-def: $vgpr18
	s_and_saveexec_b64 s[40:41], s[14:15]
	s_xor_b64 s[14:15], exec, s[40:41]
	s_cbranch_execz .LBB402_31
; %bb.30:                               ;   in Loop: Header=BB402_9 Depth=1
	v_fma_f32 v18, |v13|, s28, v27
	v_fma_f32 v18, |v13|, v18, s29
	v_fma_f32 v18, |v13|, v18, s30
	v_fma_f32 v18, |v13|, v18, s31
	v_fma_f32 v18, |v13|, v18, s33
	v_fma_f32 v18, |v13|, v18, s34
	v_fma_f32 v18, |v13|, v18, |v13|
	v_mul_f32_e32 v19, 0xbfb8aa3b, v18
	v_fma_f32 v20, v18, s35, -v19
	v_rndne_f32_e32 v21, v19
	v_fmac_f32_e32 v20, 0xb2a5705f, v18
	v_sub_f32_e32 v19, v19, v21
	v_add_f32_e32 v19, v19, v20
	v_cvt_i32_f32_e32 v20, v21
	v_exp_f32_e32 v19, v19
	v_cmp_nlt_f32_e32 vcc, s36, v18
	v_ldexp_f32 v19, v19, v20
	s_nop 0
	v_cndmask_b32_e32 v19, 0, v19, vcc
	v_cmp_ngt_f32_e32 vcc, s37, v18
	s_nop 1
	v_cndmask_b32_e32 v18, v28, v19, vcc
	v_sub_f32_e32 v18, 1.0, v18
.LBB402_31:                             ;   in Loop: Header=BB402_9 Depth=1
	s_andn2_saveexec_b64 s[14:15], s[14:15]
; %bb.32:                               ;   in Loop: Header=BB402_9 Depth=1
	v_mul_f32_e32 v18, v13, v13
	v_fmamk_f32 v19, v18, 0xba1345e1, v26
	v_fmaak_f32 v19, v18, v19, 0xbcdac9b8
	v_fmaak_f32 v19, v18, v19, 0x3de703be
	;; [unrolled: 1-line block ×4, first 2 shown]
	v_fma_f32 v18, |v13|, v18, |v13|
; %bb.33:                               ;   in Loop: Header=BB402_9 Depth=1
	s_or_b64 exec, exec, s[14:15]
	v_bfi_b32 v9, s38, v12, v9
	v_mul_f32_e32 v8, 0.5, v8
	v_add_f32_e32 v9, 1.0, v9
	v_mul_f32_e32 v8, v8, v9
	v_and_b32_e32 v9, 0xffff0000, v2
	s_waitcnt vmcnt(0)
	v_add_f32_e32 v5, v5, v9
	v_lshlrev_b32_e32 v2, 16, v2
	v_bfi_b32 v9, s38, v18, v13
	v_add_f32_e32 v4, v4, v2
	v_mul_f32_e32 v2, 0.5, v10
	v_add_f32_e32 v9, 1.0, v9
	v_mul_f32_e32 v9, v2, v9
	v_lshlrev_b32_e32 v2, 16, v11
	v_add_f32_e32 v2, v14, v2
	;;#ASMSTART
	v_pk_mul_f32 v[4:5], v[8:9], v[4:5]
	;;#ASMEND
	v_mul_f32_e32 v8, 0x3f3504f3, v2
	v_cmp_nlt_f32_e64 s[14:15], |v8|, 1.0
                                        ; implicit-def: $vgpr9
	s_and_saveexec_b64 s[40:41], s[14:15]
	s_xor_b64 s[14:15], exec, s[40:41]
	s_cbranch_execz .LBB402_35
; %bb.34:                               ;   in Loop: Header=BB402_9 Depth=1
	v_fma_f32 v9, |v8|, s28, v27
	v_fma_f32 v9, |v8|, v9, s29
	;; [unrolled: 1-line block ×6, first 2 shown]
	v_fma_f32 v9, |v8|, v9, |v8|
	v_mul_f32_e32 v10, 0xbfb8aa3b, v9
	v_fma_f32 v12, v9, s35, -v10
	v_rndne_f32_e32 v13, v10
	v_fmac_f32_e32 v12, 0xb2a5705f, v9
	v_sub_f32_e32 v10, v10, v13
	v_add_f32_e32 v10, v10, v12
	v_cvt_i32_f32_e32 v12, v13
	v_exp_f32_e32 v10, v10
	v_cmp_nlt_f32_e32 vcc, s36, v9
	v_ldexp_f32 v10, v10, v12
	s_nop 0
	v_cndmask_b32_e32 v10, 0, v10, vcc
	v_cmp_ngt_f32_e32 vcc, s37, v9
	s_nop 1
	v_cndmask_b32_e32 v9, v28, v10, vcc
	v_sub_f32_e32 v9, 1.0, v9
.LBB402_35:                             ;   in Loop: Header=BB402_9 Depth=1
	s_andn2_saveexec_b64 s[14:15], s[14:15]
; %bb.36:                               ;   in Loop: Header=BB402_9 Depth=1
	v_mul_f32_e32 v9, v8, v8
	v_fmamk_f32 v10, v9, 0xba1345e1, v26
	v_fmaak_f32 v10, v9, v10, 0xbcdac9b8
	v_fmaak_f32 v10, v9, v10, 0x3de703be
	;; [unrolled: 1-line block ×4, first 2 shown]
	v_fma_f32 v9, |v8|, v9, |v8|
; %bb.37:                               ;   in Loop: Header=BB402_9 Depth=1
	s_or_b64 exec, exec, s[14:15]
	v_and_b32_e32 v10, 0xffff0000, v11
	v_add_f32_e32 v10, v15, v10
	v_mul_f32_e32 v11, 0x3f3504f3, v10
	v_cmp_nlt_f32_e64 s[14:15], |v11|, 1.0
                                        ; implicit-def: $vgpr12
	s_and_saveexec_b64 s[40:41], s[14:15]
	s_xor_b64 s[14:15], exec, s[40:41]
	s_cbranch_execz .LBB402_39
; %bb.38:                               ;   in Loop: Header=BB402_9 Depth=1
	v_fma_f32 v12, |v11|, s28, v27
	v_fma_f32 v12, |v11|, v12, s29
	;; [unrolled: 1-line block ×6, first 2 shown]
	v_fma_f32 v12, |v11|, v12, |v11|
	v_mul_f32_e32 v13, 0xbfb8aa3b, v12
	v_fma_f32 v14, v12, s35, -v13
	v_rndne_f32_e32 v15, v13
	v_fmac_f32_e32 v14, 0xb2a5705f, v12
	v_sub_f32_e32 v13, v13, v15
	v_add_f32_e32 v13, v13, v14
	v_cvt_i32_f32_e32 v14, v15
	v_exp_f32_e32 v13, v13
	v_cmp_nlt_f32_e32 vcc, s36, v12
	v_ldexp_f32 v13, v13, v14
	s_nop 0
	v_cndmask_b32_e32 v13, 0, v13, vcc
	v_cmp_ngt_f32_e32 vcc, s37, v12
	s_nop 1
	v_cndmask_b32_e32 v12, v28, v13, vcc
	v_sub_f32_e32 v12, 1.0, v12
.LBB402_39:                             ;   in Loop: Header=BB402_9 Depth=1
	s_andn2_saveexec_b64 s[14:15], s[14:15]
	s_cbranch_execz .LBB402_8
; %bb.40:                               ;   in Loop: Header=BB402_9 Depth=1
	v_mul_f32_e32 v12, v11, v11
	v_fmamk_f32 v13, v12, 0xba1345e1, v26
	v_fmaak_f32 v13, v12, v13, 0xbcdac9b8
	v_fmaak_f32 v13, v12, v13, 0x3de703be
	v_fmaak_f32 v13, v12, v13, 0xbec09330
	v_fmaak_f32 v12, v12, v13, 0x3e0375d0
	v_fma_f32 v12, |v11|, v12, |v11|
	s_branch .LBB402_8
.LBB402_41:
	s_endpgm
	.section	.rodata,"a",@progbits
	.p2align	6, 0x0
	.amdhsa_kernel _ZN5aiter23act_and_mul_bias_kernelIttafTnPFfRKT2_EXadL_ZNS_11gelu_kernelIfEEfRKT_EELi8EEEvPT0_PS8_PKT1_PS2_il
		.amdhsa_group_segment_fixed_size 0
		.amdhsa_private_segment_fixed_size 0
		.amdhsa_kernarg_size 304
		.amdhsa_user_sgpr_count 2
		.amdhsa_user_sgpr_dispatch_ptr 0
		.amdhsa_user_sgpr_queue_ptr 0
		.amdhsa_user_sgpr_kernarg_segment_ptr 1
		.amdhsa_user_sgpr_dispatch_id 0
		.amdhsa_user_sgpr_kernarg_preload_length 0
		.amdhsa_user_sgpr_kernarg_preload_offset 0
		.amdhsa_user_sgpr_private_segment_size 0
		.amdhsa_uses_dynamic_stack 0
		.amdhsa_enable_private_segment 0
		.amdhsa_system_sgpr_workgroup_id_x 1
		.amdhsa_system_sgpr_workgroup_id_y 0
		.amdhsa_system_sgpr_workgroup_id_z 0
		.amdhsa_system_sgpr_workgroup_info 0
		.amdhsa_system_vgpr_workitem_id 0
		.amdhsa_next_free_vgpr 36
		.amdhsa_next_free_sgpr 42
		.amdhsa_accum_offset 36
		.amdhsa_reserve_vcc 1
		.amdhsa_float_round_mode_32 0
		.amdhsa_float_round_mode_16_64 0
		.amdhsa_float_denorm_mode_32 3
		.amdhsa_float_denorm_mode_16_64 3
		.amdhsa_dx10_clamp 1
		.amdhsa_ieee_mode 1
		.amdhsa_fp16_overflow 0
		.amdhsa_tg_split 0
		.amdhsa_exception_fp_ieee_invalid_op 0
		.amdhsa_exception_fp_denorm_src 0
		.amdhsa_exception_fp_ieee_div_zero 0
		.amdhsa_exception_fp_ieee_overflow 0
		.amdhsa_exception_fp_ieee_underflow 0
		.amdhsa_exception_fp_ieee_inexact 0
		.amdhsa_exception_int_div_zero 0
	.end_amdhsa_kernel
	.section	.text._ZN5aiter23act_and_mul_bias_kernelIttafTnPFfRKT2_EXadL_ZNS_11gelu_kernelIfEEfRKT_EELi8EEEvPT0_PS8_PKT1_PS2_il,"axG",@progbits,_ZN5aiter23act_and_mul_bias_kernelIttafTnPFfRKT2_EXadL_ZNS_11gelu_kernelIfEEfRKT_EELi8EEEvPT0_PS8_PKT1_PS2_il,comdat
.Lfunc_end402:
	.size	_ZN5aiter23act_and_mul_bias_kernelIttafTnPFfRKT2_EXadL_ZNS_11gelu_kernelIfEEfRKT_EELi8EEEvPT0_PS8_PKT1_PS2_il, .Lfunc_end402-_ZN5aiter23act_and_mul_bias_kernelIttafTnPFfRKT2_EXadL_ZNS_11gelu_kernelIfEEfRKT_EELi8EEEvPT0_PS8_PKT1_PS2_il
                                        ; -- End function
	.section	.AMDGPU.csdata,"",@progbits
; Kernel info:
; codeLenInByte = 2940
; NumSgprs: 48
; NumVgprs: 36
; NumAgprs: 0
; TotalNumVgprs: 36
; ScratchSize: 0
; MemoryBound: 0
; FloatMode: 240
; IeeeMode: 1
; LDSByteSize: 0 bytes/workgroup (compile time only)
; SGPRBlocks: 5
; VGPRBlocks: 4
; NumSGPRsForWavesPerEU: 48
; NumVGPRsForWavesPerEU: 36
; AccumOffset: 36
; Occupancy: 8
; WaveLimiterHint : 0
; COMPUTE_PGM_RSRC2:SCRATCH_EN: 0
; COMPUTE_PGM_RSRC2:USER_SGPR: 2
; COMPUTE_PGM_RSRC2:TRAP_HANDLER: 0
; COMPUTE_PGM_RSRC2:TGID_X_EN: 1
; COMPUTE_PGM_RSRC2:TGID_Y_EN: 0
; COMPUTE_PGM_RSRC2:TGID_Z_EN: 0
; COMPUTE_PGM_RSRC2:TIDIG_COMP_CNT: 0
; COMPUTE_PGM_RSRC3_GFX90A:ACCUM_OFFSET: 8
; COMPUTE_PGM_RSRC3_GFX90A:TG_SPLIT: 0
	.section	.text._ZN5aiter23act_and_mul_bias_kernelIttafTnPFfRKT2_EXadL_ZNS_11gelu_kernelIfEEfRKT_EELi4EEEvPT0_PS8_PKT1_PS2_il,"axG",@progbits,_ZN5aiter23act_and_mul_bias_kernelIttafTnPFfRKT2_EXadL_ZNS_11gelu_kernelIfEEfRKT_EELi4EEEvPT0_PS8_PKT1_PS2_il,comdat
	.protected	_ZN5aiter23act_and_mul_bias_kernelIttafTnPFfRKT2_EXadL_ZNS_11gelu_kernelIfEEfRKT_EELi4EEEvPT0_PS8_PKT1_PS2_il ; -- Begin function _ZN5aiter23act_and_mul_bias_kernelIttafTnPFfRKT2_EXadL_ZNS_11gelu_kernelIfEEfRKT_EELi4EEEvPT0_PS8_PKT1_PS2_il
	.globl	_ZN5aiter23act_and_mul_bias_kernelIttafTnPFfRKT2_EXadL_ZNS_11gelu_kernelIfEEfRKT_EELi4EEEvPT0_PS8_PKT1_PS2_il
	.p2align	8
	.type	_ZN5aiter23act_and_mul_bias_kernelIttafTnPFfRKT2_EXadL_ZNS_11gelu_kernelIfEEfRKT_EELi4EEEvPT0_PS8_PKT1_PS2_il,@function
_ZN5aiter23act_and_mul_bias_kernelIttafTnPFfRKT2_EXadL_ZNS_11gelu_kernelIfEEfRKT_EELi4EEEvPT0_PS8_PKT1_PS2_il: ; @_ZN5aiter23act_and_mul_bias_kernelIttafTnPFfRKT2_EXadL_ZNS_11gelu_kernelIfEEfRKT_EELi4EEEvPT0_PS8_PKT1_PS2_il
; %bb.0:
	s_load_dwordx2 s[4:5], s[0:1], 0x10
	s_load_dword s24, s[0:1], 0x20
	s_load_dwordx2 s[6:7], s[0:1], 0x28
	v_mov_b32_e32 v1, s2
	s_mov_b32 s9, 0
	s_waitcnt lgkmcnt(0)
	global_load_ubyte v1, v1, s[4:5]
	s_add_i32 s3, s24, 1
	v_mov_b64_e32 v[2:3], s[6:7]
	s_lshr_b32 s6, s3, 31
	s_add_i32 s3, s3, s6
	s_load_dwordx2 s[4:5], s[0:1], 0x0
	s_lshl_b32 s3, s3, 1
	s_ashr_i32 s25, s24, 31
	s_and_b32 s6, s3, -4
	s_mul_hi_u32 s8, s24, s2
	s_mul_i32 s7, s25, s2
	s_mul_i32 s12, s24, s2
	s_add_i32 s13, s8, s7
	s_lshl_b64 s[12:13], s[12:13], 1
	s_mov_b64 s[10:11], -1
	v_lshlrev_b32_e32 v8, 2, v0
	s_waitcnt vmcnt(0)
	v_readfirstlane_b32 s3, v1
	s_nop 1
	v_mov_b32_e32 v4, s3
	s_sext_i32_i8 s3, s3
	v_readfirstlane_b32 s8, v4
	s_bfe_i64 s[8:9], s[8:9], 0x80000
	s_waitcnt lgkmcnt(0)
	s_add_u32 s4, s4, s12
	s_addc_u32 s5, s5, s13
	s_and_b32 s5, s5, 0xffff
	s_cmp_gt_i32 s3, -1
	v_cmp_lt_i64_e32 vcc, s[8:9], v[2:3]
	s_cselect_b64 s[12:13], -1, 0
	s_and_b64 s[12:13], s[12:13], vcc
	s_and_b64 vcc, exec, s[12:13]
	s_cbranch_vccnz .LBB403_5
; %bb.1:
	v_cmp_gt_i32_e32 vcc, s24, v8
	s_and_saveexec_b64 s[10:11], vcc
	s_cbranch_execz .LBB403_4
; %bb.2:
	s_load_dword s3, s[0:1], 0x3c
	v_mov_b32_e32 v9, 0
	s_mov_b32 s13, 0
	v_lshlrev_b32_e32 v4, 3, v0
	s_mov_b64 s[14:15], 0
	s_waitcnt lgkmcnt(0)
	s_and_b32 s3, s3, 0xffff
	s_lshl_b32 s12, s3, 2
	s_lshl_b32 s3, s3, 3
	s_mov_b32 s7, 0x20000
	v_mov_b32_e32 v0, v9
	v_mov_b32_e32 v1, v9
	v_mov_b64_e32 v[2:3], v[8:9]
.LBB403_3:                              ; =>This Inner Loop Header: Depth=1
	v_lshl_add_u64 v[2:3], s[12:13], 0, v[2:3]
	v_cmp_le_i64_e32 vcc, s[24:25], v[2:3]
	buffer_store_dwordx2 v[0:1], v4, s[4:7], 0 offen
	s_or_b64 s[14:15], vcc, s[14:15]
	v_add_u32_e32 v4, s3, v4
	s_andn2_b64 exec, exec, s[14:15]
	s_cbranch_execnz .LBB403_3
.LBB403_4:
	s_or_b64 exec, exec, s[10:11]
	s_mov_b64 s[10:11], 0
.LBB403_5:
	s_andn2_b64 vcc, exec, s[10:11]
	s_cbranch_vccnz .LBB403_25
; %bb.6:
	v_cmp_gt_i32_e32 vcc, s24, v8
	s_and_saveexec_b64 s[10:11], vcc
	s_cbranch_execz .LBB403_25
; %bb.7:
	s_load_dwordx2 s[14:15], s[0:1], 0x8
	s_load_dwordx2 s[10:11], s[0:1], 0x18
	s_mul_hi_i32 s9, s24, s8
	s_mul_i32 s8, s24, s8
	s_lshl_b64 s[8:9], s[8:9], 3
	s_mul_i32 s16, s2, s25
	s_waitcnt lgkmcnt(0)
	s_add_u32 s8, s10, s8
	s_addc_u32 s7, s11, s9
	s_lshl_b64 s[10:11], s[24:25], 2
	s_add_u32 s12, s8, s10
	s_mul_hi_u32 s17, s2, s24
	s_addc_u32 s13, s7, s11
	s_add_i32 s17, s17, s16
	s_mul_i32 s16, s2, s24
	s_lshl_b32 s10, s24, 2
	s_and_b32 s9, s7, 0xffff
	s_and_b32 s13, s13, 0xffff
	s_lshl_b64 s[16:17], s[16:17], 2
	s_add_u32 s16, s14, s16
	s_addc_u32 s2, s15, s17
	s_lshl_b64 s[14:15], s[24:25], 1
	s_add_u32 s20, s16, s14
	s_addc_u32 s14, s2, s15
	s_and_b32 s17, s2, 0xffff
	s_and_b32 s21, s14, 0xffff
	s_mov_b32 s7, 0x20000
	s_add_u32 s0, s0, 48
	s_mov_b32 s3, 0
	s_mov_b32 s11, s7
	s_mov_b64 s[22:23], s[6:7]
	v_mov_b32_e32 v9, 0
	s_addc_u32 s1, s1, 0
	s_mov_b64 s[26:27], 0
	s_mov_b32 s18, s6
	s_mov_b32 s19, s7
	;; [unrolled: 1-line block ×11, first 2 shown]
	v_mov_b32_e32 v14, 0x3ba10414
	s_brev_b32 s38, -2
	s_mov_b32 s39, 0x7060302
	v_mov_b32_e32 v15, 0xb9c68948
	v_mov_b32_e32 v16, 0x7f800000
                                        ; implicit-def: $vgpr0
                                        ; implicit-def: $vgpr0
                                        ; implicit-def: $vgpr0
                                        ; implicit-def: $vgpr0
	s_branch .LBB403_9
.LBB403_8:                              ;   in Loop: Header=BB403_9 Depth=1
	s_or_b64 exec, exec, s[14:15]
	v_bfi_b32 v5, s38, v6, v5
	v_mul_f32_e32 v4, 0.5, v4
	v_add_f32_e32 v5, 1.0, v5
	v_mul_f32_e32 v4, v4, v5
	v_and_b32_e32 v5, 0xffff0000, v11
	v_add_f32_e32 v3, v3, v5
	v_lshlrev_b32_e32 v5, 16, v11
	v_bfi_b32 v6, s38, v12, v10
	v_add_f32_e32 v2, v2, v5
	v_mul_f32_e32 v5, 0.5, v7
	v_add_f32_e32 v6, 1.0, v6
	v_mul_f32_e32 v5, v5, v6
	;;#ASMSTART
	v_pk_mul_f32 v[2:3], v[4:5], v[2:3]
	;;#ASMEND
	s_load_dword s2, s[0:1], 0xc
	v_perm_b32 v3, v3, v2, s39
	v_perm_b32 v2, v1, v0, s39
	buffer_store_dwordx2 v[2:3], v17, s[4:7], 0 offen
	s_waitcnt lgkmcnt(0)
	s_and_b32 s2, s2, 0xffff
	s_lshl_b32 s2, s2, 2
	v_lshl_add_u64 v[8:9], s[2:3], 0, v[8:9]
	v_cmp_le_i64_e32 vcc, s[24:25], v[8:9]
	s_or_b64 s[26:27], vcc, s[26:27]
	s_andn2_b64 exec, exec, s[26:27]
	s_cbranch_execz .LBB403_25
.LBB403_9:                              ; =>This Inner Loop Header: Depth=1
	v_lshlrev_b32_e32 v17, 1, v8
	v_lshlrev_b32_e32 v0, 2, v8
	buffer_load_dwordx2 v[12:13], v17, s[16:19], 0 offen
	buffer_load_dwordx2 v[10:11], v17, s[20:23], 0 offen
	buffer_load_dwordx4 v[4:7], v0, s[8:11], 0 offen
	s_mov_b32 s14, s10
	s_mov_b32 s15, s11
	buffer_load_dwordx4 v[0:3], v0, s[12:15], 0 offen
                                        ; implicit-def: $vgpr19
	s_waitcnt vmcnt(3)
	v_lshlrev_b32_e32 v18, 16, v12
	s_waitcnt vmcnt(1)
	v_add_f32_e32 v4, v4, v18
	v_mul_f32_e32 v18, 0x3f3504f3, v4
	v_cmp_nlt_f32_e64 s[14:15], |v18|, 1.0
	s_and_saveexec_b64 s[40:41], s[14:15]
	s_xor_b64 s[14:15], exec, s[40:41]
	s_cbranch_execz .LBB403_11
; %bb.10:                               ;   in Loop: Header=BB403_9 Depth=1
	v_fma_f32 v19, |v18|, s28, v15
	v_fma_f32 v19, |v18|, v19, s29
	v_fma_f32 v19, |v18|, v19, s30
	v_fma_f32 v19, |v18|, v19, s31
	v_fma_f32 v19, |v18|, v19, s33
	v_fma_f32 v19, |v18|, v19, s34
	v_fma_f32 v19, |v18|, v19, |v18|
	v_mul_f32_e32 v20, 0xbfb8aa3b, v19
	v_fma_f32 v21, v19, s35, -v20
	v_rndne_f32_e32 v22, v20
	v_fmac_f32_e32 v21, 0xb2a5705f, v19
	v_sub_f32_e32 v20, v20, v22
	v_add_f32_e32 v20, v20, v21
	v_cvt_i32_f32_e32 v21, v22
	v_exp_f32_e32 v20, v20
	v_cmp_nlt_f32_e32 vcc, s36, v19
	v_ldexp_f32 v20, v20, v21
	s_nop 0
	v_cndmask_b32_e32 v20, 0, v20, vcc
	v_cmp_ngt_f32_e32 vcc, s37, v19
	s_nop 1
	v_cndmask_b32_e32 v19, v16, v20, vcc
	v_sub_f32_e32 v19, 1.0, v19
.LBB403_11:                             ;   in Loop: Header=BB403_9 Depth=1
	s_andn2_saveexec_b64 s[14:15], s[14:15]
; %bb.12:                               ;   in Loop: Header=BB403_9 Depth=1
	v_mul_f32_e32 v19, v18, v18
	v_fmamk_f32 v20, v19, 0xba1345e1, v14
	v_fmaak_f32 v20, v19, v20, 0xbcdac9b8
	v_fmaak_f32 v20, v19, v20, 0x3de703be
	v_fmaak_f32 v20, v19, v20, 0xbec09330
	v_fmaak_f32 v19, v19, v20, 0x3e0375d0
	v_fma_f32 v19, |v18|, v19, |v18|
; %bb.13:                               ;   in Loop: Header=BB403_9 Depth=1
	s_or_b64 exec, exec, s[14:15]
	v_and_b32_e32 v12, 0xffff0000, v12
	v_add_f32_e32 v5, v5, v12
	v_mul_f32_e32 v12, 0x3f3504f3, v5
	v_cmp_nlt_f32_e64 s[14:15], |v12|, 1.0
                                        ; implicit-def: $vgpr20
	s_and_saveexec_b64 s[40:41], s[14:15]
	s_xor_b64 s[14:15], exec, s[40:41]
	s_cbranch_execz .LBB403_15
; %bb.14:                               ;   in Loop: Header=BB403_9 Depth=1
	v_fma_f32 v20, |v12|, s28, v15
	v_fma_f32 v20, |v12|, v20, s29
	;; [unrolled: 1-line block ×6, first 2 shown]
	v_fma_f32 v20, |v12|, v20, |v12|
	v_mul_f32_e32 v21, 0xbfb8aa3b, v20
	v_fma_f32 v22, v20, s35, -v21
	v_rndne_f32_e32 v23, v21
	v_fmac_f32_e32 v22, 0xb2a5705f, v20
	v_sub_f32_e32 v21, v21, v23
	v_add_f32_e32 v21, v21, v22
	v_cvt_i32_f32_e32 v22, v23
	v_exp_f32_e32 v21, v21
	v_cmp_nlt_f32_e32 vcc, s36, v20
	v_ldexp_f32 v21, v21, v22
	s_nop 0
	v_cndmask_b32_e32 v21, 0, v21, vcc
	v_cmp_ngt_f32_e32 vcc, s37, v20
	s_nop 1
	v_cndmask_b32_e32 v20, v16, v21, vcc
	v_sub_f32_e32 v20, 1.0, v20
.LBB403_15:                             ;   in Loop: Header=BB403_9 Depth=1
	s_andn2_saveexec_b64 s[14:15], s[14:15]
; %bb.16:                               ;   in Loop: Header=BB403_9 Depth=1
	v_mul_f32_e32 v20, v12, v12
	v_fmamk_f32 v21, v20, 0xba1345e1, v14
	v_fmaak_f32 v21, v20, v21, 0xbcdac9b8
	v_fmaak_f32 v21, v20, v21, 0x3de703be
	;; [unrolled: 1-line block ×4, first 2 shown]
	v_fma_f32 v20, |v12|, v20, |v12|
; %bb.17:                               ;   in Loop: Header=BB403_9 Depth=1
	s_or_b64 exec, exec, s[14:15]
	v_bfi_b32 v18, s38, v19, v18
	v_mul_f32_e32 v4, 0.5, v4
	v_add_f32_e32 v18, 1.0, v18
	v_mul_f32_e32 v4, v4, v18
	v_and_b32_e32 v18, 0xffff0000, v10
	v_lshlrev_b32_e32 v10, 16, v10
	s_waitcnt vmcnt(0)
	v_add_f32_e32 v0, v0, v10
	v_bfi_b32 v10, s38, v20, v12
	v_add_f32_e32 v1, v1, v18
	v_mul_f32_e32 v5, 0.5, v5
	v_add_f32_e32 v10, 1.0, v10
	v_mul_f32_e32 v5, v5, v10
	;;#ASMSTART
	v_pk_mul_f32 v[0:1], v[4:5], v[0:1]
	;;#ASMEND
	v_lshlrev_b32_e32 v4, 16, v13
	v_add_f32_e32 v4, v6, v4
	v_mul_f32_e32 v5, 0x3f3504f3, v4
	v_cmp_nlt_f32_e64 s[14:15], |v5|, 1.0
                                        ; implicit-def: $vgpr6
	s_and_saveexec_b64 s[40:41], s[14:15]
	s_xor_b64 s[14:15], exec, s[40:41]
	s_cbranch_execz .LBB403_19
; %bb.18:                               ;   in Loop: Header=BB403_9 Depth=1
	v_fma_f32 v6, |v5|, s28, v15
	v_fma_f32 v6, |v5|, v6, s29
	;; [unrolled: 1-line block ×6, first 2 shown]
	v_fma_f32 v6, |v5|, v6, |v5|
	v_mul_f32_e32 v10, 0xbfb8aa3b, v6
	v_fma_f32 v12, v6, s35, -v10
	v_rndne_f32_e32 v18, v10
	v_fmac_f32_e32 v12, 0xb2a5705f, v6
	v_sub_f32_e32 v10, v10, v18
	v_add_f32_e32 v10, v10, v12
	v_cvt_i32_f32_e32 v12, v18
	v_exp_f32_e32 v10, v10
	v_cmp_nlt_f32_e32 vcc, s36, v6
	v_ldexp_f32 v10, v10, v12
	s_nop 0
	v_cndmask_b32_e32 v10, 0, v10, vcc
	v_cmp_ngt_f32_e32 vcc, s37, v6
	s_nop 1
	v_cndmask_b32_e32 v6, v16, v10, vcc
	v_sub_f32_e32 v6, 1.0, v6
.LBB403_19:                             ;   in Loop: Header=BB403_9 Depth=1
	s_andn2_saveexec_b64 s[14:15], s[14:15]
; %bb.20:                               ;   in Loop: Header=BB403_9 Depth=1
	v_mul_f32_e32 v6, v5, v5
	v_fmamk_f32 v10, v6, 0xba1345e1, v14
	v_fmaak_f32 v10, v6, v10, 0xbcdac9b8
	v_fmaak_f32 v10, v6, v10, 0x3de703be
	v_fmaak_f32 v10, v6, v10, 0xbec09330
	v_fmaak_f32 v6, v6, v10, 0x3e0375d0
	v_fma_f32 v6, |v5|, v6, |v5|
; %bb.21:                               ;   in Loop: Header=BB403_9 Depth=1
	s_or_b64 exec, exec, s[14:15]
	v_and_b32_e32 v10, 0xffff0000, v13
	v_add_f32_e32 v7, v7, v10
	v_mul_f32_e32 v10, 0x3f3504f3, v7
	v_cmp_nlt_f32_e64 s[14:15], |v10|, 1.0
                                        ; implicit-def: $vgpr12
	s_and_saveexec_b64 s[40:41], s[14:15]
	s_xor_b64 s[14:15], exec, s[40:41]
	s_cbranch_execz .LBB403_23
; %bb.22:                               ;   in Loop: Header=BB403_9 Depth=1
	v_fma_f32 v12, |v10|, s28, v15
	v_fma_f32 v12, |v10|, v12, s29
	;; [unrolled: 1-line block ×6, first 2 shown]
	v_fma_f32 v12, |v10|, v12, |v10|
	v_mul_f32_e32 v13, 0xbfb8aa3b, v12
	v_fma_f32 v18, v12, s35, -v13
	v_rndne_f32_e32 v19, v13
	v_fmac_f32_e32 v18, 0xb2a5705f, v12
	v_sub_f32_e32 v13, v13, v19
	v_add_f32_e32 v13, v13, v18
	v_cvt_i32_f32_e32 v18, v19
	v_exp_f32_e32 v13, v13
	v_cmp_nlt_f32_e32 vcc, s36, v12
	v_ldexp_f32 v13, v13, v18
	s_nop 0
	v_cndmask_b32_e32 v13, 0, v13, vcc
	v_cmp_ngt_f32_e32 vcc, s37, v12
	s_nop 1
	v_cndmask_b32_e32 v12, v16, v13, vcc
	v_sub_f32_e32 v12, 1.0, v12
.LBB403_23:                             ;   in Loop: Header=BB403_9 Depth=1
	s_andn2_saveexec_b64 s[14:15], s[14:15]
	s_cbranch_execz .LBB403_8
; %bb.24:                               ;   in Loop: Header=BB403_9 Depth=1
	v_mul_f32_e32 v12, v10, v10
	v_fmamk_f32 v13, v12, 0xba1345e1, v14
	v_fmaak_f32 v13, v12, v13, 0xbcdac9b8
	v_fmaak_f32 v13, v12, v13, 0x3de703be
	;; [unrolled: 1-line block ×4, first 2 shown]
	v_fma_f32 v12, |v10|, v12, |v10|
	s_branch .LBB403_8
.LBB403_25:
	s_endpgm
	.section	.rodata,"a",@progbits
	.p2align	6, 0x0
	.amdhsa_kernel _ZN5aiter23act_and_mul_bias_kernelIttafTnPFfRKT2_EXadL_ZNS_11gelu_kernelIfEEfRKT_EELi4EEEvPT0_PS8_PKT1_PS2_il
		.amdhsa_group_segment_fixed_size 0
		.amdhsa_private_segment_fixed_size 0
		.amdhsa_kernarg_size 304
		.amdhsa_user_sgpr_count 2
		.amdhsa_user_sgpr_dispatch_ptr 0
		.amdhsa_user_sgpr_queue_ptr 0
		.amdhsa_user_sgpr_kernarg_segment_ptr 1
		.amdhsa_user_sgpr_dispatch_id 0
		.amdhsa_user_sgpr_kernarg_preload_length 0
		.amdhsa_user_sgpr_kernarg_preload_offset 0
		.amdhsa_user_sgpr_private_segment_size 0
		.amdhsa_uses_dynamic_stack 0
		.amdhsa_enable_private_segment 0
		.amdhsa_system_sgpr_workgroup_id_x 1
		.amdhsa_system_sgpr_workgroup_id_y 0
		.amdhsa_system_sgpr_workgroup_id_z 0
		.amdhsa_system_sgpr_workgroup_info 0
		.amdhsa_system_vgpr_workitem_id 0
		.amdhsa_next_free_vgpr 24
		.amdhsa_next_free_sgpr 42
		.amdhsa_accum_offset 24
		.amdhsa_reserve_vcc 1
		.amdhsa_float_round_mode_32 0
		.amdhsa_float_round_mode_16_64 0
		.amdhsa_float_denorm_mode_32 3
		.amdhsa_float_denorm_mode_16_64 3
		.amdhsa_dx10_clamp 1
		.amdhsa_ieee_mode 1
		.amdhsa_fp16_overflow 0
		.amdhsa_tg_split 0
		.amdhsa_exception_fp_ieee_invalid_op 0
		.amdhsa_exception_fp_denorm_src 0
		.amdhsa_exception_fp_ieee_div_zero 0
		.amdhsa_exception_fp_ieee_overflow 0
		.amdhsa_exception_fp_ieee_underflow 0
		.amdhsa_exception_fp_ieee_inexact 0
		.amdhsa_exception_int_div_zero 0
	.end_amdhsa_kernel
	.section	.text._ZN5aiter23act_and_mul_bias_kernelIttafTnPFfRKT2_EXadL_ZNS_11gelu_kernelIfEEfRKT_EELi4EEEvPT0_PS8_PKT1_PS2_il,"axG",@progbits,_ZN5aiter23act_and_mul_bias_kernelIttafTnPFfRKT2_EXadL_ZNS_11gelu_kernelIfEEfRKT_EELi4EEEvPT0_PS8_PKT1_PS2_il,comdat
.Lfunc_end403:
	.size	_ZN5aiter23act_and_mul_bias_kernelIttafTnPFfRKT2_EXadL_ZNS_11gelu_kernelIfEEfRKT_EELi4EEEvPT0_PS8_PKT1_PS2_il, .Lfunc_end403-_ZN5aiter23act_and_mul_bias_kernelIttafTnPFfRKT2_EXadL_ZNS_11gelu_kernelIfEEfRKT_EELi4EEEvPT0_PS8_PKT1_PS2_il
                                        ; -- End function
	.section	.AMDGPU.csdata,"",@progbits
; Kernel info:
; codeLenInByte = 1824
; NumSgprs: 48
; NumVgprs: 24
; NumAgprs: 0
; TotalNumVgprs: 24
; ScratchSize: 0
; MemoryBound: 0
; FloatMode: 240
; IeeeMode: 1
; LDSByteSize: 0 bytes/workgroup (compile time only)
; SGPRBlocks: 5
; VGPRBlocks: 2
; NumSGPRsForWavesPerEU: 48
; NumVGPRsForWavesPerEU: 24
; AccumOffset: 24
; Occupancy: 8
; WaveLimiterHint : 0
; COMPUTE_PGM_RSRC2:SCRATCH_EN: 0
; COMPUTE_PGM_RSRC2:USER_SGPR: 2
; COMPUTE_PGM_RSRC2:TRAP_HANDLER: 0
; COMPUTE_PGM_RSRC2:TGID_X_EN: 1
; COMPUTE_PGM_RSRC2:TGID_Y_EN: 0
; COMPUTE_PGM_RSRC2:TGID_Z_EN: 0
; COMPUTE_PGM_RSRC2:TIDIG_COMP_CNT: 0
; COMPUTE_PGM_RSRC3_GFX90A:ACCUM_OFFSET: 5
; COMPUTE_PGM_RSRC3_GFX90A:TG_SPLIT: 0
	.section	.text._ZN5aiter23act_and_mul_bias_kernelIttafTnPFfRKT2_EXadL_ZNS_11gelu_kernelIfEEfRKT_EELi2EEEvPT0_PS8_PKT1_PS2_il,"axG",@progbits,_ZN5aiter23act_and_mul_bias_kernelIttafTnPFfRKT2_EXadL_ZNS_11gelu_kernelIfEEfRKT_EELi2EEEvPT0_PS8_PKT1_PS2_il,comdat
	.protected	_ZN5aiter23act_and_mul_bias_kernelIttafTnPFfRKT2_EXadL_ZNS_11gelu_kernelIfEEfRKT_EELi2EEEvPT0_PS8_PKT1_PS2_il ; -- Begin function _ZN5aiter23act_and_mul_bias_kernelIttafTnPFfRKT2_EXadL_ZNS_11gelu_kernelIfEEfRKT_EELi2EEEvPT0_PS8_PKT1_PS2_il
	.globl	_ZN5aiter23act_and_mul_bias_kernelIttafTnPFfRKT2_EXadL_ZNS_11gelu_kernelIfEEfRKT_EELi2EEEvPT0_PS8_PKT1_PS2_il
	.p2align	8
	.type	_ZN5aiter23act_and_mul_bias_kernelIttafTnPFfRKT2_EXadL_ZNS_11gelu_kernelIfEEfRKT_EELi2EEEvPT0_PS8_PKT1_PS2_il,@function
_ZN5aiter23act_and_mul_bias_kernelIttafTnPFfRKT2_EXadL_ZNS_11gelu_kernelIfEEfRKT_EELi2EEEvPT0_PS8_PKT1_PS2_il: ; @_ZN5aiter23act_and_mul_bias_kernelIttafTnPFfRKT2_EXadL_ZNS_11gelu_kernelIfEEfRKT_EELi2EEEvPT0_PS8_PKT1_PS2_il
; %bb.0:
	s_load_dwordx2 s[4:5], s[0:1], 0x10
	s_load_dword s24, s[0:1], 0x20
	s_load_dwordx2 s[6:7], s[0:1], 0x28
	v_mov_b32_e32 v1, s2
	s_mov_b32 s9, 0
	s_waitcnt lgkmcnt(0)
	global_load_ubyte v1, v1, s[4:5]
	s_add_i32 s3, s24, 1
	v_mov_b64_e32 v[2:3], s[6:7]
	s_lshr_b32 s6, s3, 31
	s_add_i32 s3, s3, s6
	s_load_dwordx2 s[4:5], s[0:1], 0x0
	s_lshl_b32 s3, s3, 1
	s_ashr_i32 s25, s24, 31
	s_and_b32 s6, s3, -4
	s_mul_hi_u32 s8, s24, s2
	s_mul_i32 s7, s25, s2
	s_mul_i32 s12, s24, s2
	s_add_i32 s13, s8, s7
	s_lshl_b64 s[12:13], s[12:13], 1
	s_mov_b64 s[10:11], -1
	s_waitcnt vmcnt(0)
	v_readfirstlane_b32 s3, v1
	s_nop 1
	v_mov_b32_e32 v4, s3
	s_sext_i32_i8 s3, s3
	v_readfirstlane_b32 s8, v4
	s_bfe_i64 s[8:9], s[8:9], 0x80000
	s_waitcnt lgkmcnt(0)
	s_add_u32 s4, s4, s12
	s_addc_u32 s5, s5, s13
	s_and_b32 s5, s5, 0xffff
	s_cmp_gt_i32 s3, -1
	v_cmp_lt_i64_e32 vcc, s[8:9], v[2:3]
	s_cselect_b64 s[12:13], -1, 0
	s_and_b64 s[12:13], s[12:13], vcc
	s_and_b64 vcc, exec, s[12:13]
	v_lshlrev_b32_e32 v2, 1, v0
	s_cbranch_vccnz .LBB404_5
; %bb.1:
	v_cmp_gt_i32_e32 vcc, s24, v2
	s_and_saveexec_b64 s[10:11], vcc
	s_cbranch_execz .LBB404_4
; %bb.2:
	s_load_dword s3, s[0:1], 0x3c
	v_mov_b32_e32 v3, 0
	s_mov_b32 s13, 0
	v_lshlrev_b32_e32 v4, 2, v0
	s_mov_b64 s[14:15], 0
	s_waitcnt lgkmcnt(0)
	s_and_b32 s3, s3, 0xffff
	s_lshl_b32 s12, s3, 1
	s_lshl_b32 s3, s3, 2
	s_mov_b32 s7, 0x20000
	v_mov_b64_e32 v[0:1], v[2:3]
.LBB404_3:                              ; =>This Inner Loop Header: Depth=1
	v_lshl_add_u64 v[0:1], s[12:13], 0, v[0:1]
	v_cmp_le_i64_e32 vcc, s[24:25], v[0:1]
	buffer_store_dword v3, v4, s[4:7], 0 offen
	s_or_b64 s[14:15], vcc, s[14:15]
	v_add_u32_e32 v4, s3, v4
	s_andn2_b64 exec, exec, s[14:15]
	s_cbranch_execnz .LBB404_3
.LBB404_4:
	s_or_b64 exec, exec, s[10:11]
	s_mov_b64 s[10:11], 0
.LBB404_5:
	s_andn2_b64 vcc, exec, s[10:11]
	s_cbranch_vccnz .LBB404_13
; %bb.6:
	v_cmp_gt_i32_e32 vcc, s24, v2
	s_and_saveexec_b64 s[10:11], vcc
	s_cbranch_execz .LBB404_13
; %bb.7:
	s_load_dwordx2 s[14:15], s[0:1], 0x8
	s_load_dwordx2 s[10:11], s[0:1], 0x18
	s_mul_hi_i32 s9, s24, s8
	s_mul_i32 s8, s24, s8
	s_lshl_b64 s[8:9], s[8:9], 3
	s_mul_i32 s16, s2, s25
	s_waitcnt lgkmcnt(0)
	s_add_u32 s8, s10, s8
	s_addc_u32 s7, s11, s9
	s_lshl_b64 s[10:11], s[24:25], 2
	s_add_u32 s12, s8, s10
	s_mul_hi_u32 s17, s2, s24
	s_addc_u32 s13, s7, s11
	s_add_i32 s17, s17, s16
	s_mul_i32 s16, s2, s24
	s_lshl_b32 s10, s24, 2
	s_and_b32 s9, s7, 0xffff
	s_and_b32 s13, s13, 0xffff
	s_lshl_b64 s[16:17], s[16:17], 2
	s_add_u32 s16, s14, s16
	s_addc_u32 s2, s15, s17
	s_lshl_b64 s[14:15], s[24:25], 1
	s_add_u32 s20, s16, s14
	s_addc_u32 s14, s2, s15
	s_and_b32 s17, s2, 0xffff
	s_and_b32 s21, s14, 0xffff
	s_mov_b32 s7, 0x20000
	s_add_u32 s0, s0, 48
	s_mov_b32 s3, 0
	s_mov_b32 s11, s7
	s_mov_b64 s[22:23], s[6:7]
	v_mov_b32_e32 v3, 0
	s_addc_u32 s1, s1, 0
	s_mov_b64 s[26:27], 0
	s_mov_b32 s18, s6
	s_mov_b32 s19, s7
	;; [unrolled: 1-line block ×12, first 2 shown]
	v_mov_b32_e32 v10, 0x3ba10414
	v_mov_b32_e32 v11, 0xb9c68948
	;; [unrolled: 1-line block ×3, first 2 shown]
	s_brev_b32 s39, -2
	s_mov_b32 s40, 0x7060302
                                        ; implicit-def: $vgpr0
                                        ; implicit-def: $vgpr0
	;; [unrolled: 1-line block ×4, first 2 shown]
	s_branch .LBB404_9
.LBB404_8:                              ;   in Loop: Header=BB404_9 Depth=1
	s_or_b64 exec, exec, s[14:15]
	v_fma_f32 v8, |v1|, s29, v11
	v_fma_f32 v8, |v1|, v8, s30
	;; [unrolled: 1-line block ×6, first 2 shown]
	v_fma_f32 v8, |v1|, v8, |v1|
	v_mul_f32_e32 v16, 0xbfb8aa3b, v8
	v_fma_f32 v17, v8, s36, -v16
	v_rndne_f32_e32 v18, v16
	v_fmac_f32_e32 v17, 0xb2a5705f, v8
	v_sub_f32_e32 v16, v16, v18
	v_add_f32_e32 v16, v16, v17
	v_exp_f32_e32 v19, v16
	v_cvt_i32_f32_e32 v18, v18
	v_and_b32_e32 v17, 0xffff0000, v14
	v_lshlrev_b32_e32 v16, 16, v14
	v_cmp_nlt_f32_e32 vcc, s37, v8
	v_ldexp_f32 v14, v19, v18
	v_bfi_b32 v0, s39, v15, v0
	v_cndmask_b32_e32 v14, 0, v14, vcc
	v_cmp_ngt_f32_e32 vcc, s38, v8
	v_mul_f32_e32 v5, 0.5, v5
	v_mul_f32_e32 v4, 0.5, v4
	v_cndmask_b32_e32 v8, v12, v14, vcc
	v_fmamk_f32 v14, v9, 0xba1345e1, v10
	v_fmaak_f32 v14, v9, v14, 0xbcdac9b8
	v_fmaak_f32 v14, v9, v14, 0x3de703be
	;; [unrolled: 1-line block ×4, first 2 shown]
	v_sub_f32_e32 v8, 1.0, v8
	v_fma_f32 v9, |v1|, v9, |v1|
	v_cmp_lt_f32_e64 vcc, |v1|, 1.0
	s_waitcnt vmcnt(0)
	v_pk_add_f32 v[6:7], v[6:7], v[16:17]
	v_cndmask_b32_e32 v8, v8, v9, vcc
	v_bfi_b32 v1, s39, v8, v1
	v_pk_add_f32 v[0:1], v[0:1], 1.0 op_sel_hi:[1,0]
	s_nop 0
	v_pk_mul_f32 v[0:1], v[4:5], v[0:1]
	s_nop 0
	;;#ASMSTART
	v_pk_mul_f32 v[0:1], v[0:1], v[6:7]
	;;#ASMEND
	s_load_dword s2, s[0:1], 0xc
	v_perm_b32 v0, v1, v0, s40
	buffer_store_dword v0, v13, s[4:7], 0 offen
	s_waitcnt lgkmcnt(0)
	s_and_b32 s2, s2, 0xffff
	s_lshl_b32 s2, s2, 1
	v_lshl_add_u64 v[2:3], s[2:3], 0, v[2:3]
	v_cmp_le_i64_e32 vcc, s[24:25], v[2:3]
	s_or_b64 s[26:27], vcc, s[26:27]
	s_andn2_b64 exec, exec, s[26:27]
	s_cbranch_execz .LBB404_13
.LBB404_9:                              ; =>This Inner Loop Header: Depth=1
	v_lshlrev_b32_e32 v13, 1, v2
	v_lshlrev_b32_e32 v5, 2, v2
	buffer_load_dword v4, v13, s[16:19], 0 offen
	buffer_load_dword v14, v13, s[20:23], 0 offen
	buffer_load_dwordx2 v[0:1], v5, s[8:11], 0 offen
	s_mov_b32 s14, s10
	s_mov_b32 s15, s11
	buffer_load_dwordx2 v[6:7], v5, s[12:15], 0 offen
                                        ; implicit-def: $vgpr15
	s_waitcnt vmcnt(3)
	v_and_b32_e32 v5, 0xffff0000, v4
	v_lshlrev_b32_e32 v4, 16, v4
	s_waitcnt vmcnt(1)
	v_pk_add_f32 v[4:5], v[0:1], v[4:5]
	s_nop 0
	v_pk_mul_f32 v[0:1], v[4:5], s[28:29] op_sel_hi:[1,0]
	s_nop 0
	v_cmp_nlt_f32_e64 s[14:15], |v0|, 1.0
	s_and_saveexec_b64 s[42:43], s[14:15]
	s_xor_b64 s[14:15], exec, s[42:43]
	s_cbranch_execz .LBB404_11
; %bb.10:                               ;   in Loop: Header=BB404_9 Depth=1
	v_fma_f32 v8, |v0|, s29, v11
	v_fma_f32 v8, |v0|, v8, s30
	;; [unrolled: 1-line block ×6, first 2 shown]
	v_fma_f32 v8, |v0|, v8, |v0|
	v_mul_f32_e32 v9, 0xbfb8aa3b, v8
	v_fma_f32 v15, v8, s36, -v9
	v_rndne_f32_e32 v16, v9
	v_fmac_f32_e32 v15, 0xb2a5705f, v8
	v_sub_f32_e32 v9, v9, v16
	v_add_f32_e32 v9, v9, v15
	v_cvt_i32_f32_e32 v15, v16
	v_exp_f32_e32 v9, v9
	v_cmp_nlt_f32_e32 vcc, s37, v8
	v_ldexp_f32 v9, v9, v15
	s_nop 0
	v_cndmask_b32_e32 v9, 0, v9, vcc
	v_cmp_ngt_f32_e32 vcc, s38, v8
	s_nop 1
	v_cndmask_b32_e32 v8, v12, v9, vcc
	v_sub_f32_e32 v15, 1.0, v8
.LBB404_11:                             ;   in Loop: Header=BB404_9 Depth=1
	s_or_saveexec_b64 s[14:15], s[14:15]
	v_pk_mul_f32 v[8:9], v[0:1], v[0:1]
	s_xor_b64 exec, exec, s[14:15]
	s_cbranch_execz .LBB404_8
; %bb.12:                               ;   in Loop: Header=BB404_9 Depth=1
	v_fmamk_f32 v15, v8, 0xba1345e1, v10
	v_fmaak_f32 v15, v8, v15, 0xbcdac9b8
	v_fmaak_f32 v15, v8, v15, 0x3de703be
	;; [unrolled: 1-line block ×4, first 2 shown]
	v_fma_f32 v15, |v0|, v8, |v0|
	s_branch .LBB404_8
.LBB404_13:
	s_endpgm
	.section	.rodata,"a",@progbits
	.p2align	6, 0x0
	.amdhsa_kernel _ZN5aiter23act_and_mul_bias_kernelIttafTnPFfRKT2_EXadL_ZNS_11gelu_kernelIfEEfRKT_EELi2EEEvPT0_PS8_PKT1_PS2_il
		.amdhsa_group_segment_fixed_size 0
		.amdhsa_private_segment_fixed_size 0
		.amdhsa_kernarg_size 304
		.amdhsa_user_sgpr_count 2
		.amdhsa_user_sgpr_dispatch_ptr 0
		.amdhsa_user_sgpr_queue_ptr 0
		.amdhsa_user_sgpr_kernarg_segment_ptr 1
		.amdhsa_user_sgpr_dispatch_id 0
		.amdhsa_user_sgpr_kernarg_preload_length 0
		.amdhsa_user_sgpr_kernarg_preload_offset 0
		.amdhsa_user_sgpr_private_segment_size 0
		.amdhsa_uses_dynamic_stack 0
		.amdhsa_enable_private_segment 0
		.amdhsa_system_sgpr_workgroup_id_x 1
		.amdhsa_system_sgpr_workgroup_id_y 0
		.amdhsa_system_sgpr_workgroup_id_z 0
		.amdhsa_system_sgpr_workgroup_info 0
		.amdhsa_system_vgpr_workitem_id 0
		.amdhsa_next_free_vgpr 20
		.amdhsa_next_free_sgpr 44
		.amdhsa_accum_offset 20
		.amdhsa_reserve_vcc 1
		.amdhsa_float_round_mode_32 0
		.amdhsa_float_round_mode_16_64 0
		.amdhsa_float_denorm_mode_32 3
		.amdhsa_float_denorm_mode_16_64 3
		.amdhsa_dx10_clamp 1
		.amdhsa_ieee_mode 1
		.amdhsa_fp16_overflow 0
		.amdhsa_tg_split 0
		.amdhsa_exception_fp_ieee_invalid_op 0
		.amdhsa_exception_fp_denorm_src 0
		.amdhsa_exception_fp_ieee_div_zero 0
		.amdhsa_exception_fp_ieee_overflow 0
		.amdhsa_exception_fp_ieee_underflow 0
		.amdhsa_exception_fp_ieee_inexact 0
		.amdhsa_exception_int_div_zero 0
	.end_amdhsa_kernel
	.section	.text._ZN5aiter23act_and_mul_bias_kernelIttafTnPFfRKT2_EXadL_ZNS_11gelu_kernelIfEEfRKT_EELi2EEEvPT0_PS8_PKT1_PS2_il,"axG",@progbits,_ZN5aiter23act_and_mul_bias_kernelIttafTnPFfRKT2_EXadL_ZNS_11gelu_kernelIfEEfRKT_EELi2EEEvPT0_PS8_PKT1_PS2_il,comdat
.Lfunc_end404:
	.size	_ZN5aiter23act_and_mul_bias_kernelIttafTnPFfRKT2_EXadL_ZNS_11gelu_kernelIfEEfRKT_EELi2EEEvPT0_PS8_PKT1_PS2_il, .Lfunc_end404-_ZN5aiter23act_and_mul_bias_kernelIttafTnPFfRKT2_EXadL_ZNS_11gelu_kernelIfEEfRKT_EELi2EEEvPT0_PS8_PKT1_PS2_il
                                        ; -- End function
	.section	.AMDGPU.csdata,"",@progbits
; Kernel info:
; codeLenInByte = 1268
; NumSgprs: 50
; NumVgprs: 20
; NumAgprs: 0
; TotalNumVgprs: 20
; ScratchSize: 0
; MemoryBound: 0
; FloatMode: 240
; IeeeMode: 1
; LDSByteSize: 0 bytes/workgroup (compile time only)
; SGPRBlocks: 6
; VGPRBlocks: 2
; NumSGPRsForWavesPerEU: 50
; NumVGPRsForWavesPerEU: 20
; AccumOffset: 20
; Occupancy: 8
; WaveLimiterHint : 0
; COMPUTE_PGM_RSRC2:SCRATCH_EN: 0
; COMPUTE_PGM_RSRC2:USER_SGPR: 2
; COMPUTE_PGM_RSRC2:TRAP_HANDLER: 0
; COMPUTE_PGM_RSRC2:TGID_X_EN: 1
; COMPUTE_PGM_RSRC2:TGID_Y_EN: 0
; COMPUTE_PGM_RSRC2:TGID_Z_EN: 0
; COMPUTE_PGM_RSRC2:TIDIG_COMP_CNT: 0
; COMPUTE_PGM_RSRC3_GFX90A:ACCUM_OFFSET: 4
; COMPUTE_PGM_RSRC3_GFX90A:TG_SPLIT: 0
	.section	.text._ZN5aiter23act_and_mul_bias_kernelIttafTnPFfRKT2_EXadL_ZNS_11gelu_kernelIfEEfRKT_EELi1EEEvPT0_PS8_PKT1_PS2_il,"axG",@progbits,_ZN5aiter23act_and_mul_bias_kernelIttafTnPFfRKT2_EXadL_ZNS_11gelu_kernelIfEEfRKT_EELi1EEEvPT0_PS8_PKT1_PS2_il,comdat
	.protected	_ZN5aiter23act_and_mul_bias_kernelIttafTnPFfRKT2_EXadL_ZNS_11gelu_kernelIfEEfRKT_EELi1EEEvPT0_PS8_PKT1_PS2_il ; -- Begin function _ZN5aiter23act_and_mul_bias_kernelIttafTnPFfRKT2_EXadL_ZNS_11gelu_kernelIfEEfRKT_EELi1EEEvPT0_PS8_PKT1_PS2_il
	.globl	_ZN5aiter23act_and_mul_bias_kernelIttafTnPFfRKT2_EXadL_ZNS_11gelu_kernelIfEEfRKT_EELi1EEEvPT0_PS8_PKT1_PS2_il
	.p2align	8
	.type	_ZN5aiter23act_and_mul_bias_kernelIttafTnPFfRKT2_EXadL_ZNS_11gelu_kernelIfEEfRKT_EELi1EEEvPT0_PS8_PKT1_PS2_il,@function
_ZN5aiter23act_and_mul_bias_kernelIttafTnPFfRKT2_EXadL_ZNS_11gelu_kernelIfEEfRKT_EELi1EEEvPT0_PS8_PKT1_PS2_il: ; @_ZN5aiter23act_and_mul_bias_kernelIttafTnPFfRKT2_EXadL_ZNS_11gelu_kernelIfEEfRKT_EELi1EEEvPT0_PS8_PKT1_PS2_il
; %bb.0:
	s_load_dwordx2 s[4:5], s[0:1], 0x10
	s_load_dword s20, s[0:1], 0x20
	s_load_dwordx2 s[6:7], s[0:1], 0x28
	v_mov_b32_e32 v1, s2
	s_mov_b32 s9, 0
	s_waitcnt lgkmcnt(0)
	global_load_ubyte v1, v1, s[4:5]
	s_add_i32 s3, s20, 1
	s_ashr_i32 s21, s20, 31
	v_mov_b64_e32 v[2:3], s[6:7]
	s_lshr_b32 s6, s3, 31
	s_mul_hi_u32 s8, s20, s2
	s_mul_i32 s7, s21, s2
	s_add_i32 s3, s3, s6
	s_load_dwordx2 s[4:5], s[0:1], 0x0
	s_mul_i32 s10, s20, s2
	s_add_i32 s11, s8, s7
	s_lshl_b32 s3, s3, 1
	s_lshl_b64 s[14:15], s[10:11], 1
	s_and_b32 s10, s3, -4
	s_mov_b64 s[12:13], -1
	s_waitcnt vmcnt(0)
	v_readfirstlane_b32 s3, v1
	s_nop 1
	v_mov_b32_e32 v4, s3
	s_sext_i32_i8 s3, s3
	v_readfirstlane_b32 s8, v4
	s_bfe_i64 s[6:7], s[8:9], 0x80000
	s_waitcnt lgkmcnt(0)
	s_add_u32 s8, s4, s14
	s_addc_u32 s4, s5, s15
	s_and_b32 s9, s4, 0xffff
	s_cmp_gt_i32 s3, -1
	v_cmp_lt_i64_e32 vcc, s[6:7], v[2:3]
	s_cselect_b64 s[4:5], -1, 0
	s_and_b64 s[4:5], s[4:5], vcc
	s_and_b64 vcc, exec, s[4:5]
	v_cmp_gt_i32_e64 s[4:5], s20, v0
	s_cbranch_vccnz .LBB405_5
; %bb.1:
	s_and_saveexec_b64 s[12:13], s[4:5]
	s_cbranch_execz .LBB405_4
; %bb.2:
	s_load_dword s3, s[0:1], 0x3c
	v_mov_b32_e32 v1, 0
	s_mov_b32 s5, 0
	v_lshlrev_b32_e32 v4, 1, v0
	s_mov_b64 s[14:15], 0
	s_waitcnt lgkmcnt(0)
	s_and_b32 s4, s3, 0xffff
	s_lshl_b32 s3, s4, 1
	s_mov_b32 s11, 0x20000
	v_mov_b64_e32 v[2:3], v[0:1]
.LBB405_3:                              ; =>This Inner Loop Header: Depth=1
	v_lshl_add_u64 v[2:3], v[2:3], 0, s[4:5]
	v_cmp_le_i64_e32 vcc, s[20:21], v[2:3]
	buffer_store_short v1, v4, s[8:11], 0 offen
	s_or_b64 s[14:15], vcc, s[14:15]
	v_add_u32_e32 v4, s3, v4
	s_andn2_b64 exec, exec, s[14:15]
	s_cbranch_execnz .LBB405_3
.LBB405_4:
	s_or_b64 exec, exec, s[12:13]
	s_mov_b64 s[12:13], 0
.LBB405_5:
	s_andn2_b64 vcc, exec, s[12:13]
	s_cbranch_vccnz .LBB405_13
; %bb.6:
	v_cmp_gt_i32_e32 vcc, s20, v0
	s_and_saveexec_b64 s[4:5], vcc
	s_cbranch_execz .LBB405_13
; %bb.7:
	s_load_dwordx2 s[12:13], s[0:1], 0x8
	s_load_dwordx2 s[4:5], s[0:1], 0x18
	s_mul_hi_i32 s7, s20, s6
	s_mul_i32 s6, s20, s6
	s_lshl_b64 s[6:7], s[6:7], 3
	s_load_dword s14, s[0:1], 0x3c
	s_waitcnt lgkmcnt(0)
	s_add_u32 s4, s4, s6
	s_addc_u32 s3, s5, s7
	s_lshl_b64 s[0:1], s[20:21], 2
	s_add_u32 s0, s4, s0
	s_addc_u32 s1, s3, s1
	s_and_b32 s5, s3, 0xffff
	s_mul_i32 s3, s2, s21
	s_mul_hi_u32 s15, s2, s20
	s_add_i32 s3, s15, s3
	s_mul_i32 s2, s2, s20
	s_lshl_b32 s6, s20, 2
	s_and_b32 s1, s1, 0xffff
	s_lshl_b64 s[2:3], s[2:3], 2
	s_add_u32 s12, s12, s2
	s_addc_u32 s13, s13, s3
	s_lshl_b64 s[2:3], s[20:21], 1
	s_add_u32 s16, s12, s2
	s_mov_b32 s11, 0x20000
	s_addc_u32 s2, s13, s3
	s_and_b32 s22, s14, 0xffff
                                        ; implicit-def: $vgpr5
                                        ; implicit-def: $vgpr5
	;; [unrolled: 1-line block ×4, first 2 shown]
	s_mov_b32 s23, 0
	s_mov_b32 s7, s11
	s_and_b32 s13, s13, 0xffff
	s_mov_b64 s[18:19], s[10:11]
	s_and_b32 s17, s2, 0xffff
	v_mov_b32_e32 v1, 0
	v_lshlrev_b32_e32 v2, 2, v0
	s_lshl_b32 s26, s22, 2
	v_lshlrev_b32_e32 v3, 1, v0
	s_lshl_b32 s27, s22, 1
	s_mov_b64 s[24:25], 0
	s_mov_b32 s28, 0x378e98ab
	s_mov_b32 s29, 0x3b7cd369
	s_mov_b32 s30, 0xbcc618b2
	s_mov_b32 s31, 0x3dda74e4
	s_mov_b32 s33, 0x3f228afd
	s_mov_b32 s34, 0x3e03c728
	s_mov_b32 s35, 0xbfb8aa3b
	s_mov_b32 s36, 0x42ce8ed0
	s_mov_b32 s37, 0xc2b17218
	v_mov_b32_e32 v4, 0x3ba10414
	s_brev_b32 s38, -2
	s_mov_b32 s14, s10
	s_mov_b32 s15, s11
	v_mov_b32_e32 v5, 0xb9c68948
	v_mov_b32_e32 v6, 0x7f800000
	s_branch .LBB405_9
.LBB405_8:                              ;   in Loop: Header=BB405_9 Depth=1
	s_or_b64 exec, exec, s[2:3]
	v_lshlrev_b32_e32 v7, 16, v7
	s_waitcnt vmcnt(0)
	v_add_f32_e32 v7, v7, v8
	v_mul_f32_e32 v8, 0.5, v9
	v_bfi_b32 v9, s38, v11, v10
	v_add_f32_e32 v9, 1.0, v9
	v_mul_f32_e32 v8, v8, v9
	v_mul_f32_e32 v7, v7, v8
	v_lshl_add_u64 v[0:1], v[0:1], 0, s[22:23]
	v_lshrrev_b32_e32 v7, 16, v7
	v_cmp_le_i64_e32 vcc, s[20:21], v[0:1]
	buffer_store_short v7, v3, s[8:11], 0 offen
	v_add_u32_e32 v2, s26, v2
	s_or_b64 s[24:25], vcc, s[24:25]
	v_add_u32_e32 v3, s27, v3
	s_andn2_b64 exec, exec, s[24:25]
	s_cbranch_execz .LBB405_13
.LBB405_9:                              ; =>This Inner Loop Header: Depth=1
	buffer_load_ushort v9, v3, s[12:15], 0 offen
	buffer_load_ushort v7, v3, s[16:19], 0 offen
	buffer_load_dword v10, v2, s[4:7], 0 offen
	s_mov_b32 s2, s6
	s_mov_b32 s3, s7
	buffer_load_dword v8, v2, s[0:3], 0 offen
                                        ; implicit-def: $vgpr11
	s_waitcnt vmcnt(3)
	v_lshlrev_b32_e32 v9, 16, v9
	s_waitcnt vmcnt(1)
	v_add_f32_e32 v9, v9, v10
	v_mul_f32_e32 v10, 0x3f3504f3, v9
	v_cmp_nlt_f32_e64 s[2:3], |v10|, 1.0
	s_and_saveexec_b64 s[40:41], s[2:3]
	s_xor_b64 s[2:3], exec, s[40:41]
	s_cbranch_execz .LBB405_11
; %bb.10:                               ;   in Loop: Header=BB405_9 Depth=1
	v_fma_f32 v11, |v10|, s28, v5
	v_fma_f32 v11, |v10|, v11, s29
	;; [unrolled: 1-line block ×6, first 2 shown]
	v_fma_f32 v11, |v10|, v11, |v10|
	v_mul_f32_e32 v12, 0xbfb8aa3b, v11
	v_fma_f32 v13, v11, s35, -v12
	v_rndne_f32_e32 v14, v12
	v_fmac_f32_e32 v13, 0xb2a5705f, v11
	v_sub_f32_e32 v12, v12, v14
	v_add_f32_e32 v12, v12, v13
	v_cvt_i32_f32_e32 v13, v14
	v_exp_f32_e32 v12, v12
	v_cmp_nlt_f32_e32 vcc, s36, v11
	v_ldexp_f32 v12, v12, v13
	s_nop 0
	v_cndmask_b32_e32 v12, 0, v12, vcc
	v_cmp_ngt_f32_e32 vcc, s37, v11
	s_nop 1
	v_cndmask_b32_e32 v11, v6, v12, vcc
	v_sub_f32_e32 v11, 1.0, v11
.LBB405_11:                             ;   in Loop: Header=BB405_9 Depth=1
	s_andn2_saveexec_b64 s[2:3], s[2:3]
	s_cbranch_execz .LBB405_8
; %bb.12:                               ;   in Loop: Header=BB405_9 Depth=1
	v_mul_f32_e32 v11, v10, v10
	v_fmamk_f32 v12, v11, 0xba1345e1, v4
	v_fmaak_f32 v12, v11, v12, 0xbcdac9b8
	v_fmaak_f32 v12, v11, v12, 0x3de703be
	;; [unrolled: 1-line block ×4, first 2 shown]
	v_fma_f32 v11, |v10|, v11, |v10|
	s_branch .LBB405_8
.LBB405_13:
	s_endpgm
	.section	.rodata,"a",@progbits
	.p2align	6, 0x0
	.amdhsa_kernel _ZN5aiter23act_and_mul_bias_kernelIttafTnPFfRKT2_EXadL_ZNS_11gelu_kernelIfEEfRKT_EELi1EEEvPT0_PS8_PKT1_PS2_il
		.amdhsa_group_segment_fixed_size 0
		.amdhsa_private_segment_fixed_size 0
		.amdhsa_kernarg_size 304
		.amdhsa_user_sgpr_count 2
		.amdhsa_user_sgpr_dispatch_ptr 0
		.amdhsa_user_sgpr_queue_ptr 0
		.amdhsa_user_sgpr_kernarg_segment_ptr 1
		.amdhsa_user_sgpr_dispatch_id 0
		.amdhsa_user_sgpr_kernarg_preload_length 0
		.amdhsa_user_sgpr_kernarg_preload_offset 0
		.amdhsa_user_sgpr_private_segment_size 0
		.amdhsa_uses_dynamic_stack 0
		.amdhsa_enable_private_segment 0
		.amdhsa_system_sgpr_workgroup_id_x 1
		.amdhsa_system_sgpr_workgroup_id_y 0
		.amdhsa_system_sgpr_workgroup_id_z 0
		.amdhsa_system_sgpr_workgroup_info 0
		.amdhsa_system_vgpr_workitem_id 0
		.amdhsa_next_free_vgpr 15
		.amdhsa_next_free_sgpr 42
		.amdhsa_accum_offset 16
		.amdhsa_reserve_vcc 1
		.amdhsa_float_round_mode_32 0
		.amdhsa_float_round_mode_16_64 0
		.amdhsa_float_denorm_mode_32 3
		.amdhsa_float_denorm_mode_16_64 3
		.amdhsa_dx10_clamp 1
		.amdhsa_ieee_mode 1
		.amdhsa_fp16_overflow 0
		.amdhsa_tg_split 0
		.amdhsa_exception_fp_ieee_invalid_op 0
		.amdhsa_exception_fp_denorm_src 0
		.amdhsa_exception_fp_ieee_div_zero 0
		.amdhsa_exception_fp_ieee_overflow 0
		.amdhsa_exception_fp_ieee_underflow 0
		.amdhsa_exception_fp_ieee_inexact 0
		.amdhsa_exception_int_div_zero 0
	.end_amdhsa_kernel
	.section	.text._ZN5aiter23act_and_mul_bias_kernelIttafTnPFfRKT2_EXadL_ZNS_11gelu_kernelIfEEfRKT_EELi1EEEvPT0_PS8_PKT1_PS2_il,"axG",@progbits,_ZN5aiter23act_and_mul_bias_kernelIttafTnPFfRKT2_EXadL_ZNS_11gelu_kernelIfEEfRKT_EELi1EEEvPT0_PS8_PKT1_PS2_il,comdat
.Lfunc_end405:
	.size	_ZN5aiter23act_and_mul_bias_kernelIttafTnPFfRKT2_EXadL_ZNS_11gelu_kernelIfEEfRKT_EELi1EEEvPT0_PS8_PKT1_PS2_il, .Lfunc_end405-_ZN5aiter23act_and_mul_bias_kernelIttafTnPFfRKT2_EXadL_ZNS_11gelu_kernelIfEEfRKT_EELi1EEEvPT0_PS8_PKT1_PS2_il
                                        ; -- End function
	.section	.AMDGPU.csdata,"",@progbits
; Kernel info:
; codeLenInByte = 984
; NumSgprs: 48
; NumVgprs: 15
; NumAgprs: 0
; TotalNumVgprs: 15
; ScratchSize: 0
; MemoryBound: 0
; FloatMode: 240
; IeeeMode: 1
; LDSByteSize: 0 bytes/workgroup (compile time only)
; SGPRBlocks: 5
; VGPRBlocks: 1
; NumSGPRsForWavesPerEU: 48
; NumVGPRsForWavesPerEU: 15
; AccumOffset: 16
; Occupancy: 8
; WaveLimiterHint : 0
; COMPUTE_PGM_RSRC2:SCRATCH_EN: 0
; COMPUTE_PGM_RSRC2:USER_SGPR: 2
; COMPUTE_PGM_RSRC2:TRAP_HANDLER: 0
; COMPUTE_PGM_RSRC2:TGID_X_EN: 1
; COMPUTE_PGM_RSRC2:TGID_Y_EN: 0
; COMPUTE_PGM_RSRC2:TGID_Z_EN: 0
; COMPUTE_PGM_RSRC2:TIDIG_COMP_CNT: 0
; COMPUTE_PGM_RSRC3_GFX90A:ACCUM_OFFSET: 3
; COMPUTE_PGM_RSRC3_GFX90A:TG_SPLIT: 0
	.section	.text._ZN5aiter23act_and_mul_bias_kernelIftsfTnPFfRKT2_EXadL_ZNS_11gelu_kernelIfEEfRKT_EELi16EEEvPT0_PS8_PKT1_PS2_il,"axG",@progbits,_ZN5aiter23act_and_mul_bias_kernelIftsfTnPFfRKT2_EXadL_ZNS_11gelu_kernelIfEEfRKT_EELi16EEEvPT0_PS8_PKT1_PS2_il,comdat
	.protected	_ZN5aiter23act_and_mul_bias_kernelIftsfTnPFfRKT2_EXadL_ZNS_11gelu_kernelIfEEfRKT_EELi16EEEvPT0_PS8_PKT1_PS2_il ; -- Begin function _ZN5aiter23act_and_mul_bias_kernelIftsfTnPFfRKT2_EXadL_ZNS_11gelu_kernelIfEEfRKT_EELi16EEEvPT0_PS8_PKT1_PS2_il
	.globl	_ZN5aiter23act_and_mul_bias_kernelIftsfTnPFfRKT2_EXadL_ZNS_11gelu_kernelIfEEfRKT_EELi16EEEvPT0_PS8_PKT1_PS2_il
	.p2align	8
	.type	_ZN5aiter23act_and_mul_bias_kernelIftsfTnPFfRKT2_EXadL_ZNS_11gelu_kernelIfEEfRKT_EELi16EEEvPT0_PS8_PKT1_PS2_il,@function
_ZN5aiter23act_and_mul_bias_kernelIftsfTnPFfRKT2_EXadL_ZNS_11gelu_kernelIfEEfRKT_EELi16EEEvPT0_PS8_PKT1_PS2_il: ; @_ZN5aiter23act_and_mul_bias_kernelIftsfTnPFfRKT2_EXadL_ZNS_11gelu_kernelIfEEfRKT_EELi16EEEvPT0_PS8_PKT1_PS2_il
; %bb.0:
	s_load_dwordx2 s[4:5], s[0:1], 0x10
	s_load_dword s24, s[0:1], 0x20
	s_load_dwordx2 s[6:7], s[0:1], 0x28
	s_mov_b32 s3, 0
	s_lshl_b64 s[8:9], s[2:3], 1
	s_waitcnt lgkmcnt(0)
	s_add_u32 s4, s4, s8
	s_addc_u32 s5, s5, s9
	v_mov_b32_e32 v1, 0
	global_load_ushort v1, v1, s[4:5]
	s_load_dwordx2 s[4:5], s[0:1], 0x0
	s_ashr_i32 s25, s24, 31
	s_mul_hi_u32 s3, s24, s2
	v_mov_b64_e32 v[2:3], s[6:7]
	s_mul_i32 s6, s25, s2
	s_mul_i32 s8, s24, s2
	s_add_i32 s9, s3, s6
	s_lshl_b64 s[6:7], s[8:9], 1
	s_mov_b64 s[10:11], -1
	v_lshlrev_b32_e32 v64, 4, v0
	s_waitcnt vmcnt(0)
	v_readfirstlane_b32 s3, v1
	s_sext_i32_i16 s8, s3
	s_ashr_i32 s9, s8, 31
	s_waitcnt lgkmcnt(0)
	s_add_u32 s4, s4, s6
	s_addc_u32 s3, s5, s7
	s_add_i32 s6, s24, 1
	s_lshr_b32 s7, s6, 31
	s_add_i32 s6, s6, s7
	s_and_b32 s5, s3, 0xffff
	s_lshl_b32 s3, s6, 1
	s_and_b32 s6, s3, -4
	s_cmp_gt_i32 s8, -1
	v_cmp_lt_i64_e32 vcc, s[8:9], v[2:3]
	s_cselect_b64 s[12:13], -1, 0
	s_and_b64 s[12:13], s[12:13], vcc
	s_and_b64 vcc, exec, s[12:13]
	s_cbranch_vccnz .LBB406_5
; %bb.1:
	v_cmp_gt_i32_e32 vcc, s24, v64
	s_and_saveexec_b64 s[10:11], vcc
	s_cbranch_execz .LBB406_4
; %bb.2:
	s_load_dword s3, s[0:1], 0x3c
	s_mov_b32 s13, 0
	s_mov_b32 s16, s13
	;; [unrolled: 1-line block ×3, first 2 shown]
	v_mov_b32_e32 v65, 0
	v_lshlrev_b32_e32 v6, 5, v0
	s_waitcnt lgkmcnt(0)
	s_and_b32 s3, s3, 0xffff
	s_mov_b32 s18, s13
	s_mov_b32 s19, s13
	v_mov_b64_e32 v[0:1], s[16:17]
	s_lshl_b32 s12, s3, 4
	s_lshl_b32 s3, s3, 5
	s_mov_b64 s[14:15], 0
	s_mov_b32 s7, 0x20000
	v_mov_b64_e32 v[2:3], s[18:19]
	v_mov_b64_e32 v[4:5], v[64:65]
.LBB406_3:                              ; =>This Inner Loop Header: Depth=1
	v_lshl_add_u64 v[4:5], s[12:13], 0, v[4:5]
	v_cmp_le_i64_e32 vcc, s[24:25], v[4:5]
	buffer_store_dwordx4 v[0:3], v6, s[4:7], 0 offen
	buffer_store_dwordx4 v[0:3], v6, s[4:7], 16 offen
	s_or_b64 s[14:15], vcc, s[14:15]
	v_add_u32_e32 v6, s3, v6
	s_andn2_b64 exec, exec, s[14:15]
	s_cbranch_execnz .LBB406_3
.LBB406_4:
	s_or_b64 exec, exec, s[10:11]
	s_mov_b64 s[10:11], 0
.LBB406_5:
	s_andn2_b64 vcc, exec, s[10:11]
	s_cbranch_vccnz .LBB406_73
; %bb.6:
	v_cmp_gt_i32_e32 vcc, s24, v64
	s_and_saveexec_b64 s[10:11], vcc
	s_cbranch_execz .LBB406_73
; %bb.7:
	s_load_dwordx2 s[14:15], s[0:1], 0x8
	s_load_dwordx2 s[12:13], s[0:1], 0x18
	s_mul_hi_i32 s9, s24, s8
	s_mul_i32 s8, s24, s8
	s_lshl_b32 s10, s24, 2
	s_lshl_b64 s[8:9], s[8:9], 3
	s_waitcnt lgkmcnt(0)
	s_add_u32 s12, s12, s8
	s_addc_u32 s3, s13, s9
	s_lshl_b64 s[8:9], s[24:25], 2
	s_add_u32 s16, s12, s8
	s_addc_u32 s17, s3, s9
	s_and_b32 s13, s3, 0xffff
	s_mul_i32 s3, s2, s25
	s_mul_hi_u32 s18, s2, s24
	s_add_i32 s3, s18, s3
	s_mul_i32 s2, s2, s24
	s_and_b32 s17, s17, 0xffff
	s_lshl_b64 s[2:3], s[2:3], 3
	s_add_u32 s20, s14, s2
	s_addc_u32 s2, s15, s3
	s_add_u32 s8, s20, s8
	s_addc_u32 s3, s2, s9
	s_and_b32 s21, s2, 0xffff
	s_and_b32 s9, s3, 0xffff
	s_mov_b32 s7, 0x20000
	s_add_u32 s0, s0, 48
	s_mov_b32 s11, s7
	v_mov_b32_e32 v65, 0
	s_addc_u32 s1, s1, 0
	s_mov_b64 s[2:3], 0
	s_mov_b32 s22, s10
	s_mov_b32 s23, s7
	;; [unrolled: 1-line block ×12, first 2 shown]
	v_mov_b32_e32 v66, 0x3ba10414
	s_brev_b32 s38, -2
	s_mov_b32 s39, 0x7060302
	v_mov_b32_e32 v67, 0xb9c68948
	v_mov_b32_e32 v68, 0x7f800000
                                        ; implicit-def: $vgpr0
                                        ; implicit-def: $vgpr0
	;; [unrolled: 1-line block ×4, first 2 shown]
	s_branch .LBB406_9
.LBB406_8:                              ;   in Loop: Header=BB406_9 Depth=1
	s_or_b64 exec, exec, s[14:15]
	v_bfi_b32 v5, s38, v8, v5
	v_mul_f32_e32 v4, 0.5, v4
	v_add_f32_e32 v5, 1.0, v5
	v_add_f32_e32 v2, v2, v6
	v_bfi_b32 v6, s38, v11, v10
	v_mul_f32_e32 v4, v4, v5
	v_mul_f32_e32 v5, 0.5, v9
	v_add_f32_e32 v6, 1.0, v6
	v_add_f32_e32 v3, v3, v7
	v_mul_f32_e32 v5, v5, v6
	;;#ASMSTART
	v_pk_mul_f32 v[6:7], v[4:5], v[2:3]
	;;#ASMEND
	s_load_dword s14, s[0:1], 0xc
	v_lshlrev_b32_e32 v8, 1, v64
	v_perm_b32 v5, v35, v34, s39
	v_perm_b32 v4, v33, v32, s39
	;; [unrolled: 1-line block ×3, first 2 shown]
	s_waitcnt lgkmcnt(0)
	s_and_b32 s14, s14, 0xffff
	s_lshl_b32 s26, s14, 4
	v_lshl_add_u64 v[64:65], s[26:27], 0, v[64:65]
	v_perm_b32 v2, v49, v48, s39
	v_cmp_le_i64_e32 vcc, s[24:25], v[64:65]
	buffer_store_dwordx4 v[2:5], v8, s[4:7], 0 offen
	s_or_b64 s[2:3], vcc, s[2:3]
	s_nop 0
	v_perm_b32 v3, v7, v6, s39
	v_perm_b32 v2, v1, v0, s39
	;; [unrolled: 1-line block ×4, first 2 shown]
	buffer_store_dwordx4 v[0:3], v8, s[4:7], 16 offen
	s_andn2_b64 exec, exec, s[2:3]
	s_cbranch_execz .LBB406_73
.LBB406_9:                              ; =>This Inner Loop Header: Depth=1
	v_lshlrev_b32_e32 v4, 2, v64
	s_mov_b32 s14, s10
	s_mov_b32 s15, s11
	;; [unrolled: 1-line block ×4, first 2 shown]
	buffer_load_dwordx4 v[56:59], v4, s[20:23], 0 offen
	buffer_load_dwordx4 v[40:43], v4, s[20:23], 16 offen
	;; [unrolled: 1-line block ×15, first 2 shown]
	s_nop 0
	buffer_load_dwordx4 v[4:7], v4, s[16:19], 48 offen
                                        ; implicit-def: $vgpr69
	s_waitcnt vmcnt(7)
	v_add_f32_e32 v56, v56, v60
	v_mul_f32_e32 v60, 0x3f3504f3, v56
	v_cmp_nlt_f32_e64 s[14:15], |v60|, 1.0
	s_and_saveexec_b64 s[18:19], s[14:15]
	s_xor_b64 s[14:15], exec, s[18:19]
	s_cbranch_execz .LBB406_11
; %bb.10:                               ;   in Loop: Header=BB406_9 Depth=1
	v_fma_f32 v69, |v60|, s28, v67
	v_fma_f32 v69, |v60|, v69, s29
	;; [unrolled: 1-line block ×6, first 2 shown]
	v_fma_f32 v69, |v60|, v69, |v60|
	v_mul_f32_e32 v70, 0xbfb8aa3b, v69
	v_fma_f32 v71, v69, s35, -v70
	v_rndne_f32_e32 v72, v70
	v_fmac_f32_e32 v71, 0xb2a5705f, v69
	v_sub_f32_e32 v70, v70, v72
	v_add_f32_e32 v70, v70, v71
	v_cvt_i32_f32_e32 v71, v72
	v_exp_f32_e32 v70, v70
	v_cmp_nlt_f32_e32 vcc, s36, v69
	v_ldexp_f32 v70, v70, v71
	s_nop 0
	v_cndmask_b32_e32 v70, 0, v70, vcc
	v_cmp_ngt_f32_e32 vcc, s37, v69
	s_nop 1
	v_cndmask_b32_e32 v69, v68, v70, vcc
	v_sub_f32_e32 v69, 1.0, v69
.LBB406_11:                             ;   in Loop: Header=BB406_9 Depth=1
	s_andn2_saveexec_b64 s[14:15], s[14:15]
; %bb.12:                               ;   in Loop: Header=BB406_9 Depth=1
	v_mul_f32_e32 v69, v60, v60
	v_fmamk_f32 v70, v69, 0xba1345e1, v66
	v_fmaak_f32 v70, v69, v70, 0xbcdac9b8
	v_fmaak_f32 v70, v69, v70, 0x3de703be
	;; [unrolled: 1-line block ×4, first 2 shown]
	v_fma_f32 v69, |v60|, v69, |v60|
; %bb.13:                               ;   in Loop: Header=BB406_9 Depth=1
	s_or_b64 exec, exec, s[14:15]
	v_add_f32_e32 v57, v57, v61
	v_mul_f32_e32 v61, 0x3f3504f3, v57
	v_cmp_nlt_f32_e64 s[14:15], |v61|, 1.0
                                        ; implicit-def: $vgpr70
	s_and_saveexec_b64 s[18:19], s[14:15]
	s_xor_b64 s[14:15], exec, s[18:19]
	s_cbranch_execz .LBB406_15
; %bb.14:                               ;   in Loop: Header=BB406_9 Depth=1
	v_fma_f32 v70, |v61|, s28, v67
	v_fma_f32 v70, |v61|, v70, s29
	;; [unrolled: 1-line block ×6, first 2 shown]
	v_fma_f32 v70, |v61|, v70, |v61|
	v_mul_f32_e32 v71, 0xbfb8aa3b, v70
	v_fma_f32 v72, v70, s35, -v71
	v_rndne_f32_e32 v73, v71
	v_fmac_f32_e32 v72, 0xb2a5705f, v70
	v_sub_f32_e32 v71, v71, v73
	v_add_f32_e32 v71, v71, v72
	v_cvt_i32_f32_e32 v72, v73
	v_exp_f32_e32 v71, v71
	v_cmp_nlt_f32_e32 vcc, s36, v70
	v_ldexp_f32 v71, v71, v72
	s_nop 0
	v_cndmask_b32_e32 v71, 0, v71, vcc
	v_cmp_ngt_f32_e32 vcc, s37, v70
	s_nop 1
	v_cndmask_b32_e32 v70, v68, v71, vcc
	v_sub_f32_e32 v70, 1.0, v70
.LBB406_15:                             ;   in Loop: Header=BB406_9 Depth=1
	s_andn2_saveexec_b64 s[14:15], s[14:15]
; %bb.16:                               ;   in Loop: Header=BB406_9 Depth=1
	v_mul_f32_e32 v70, v61, v61
	v_fmamk_f32 v71, v70, 0xba1345e1, v66
	v_fmaak_f32 v71, v70, v71, 0xbcdac9b8
	v_fmaak_f32 v71, v70, v71, 0x3de703be
	;; [unrolled: 1-line block ×4, first 2 shown]
	v_fma_f32 v70, |v61|, v70, |v61|
; %bb.17:                               ;   in Loop: Header=BB406_9 Depth=1
	s_or_b64 exec, exec, s[14:15]
	s_waitcnt vmcnt(3)
	v_add_f32_e32 v49, v49, v53
	v_bfi_b32 v53, s38, v70, v61
	v_add_f32_e32 v48, v48, v52
	v_mul_f32_e32 v52, 0.5, v57
	v_add_f32_e32 v53, 1.0, v53
	v_bfi_b32 v60, s38, v69, v60
	v_mul_f32_e32 v57, v52, v53
	v_add_f32_e32 v52, v58, v62
	v_mul_f32_e32 v56, 0.5, v56
	v_add_f32_e32 v60, 1.0, v60
	v_mul_f32_e32 v53, 0x3f3504f3, v52
	v_mul_f32_e32 v56, v56, v60
	v_cmp_nlt_f32_e64 s[14:15], |v53|, 1.0
	;;#ASMSTART
	v_pk_mul_f32 v[48:49], v[56:57], v[48:49]
	;;#ASMEND
                                        ; implicit-def: $vgpr56
	s_and_saveexec_b64 s[18:19], s[14:15]
	s_xor_b64 s[14:15], exec, s[18:19]
	s_cbranch_execz .LBB406_19
; %bb.18:                               ;   in Loop: Header=BB406_9 Depth=1
	v_fma_f32 v56, |v53|, s28, v67
	v_fma_f32 v56, |v53|, v56, s29
	;; [unrolled: 1-line block ×6, first 2 shown]
	v_fma_f32 v56, |v53|, v56, |v53|
	v_mul_f32_e32 v57, 0xbfb8aa3b, v56
	v_fma_f32 v58, v56, s35, -v57
	v_rndne_f32_e32 v60, v57
	v_fmac_f32_e32 v58, 0xb2a5705f, v56
	v_sub_f32_e32 v57, v57, v60
	v_add_f32_e32 v57, v57, v58
	v_cvt_i32_f32_e32 v58, v60
	v_exp_f32_e32 v57, v57
	v_cmp_nlt_f32_e32 vcc, s36, v56
	v_ldexp_f32 v57, v57, v58
	s_nop 0
	v_cndmask_b32_e32 v57, 0, v57, vcc
	v_cmp_ngt_f32_e32 vcc, s37, v56
	s_nop 1
	v_cndmask_b32_e32 v56, v68, v57, vcc
	v_sub_f32_e32 v56, 1.0, v56
.LBB406_19:                             ;   in Loop: Header=BB406_9 Depth=1
	s_andn2_saveexec_b64 s[14:15], s[14:15]
; %bb.20:                               ;   in Loop: Header=BB406_9 Depth=1
	v_mul_f32_e32 v56, v53, v53
	v_fmamk_f32 v57, v56, 0xba1345e1, v66
	v_fmaak_f32 v57, v56, v57, 0xbcdac9b8
	v_fmaak_f32 v57, v56, v57, 0x3de703be
	;; [unrolled: 1-line block ×4, first 2 shown]
	v_fma_f32 v56, |v53|, v56, |v53|
; %bb.21:                               ;   in Loop: Header=BB406_9 Depth=1
	s_or_b64 exec, exec, s[14:15]
	v_add_f32_e32 v57, v59, v63
	v_mul_f32_e32 v58, 0x3f3504f3, v57
	v_cmp_nlt_f32_e64 s[14:15], |v58|, 1.0
                                        ; implicit-def: $vgpr59
	s_and_saveexec_b64 s[18:19], s[14:15]
	s_xor_b64 s[14:15], exec, s[18:19]
	s_cbranch_execz .LBB406_23
; %bb.22:                               ;   in Loop: Header=BB406_9 Depth=1
	v_fma_f32 v59, |v58|, s28, v67
	v_fma_f32 v59, |v58|, v59, s29
	;; [unrolled: 1-line block ×6, first 2 shown]
	v_fma_f32 v59, |v58|, v59, |v58|
	v_mul_f32_e32 v60, 0xbfb8aa3b, v59
	v_fma_f32 v61, v59, s35, -v60
	v_rndne_f32_e32 v62, v60
	v_fmac_f32_e32 v61, 0xb2a5705f, v59
	v_sub_f32_e32 v60, v60, v62
	v_add_f32_e32 v60, v60, v61
	v_cvt_i32_f32_e32 v61, v62
	v_exp_f32_e32 v60, v60
	v_cmp_nlt_f32_e32 vcc, s36, v59
	v_ldexp_f32 v60, v60, v61
	s_nop 0
	v_cndmask_b32_e32 v60, 0, v60, vcc
	v_cmp_ngt_f32_e32 vcc, s37, v59
	s_nop 1
	v_cndmask_b32_e32 v59, v68, v60, vcc
	v_sub_f32_e32 v59, 1.0, v59
.LBB406_23:                             ;   in Loop: Header=BB406_9 Depth=1
	s_andn2_saveexec_b64 s[14:15], s[14:15]
; %bb.24:                               ;   in Loop: Header=BB406_9 Depth=1
	v_mul_f32_e32 v59, v58, v58
	v_fmamk_f32 v60, v59, 0xba1345e1, v66
	v_fmaak_f32 v60, v59, v60, 0xbcdac9b8
	v_fmaak_f32 v60, v59, v60, 0x3de703be
	v_fmaak_f32 v60, v59, v60, 0xbec09330
	v_fmaak_f32 v59, v59, v60, 0x3e0375d0
	v_fma_f32 v59, |v58|, v59, |v58|
; %bb.25:                               ;   in Loop: Header=BB406_9 Depth=1
	s_or_b64 exec, exec, s[14:15]
	v_bfi_b32 v53, s38, v56, v53
	v_add_f32_e32 v40, v40, v44
	v_mul_f32_e32 v52, 0.5, v52
	v_add_f32_e32 v53, 1.0, v53
	v_add_f32_e32 v50, v50, v54
	v_bfi_b32 v54, s38, v59, v58
	v_mul_f32_e32 v44, 0x3f3504f3, v40
	v_mul_f32_e32 v52, v52, v53
	v_add_f32_e32 v51, v51, v55
	v_mul_f32_e32 v53, 0.5, v57
	v_add_f32_e32 v54, 1.0, v54
	v_cmp_nlt_f32_e64 s[14:15], |v44|, 1.0
	v_mul_f32_e32 v53, v53, v54
	;;#ASMSTART
	v_pk_mul_f32 v[50:51], v[52:53], v[50:51]
	;;#ASMEND
                                        ; implicit-def: $vgpr52
	s_and_saveexec_b64 s[18:19], s[14:15]
	s_xor_b64 s[14:15], exec, s[18:19]
	s_cbranch_execz .LBB406_27
; %bb.26:                               ;   in Loop: Header=BB406_9 Depth=1
	v_fma_f32 v52, |v44|, s28, v67
	v_fma_f32 v52, |v44|, v52, s29
	;; [unrolled: 1-line block ×6, first 2 shown]
	v_fma_f32 v52, |v44|, v52, |v44|
	v_mul_f32_e32 v53, 0xbfb8aa3b, v52
	v_fma_f32 v54, v52, s35, -v53
	v_rndne_f32_e32 v55, v53
	v_fmac_f32_e32 v54, 0xb2a5705f, v52
	v_sub_f32_e32 v53, v53, v55
	v_add_f32_e32 v53, v53, v54
	v_cvt_i32_f32_e32 v54, v55
	v_exp_f32_e32 v53, v53
	v_cmp_nlt_f32_e32 vcc, s36, v52
	v_ldexp_f32 v53, v53, v54
	s_nop 0
	v_cndmask_b32_e32 v53, 0, v53, vcc
	v_cmp_ngt_f32_e32 vcc, s37, v52
	s_nop 1
	v_cndmask_b32_e32 v52, v68, v53, vcc
	v_sub_f32_e32 v52, 1.0, v52
.LBB406_27:                             ;   in Loop: Header=BB406_9 Depth=1
	s_andn2_saveexec_b64 s[14:15], s[14:15]
; %bb.28:                               ;   in Loop: Header=BB406_9 Depth=1
	v_mul_f32_e32 v52, v44, v44
	v_fmamk_f32 v53, v52, 0xba1345e1, v66
	v_fmaak_f32 v53, v52, v53, 0xbcdac9b8
	v_fmaak_f32 v53, v52, v53, 0x3de703be
	v_fmaak_f32 v53, v52, v53, 0xbec09330
	v_fmaak_f32 v52, v52, v53, 0x3e0375d0
	v_fma_f32 v52, |v44|, v52, |v44|
; %bb.29:                               ;   in Loop: Header=BB406_9 Depth=1
	s_or_b64 exec, exec, s[14:15]
	v_add_f32_e32 v41, v41, v45
	v_mul_f32_e32 v45, 0x3f3504f3, v41
	v_cmp_nlt_f32_e64 s[14:15], |v45|, 1.0
                                        ; implicit-def: $vgpr53
	s_and_saveexec_b64 s[18:19], s[14:15]
	s_xor_b64 s[14:15], exec, s[18:19]
	s_cbranch_execz .LBB406_31
; %bb.30:                               ;   in Loop: Header=BB406_9 Depth=1
	v_fma_f32 v53, |v45|, s28, v67
	v_fma_f32 v53, |v45|, v53, s29
	;; [unrolled: 1-line block ×6, first 2 shown]
	v_fma_f32 v53, |v45|, v53, |v45|
	v_mul_f32_e32 v54, 0xbfb8aa3b, v53
	v_fma_f32 v55, v53, s35, -v54
	v_rndne_f32_e32 v56, v54
	v_fmac_f32_e32 v55, 0xb2a5705f, v53
	v_sub_f32_e32 v54, v54, v56
	v_add_f32_e32 v54, v54, v55
	v_cvt_i32_f32_e32 v55, v56
	v_exp_f32_e32 v54, v54
	v_cmp_nlt_f32_e32 vcc, s36, v53
	v_ldexp_f32 v54, v54, v55
	s_nop 0
	v_cndmask_b32_e32 v54, 0, v54, vcc
	v_cmp_ngt_f32_e32 vcc, s37, v53
	s_nop 1
	v_cndmask_b32_e32 v53, v68, v54, vcc
	v_sub_f32_e32 v53, 1.0, v53
.LBB406_31:                             ;   in Loop: Header=BB406_9 Depth=1
	s_andn2_saveexec_b64 s[14:15], s[14:15]
; %bb.32:                               ;   in Loop: Header=BB406_9 Depth=1
	v_mul_f32_e32 v53, v45, v45
	v_fmamk_f32 v54, v53, 0xba1345e1, v66
	v_fmaak_f32 v54, v53, v54, 0xbcdac9b8
	v_fmaak_f32 v54, v53, v54, 0x3de703be
	;; [unrolled: 1-line block ×4, first 2 shown]
	v_fma_f32 v53, |v45|, v53, |v45|
; %bb.33:                               ;   in Loop: Header=BB406_9 Depth=1
	s_or_b64 exec, exec, s[14:15]
	s_waitcnt vmcnt(2)
	v_add_f32_e32 v33, v33, v37
	v_bfi_b32 v37, s38, v53, v45
	v_add_f32_e32 v32, v32, v36
	v_mul_f32_e32 v36, 0.5, v41
	v_add_f32_e32 v37, 1.0, v37
	v_bfi_b32 v44, s38, v52, v44
	v_mul_f32_e32 v41, v36, v37
	v_add_f32_e32 v36, v42, v46
	v_mul_f32_e32 v40, 0.5, v40
	v_add_f32_e32 v44, 1.0, v44
	v_mul_f32_e32 v37, 0x3f3504f3, v36
	v_mul_f32_e32 v40, v40, v44
	v_cmp_nlt_f32_e64 s[14:15], |v37|, 1.0
	;;#ASMSTART
	v_pk_mul_f32 v[32:33], v[40:41], v[32:33]
	;;#ASMEND
                                        ; implicit-def: $vgpr40
	s_and_saveexec_b64 s[18:19], s[14:15]
	s_xor_b64 s[14:15], exec, s[18:19]
	s_cbranch_execz .LBB406_35
; %bb.34:                               ;   in Loop: Header=BB406_9 Depth=1
	v_fma_f32 v40, |v37|, s28, v67
	v_fma_f32 v40, |v37|, v40, s29
	;; [unrolled: 1-line block ×6, first 2 shown]
	v_fma_f32 v40, |v37|, v40, |v37|
	v_mul_f32_e32 v41, 0xbfb8aa3b, v40
	v_fma_f32 v42, v40, s35, -v41
	v_rndne_f32_e32 v44, v41
	v_fmac_f32_e32 v42, 0xb2a5705f, v40
	v_sub_f32_e32 v41, v41, v44
	v_add_f32_e32 v41, v41, v42
	v_cvt_i32_f32_e32 v42, v44
	v_exp_f32_e32 v41, v41
	v_cmp_nlt_f32_e32 vcc, s36, v40
	v_ldexp_f32 v41, v41, v42
	s_nop 0
	v_cndmask_b32_e32 v41, 0, v41, vcc
	v_cmp_ngt_f32_e32 vcc, s37, v40
	s_nop 1
	v_cndmask_b32_e32 v40, v68, v41, vcc
	v_sub_f32_e32 v40, 1.0, v40
.LBB406_35:                             ;   in Loop: Header=BB406_9 Depth=1
	s_andn2_saveexec_b64 s[14:15], s[14:15]
; %bb.36:                               ;   in Loop: Header=BB406_9 Depth=1
	v_mul_f32_e32 v40, v37, v37
	v_fmamk_f32 v41, v40, 0xba1345e1, v66
	v_fmaak_f32 v41, v40, v41, 0xbcdac9b8
	v_fmaak_f32 v41, v40, v41, 0x3de703be
	;; [unrolled: 1-line block ×4, first 2 shown]
	v_fma_f32 v40, |v37|, v40, |v37|
; %bb.37:                               ;   in Loop: Header=BB406_9 Depth=1
	s_or_b64 exec, exec, s[14:15]
	v_add_f32_e32 v41, v43, v47
	v_mul_f32_e32 v42, 0x3f3504f3, v41
	v_cmp_nlt_f32_e64 s[14:15], |v42|, 1.0
                                        ; implicit-def: $vgpr43
	s_and_saveexec_b64 s[18:19], s[14:15]
	s_xor_b64 s[14:15], exec, s[18:19]
	s_cbranch_execz .LBB406_39
; %bb.38:                               ;   in Loop: Header=BB406_9 Depth=1
	v_fma_f32 v43, |v42|, s28, v67
	v_fma_f32 v43, |v42|, v43, s29
	;; [unrolled: 1-line block ×6, first 2 shown]
	v_fma_f32 v43, |v42|, v43, |v42|
	v_mul_f32_e32 v44, 0xbfb8aa3b, v43
	v_fma_f32 v45, v43, s35, -v44
	v_rndne_f32_e32 v46, v44
	v_fmac_f32_e32 v45, 0xb2a5705f, v43
	v_sub_f32_e32 v44, v44, v46
	v_add_f32_e32 v44, v44, v45
	v_cvt_i32_f32_e32 v45, v46
	v_exp_f32_e32 v44, v44
	v_cmp_nlt_f32_e32 vcc, s36, v43
	v_ldexp_f32 v44, v44, v45
	s_nop 0
	v_cndmask_b32_e32 v44, 0, v44, vcc
	v_cmp_ngt_f32_e32 vcc, s37, v43
	s_nop 1
	v_cndmask_b32_e32 v43, v68, v44, vcc
	v_sub_f32_e32 v43, 1.0, v43
.LBB406_39:                             ;   in Loop: Header=BB406_9 Depth=1
	s_andn2_saveexec_b64 s[14:15], s[14:15]
; %bb.40:                               ;   in Loop: Header=BB406_9 Depth=1
	v_mul_f32_e32 v43, v42, v42
	v_fmamk_f32 v44, v43, 0xba1345e1, v66
	v_fmaak_f32 v44, v43, v44, 0xbcdac9b8
	v_fmaak_f32 v44, v43, v44, 0x3de703be
	;; [unrolled: 1-line block ×4, first 2 shown]
	v_fma_f32 v43, |v42|, v43, |v42|
; %bb.41:                               ;   in Loop: Header=BB406_9 Depth=1
	s_or_b64 exec, exec, s[14:15]
	v_bfi_b32 v37, s38, v40, v37
	v_add_f32_e32 v24, v24, v28
	v_mul_f32_e32 v36, 0.5, v36
	v_add_f32_e32 v37, 1.0, v37
	v_add_f32_e32 v34, v34, v38
	v_bfi_b32 v38, s38, v43, v42
	v_mul_f32_e32 v28, 0x3f3504f3, v24
	v_mul_f32_e32 v36, v36, v37
	v_add_f32_e32 v35, v35, v39
	v_mul_f32_e32 v37, 0.5, v41
	v_add_f32_e32 v38, 1.0, v38
	v_cmp_nlt_f32_e64 s[14:15], |v28|, 1.0
	v_mul_f32_e32 v37, v37, v38
	;;#ASMSTART
	v_pk_mul_f32 v[34:35], v[36:37], v[34:35]
	;;#ASMEND
                                        ; implicit-def: $vgpr36
	s_and_saveexec_b64 s[18:19], s[14:15]
	s_xor_b64 s[14:15], exec, s[18:19]
	s_cbranch_execz .LBB406_43
; %bb.42:                               ;   in Loop: Header=BB406_9 Depth=1
	v_fma_f32 v36, |v28|, s28, v67
	v_fma_f32 v36, |v28|, v36, s29
	;; [unrolled: 1-line block ×6, first 2 shown]
	v_fma_f32 v36, |v28|, v36, |v28|
	v_mul_f32_e32 v37, 0xbfb8aa3b, v36
	v_fma_f32 v38, v36, s35, -v37
	v_rndne_f32_e32 v39, v37
	v_fmac_f32_e32 v38, 0xb2a5705f, v36
	v_sub_f32_e32 v37, v37, v39
	v_add_f32_e32 v37, v37, v38
	v_cvt_i32_f32_e32 v38, v39
	v_exp_f32_e32 v37, v37
	v_cmp_nlt_f32_e32 vcc, s36, v36
	v_ldexp_f32 v37, v37, v38
	s_nop 0
	v_cndmask_b32_e32 v37, 0, v37, vcc
	v_cmp_ngt_f32_e32 vcc, s37, v36
	s_nop 1
	v_cndmask_b32_e32 v36, v68, v37, vcc
	v_sub_f32_e32 v36, 1.0, v36
.LBB406_43:                             ;   in Loop: Header=BB406_9 Depth=1
	s_andn2_saveexec_b64 s[14:15], s[14:15]
; %bb.44:                               ;   in Loop: Header=BB406_9 Depth=1
	v_mul_f32_e32 v36, v28, v28
	v_fmamk_f32 v37, v36, 0xba1345e1, v66
	v_fmaak_f32 v37, v36, v37, 0xbcdac9b8
	v_fmaak_f32 v37, v36, v37, 0x3de703be
	;; [unrolled: 1-line block ×4, first 2 shown]
	v_fma_f32 v36, |v28|, v36, |v28|
; %bb.45:                               ;   in Loop: Header=BB406_9 Depth=1
	s_or_b64 exec, exec, s[14:15]
	v_add_f32_e32 v25, v25, v29
	v_mul_f32_e32 v29, 0x3f3504f3, v25
	v_cmp_nlt_f32_e64 s[14:15], |v29|, 1.0
                                        ; implicit-def: $vgpr37
	s_and_saveexec_b64 s[18:19], s[14:15]
	s_xor_b64 s[14:15], exec, s[18:19]
	s_cbranch_execz .LBB406_47
; %bb.46:                               ;   in Loop: Header=BB406_9 Depth=1
	v_fma_f32 v37, |v29|, s28, v67
	v_fma_f32 v37, |v29|, v37, s29
	;; [unrolled: 1-line block ×6, first 2 shown]
	v_fma_f32 v37, |v29|, v37, |v29|
	v_mul_f32_e32 v38, 0xbfb8aa3b, v37
	v_fma_f32 v39, v37, s35, -v38
	v_rndne_f32_e32 v40, v38
	v_fmac_f32_e32 v39, 0xb2a5705f, v37
	v_sub_f32_e32 v38, v38, v40
	v_add_f32_e32 v38, v38, v39
	v_cvt_i32_f32_e32 v39, v40
	v_exp_f32_e32 v38, v38
	v_cmp_nlt_f32_e32 vcc, s36, v37
	v_ldexp_f32 v38, v38, v39
	s_nop 0
	v_cndmask_b32_e32 v38, 0, v38, vcc
	v_cmp_ngt_f32_e32 vcc, s37, v37
	s_nop 1
	v_cndmask_b32_e32 v37, v68, v38, vcc
	v_sub_f32_e32 v37, 1.0, v37
.LBB406_47:                             ;   in Loop: Header=BB406_9 Depth=1
	s_andn2_saveexec_b64 s[14:15], s[14:15]
; %bb.48:                               ;   in Loop: Header=BB406_9 Depth=1
	v_mul_f32_e32 v37, v29, v29
	v_fmamk_f32 v38, v37, 0xba1345e1, v66
	v_fmaak_f32 v38, v37, v38, 0xbcdac9b8
	v_fmaak_f32 v38, v37, v38, 0x3de703be
	;; [unrolled: 1-line block ×4, first 2 shown]
	v_fma_f32 v37, |v29|, v37, |v29|
; %bb.49:                               ;   in Loop: Header=BB406_9 Depth=1
	s_or_b64 exec, exec, s[14:15]
	s_waitcnt vmcnt(1)
	v_add_f32_e32 v17, v17, v21
	v_bfi_b32 v21, s38, v37, v29
	v_add_f32_e32 v16, v16, v20
	v_mul_f32_e32 v20, 0.5, v25
	v_add_f32_e32 v21, 1.0, v21
	v_bfi_b32 v28, s38, v36, v28
	v_mul_f32_e32 v25, v20, v21
	v_add_f32_e32 v20, v26, v30
	v_mul_f32_e32 v24, 0.5, v24
	v_add_f32_e32 v28, 1.0, v28
	v_mul_f32_e32 v21, 0x3f3504f3, v20
	v_mul_f32_e32 v24, v24, v28
	v_cmp_nlt_f32_e64 s[14:15], |v21|, 1.0
	;;#ASMSTART
	v_pk_mul_f32 v[16:17], v[24:25], v[16:17]
	;;#ASMEND
                                        ; implicit-def: $vgpr24
	s_and_saveexec_b64 s[18:19], s[14:15]
	s_xor_b64 s[14:15], exec, s[18:19]
	s_cbranch_execz .LBB406_51
; %bb.50:                               ;   in Loop: Header=BB406_9 Depth=1
	v_fma_f32 v24, |v21|, s28, v67
	v_fma_f32 v24, |v21|, v24, s29
	;; [unrolled: 1-line block ×6, first 2 shown]
	v_fma_f32 v24, |v21|, v24, |v21|
	v_mul_f32_e32 v25, 0xbfb8aa3b, v24
	v_fma_f32 v26, v24, s35, -v25
	v_rndne_f32_e32 v28, v25
	v_fmac_f32_e32 v26, 0xb2a5705f, v24
	v_sub_f32_e32 v25, v25, v28
	v_add_f32_e32 v25, v25, v26
	v_cvt_i32_f32_e32 v26, v28
	v_exp_f32_e32 v25, v25
	v_cmp_nlt_f32_e32 vcc, s36, v24
	v_ldexp_f32 v25, v25, v26
	s_nop 0
	v_cndmask_b32_e32 v25, 0, v25, vcc
	v_cmp_ngt_f32_e32 vcc, s37, v24
	s_nop 1
	v_cndmask_b32_e32 v24, v68, v25, vcc
	v_sub_f32_e32 v24, 1.0, v24
.LBB406_51:                             ;   in Loop: Header=BB406_9 Depth=1
	s_andn2_saveexec_b64 s[14:15], s[14:15]
; %bb.52:                               ;   in Loop: Header=BB406_9 Depth=1
	v_mul_f32_e32 v24, v21, v21
	v_fmamk_f32 v25, v24, 0xba1345e1, v66
	v_fmaak_f32 v25, v24, v25, 0xbcdac9b8
	v_fmaak_f32 v25, v24, v25, 0x3de703be
	v_fmaak_f32 v25, v24, v25, 0xbec09330
	v_fmaak_f32 v24, v24, v25, 0x3e0375d0
	v_fma_f32 v24, |v21|, v24, |v21|
; %bb.53:                               ;   in Loop: Header=BB406_9 Depth=1
	s_or_b64 exec, exec, s[14:15]
	v_add_f32_e32 v25, v27, v31
	v_mul_f32_e32 v26, 0x3f3504f3, v25
	v_cmp_nlt_f32_e64 s[14:15], |v26|, 1.0
                                        ; implicit-def: $vgpr27
	s_and_saveexec_b64 s[18:19], s[14:15]
	s_xor_b64 s[14:15], exec, s[18:19]
	s_cbranch_execz .LBB406_55
; %bb.54:                               ;   in Loop: Header=BB406_9 Depth=1
	v_fma_f32 v27, |v26|, s28, v67
	v_fma_f32 v27, |v26|, v27, s29
	;; [unrolled: 1-line block ×6, first 2 shown]
	v_fma_f32 v27, |v26|, v27, |v26|
	v_mul_f32_e32 v28, 0xbfb8aa3b, v27
	v_fma_f32 v29, v27, s35, -v28
	v_rndne_f32_e32 v30, v28
	v_fmac_f32_e32 v29, 0xb2a5705f, v27
	v_sub_f32_e32 v28, v28, v30
	v_add_f32_e32 v28, v28, v29
	v_cvt_i32_f32_e32 v29, v30
	v_exp_f32_e32 v28, v28
	v_cmp_nlt_f32_e32 vcc, s36, v27
	v_ldexp_f32 v28, v28, v29
	s_nop 0
	v_cndmask_b32_e32 v28, 0, v28, vcc
	v_cmp_ngt_f32_e32 vcc, s37, v27
	s_nop 1
	v_cndmask_b32_e32 v27, v68, v28, vcc
	v_sub_f32_e32 v27, 1.0, v27
.LBB406_55:                             ;   in Loop: Header=BB406_9 Depth=1
	s_andn2_saveexec_b64 s[14:15], s[14:15]
; %bb.56:                               ;   in Loop: Header=BB406_9 Depth=1
	v_mul_f32_e32 v27, v26, v26
	v_fmamk_f32 v28, v27, 0xba1345e1, v66
	v_fmaak_f32 v28, v27, v28, 0xbcdac9b8
	v_fmaak_f32 v28, v27, v28, 0x3de703be
	;; [unrolled: 1-line block ×4, first 2 shown]
	v_fma_f32 v27, |v26|, v27, |v26|
; %bb.57:                               ;   in Loop: Header=BB406_9 Depth=1
	s_or_b64 exec, exec, s[14:15]
	v_bfi_b32 v21, s38, v24, v21
	v_add_f32_e32 v8, v8, v12
	v_mul_f32_e32 v20, 0.5, v20
	v_add_f32_e32 v21, 1.0, v21
	v_add_f32_e32 v18, v18, v22
	v_bfi_b32 v22, s38, v27, v26
	v_mul_f32_e32 v12, 0x3f3504f3, v8
	v_mul_f32_e32 v20, v20, v21
	v_add_f32_e32 v19, v19, v23
	v_mul_f32_e32 v21, 0.5, v25
	v_add_f32_e32 v22, 1.0, v22
	v_cmp_nlt_f32_e64 s[14:15], |v12|, 1.0
	v_mul_f32_e32 v21, v21, v22
	;;#ASMSTART
	v_pk_mul_f32 v[18:19], v[20:21], v[18:19]
	;;#ASMEND
                                        ; implicit-def: $vgpr20
	s_and_saveexec_b64 s[18:19], s[14:15]
	s_xor_b64 s[14:15], exec, s[18:19]
	s_cbranch_execz .LBB406_59
; %bb.58:                               ;   in Loop: Header=BB406_9 Depth=1
	v_fma_f32 v20, |v12|, s28, v67
	v_fma_f32 v20, |v12|, v20, s29
	;; [unrolled: 1-line block ×6, first 2 shown]
	v_fma_f32 v20, |v12|, v20, |v12|
	v_mul_f32_e32 v21, 0xbfb8aa3b, v20
	v_fma_f32 v22, v20, s35, -v21
	v_rndne_f32_e32 v23, v21
	v_fmac_f32_e32 v22, 0xb2a5705f, v20
	v_sub_f32_e32 v21, v21, v23
	v_add_f32_e32 v21, v21, v22
	v_cvt_i32_f32_e32 v22, v23
	v_exp_f32_e32 v21, v21
	v_cmp_nlt_f32_e32 vcc, s36, v20
	v_ldexp_f32 v21, v21, v22
	s_nop 0
	v_cndmask_b32_e32 v21, 0, v21, vcc
	v_cmp_ngt_f32_e32 vcc, s37, v20
	s_nop 1
	v_cndmask_b32_e32 v20, v68, v21, vcc
	v_sub_f32_e32 v20, 1.0, v20
.LBB406_59:                             ;   in Loop: Header=BB406_9 Depth=1
	s_andn2_saveexec_b64 s[14:15], s[14:15]
; %bb.60:                               ;   in Loop: Header=BB406_9 Depth=1
	v_mul_f32_e32 v20, v12, v12
	v_fmamk_f32 v21, v20, 0xba1345e1, v66
	v_fmaak_f32 v21, v20, v21, 0xbcdac9b8
	v_fmaak_f32 v21, v20, v21, 0x3de703be
	;; [unrolled: 1-line block ×4, first 2 shown]
	v_fma_f32 v20, |v12|, v20, |v12|
; %bb.61:                               ;   in Loop: Header=BB406_9 Depth=1
	s_or_b64 exec, exec, s[14:15]
	v_add_f32_e32 v9, v9, v13
	v_mul_f32_e32 v13, 0x3f3504f3, v9
	v_cmp_nlt_f32_e64 s[14:15], |v13|, 1.0
                                        ; implicit-def: $vgpr21
	s_and_saveexec_b64 s[18:19], s[14:15]
	s_xor_b64 s[14:15], exec, s[18:19]
	s_cbranch_execz .LBB406_63
; %bb.62:                               ;   in Loop: Header=BB406_9 Depth=1
	v_fma_f32 v21, |v13|, s28, v67
	v_fma_f32 v21, |v13|, v21, s29
	;; [unrolled: 1-line block ×6, first 2 shown]
	v_fma_f32 v21, |v13|, v21, |v13|
	v_mul_f32_e32 v22, 0xbfb8aa3b, v21
	v_fma_f32 v23, v21, s35, -v22
	v_rndne_f32_e32 v24, v22
	v_fmac_f32_e32 v23, 0xb2a5705f, v21
	v_sub_f32_e32 v22, v22, v24
	v_add_f32_e32 v22, v22, v23
	v_cvt_i32_f32_e32 v23, v24
	v_exp_f32_e32 v22, v22
	v_cmp_nlt_f32_e32 vcc, s36, v21
	v_ldexp_f32 v22, v22, v23
	s_nop 0
	v_cndmask_b32_e32 v22, 0, v22, vcc
	v_cmp_ngt_f32_e32 vcc, s37, v21
	s_nop 1
	v_cndmask_b32_e32 v21, v68, v22, vcc
	v_sub_f32_e32 v21, 1.0, v21
.LBB406_63:                             ;   in Loop: Header=BB406_9 Depth=1
	s_andn2_saveexec_b64 s[14:15], s[14:15]
; %bb.64:                               ;   in Loop: Header=BB406_9 Depth=1
	v_mul_f32_e32 v21, v13, v13
	v_fmamk_f32 v22, v21, 0xba1345e1, v66
	v_fmaak_f32 v22, v21, v22, 0xbcdac9b8
	v_fmaak_f32 v22, v21, v22, 0x3de703be
	v_fmaak_f32 v22, v21, v22, 0xbec09330
	v_fmaak_f32 v21, v21, v22, 0x3e0375d0
	v_fma_f32 v21, |v13|, v21, |v13|
; %bb.65:                               ;   in Loop: Header=BB406_9 Depth=1
	s_or_b64 exec, exec, s[14:15]
	s_waitcnt vmcnt(0)
	v_add_f32_e32 v1, v1, v5
	v_bfi_b32 v5, s38, v21, v13
	v_add_f32_e32 v0, v0, v4
	v_mul_f32_e32 v4, 0.5, v9
	v_add_f32_e32 v5, 1.0, v5
	v_bfi_b32 v12, s38, v20, v12
	v_mul_f32_e32 v9, v4, v5
	v_add_f32_e32 v4, v10, v14
	v_mul_f32_e32 v8, 0.5, v8
	v_add_f32_e32 v12, 1.0, v12
	v_mul_f32_e32 v5, 0x3f3504f3, v4
	v_mul_f32_e32 v8, v8, v12
	v_cmp_nlt_f32_e64 s[14:15], |v5|, 1.0
	;;#ASMSTART
	v_pk_mul_f32 v[0:1], v[8:9], v[0:1]
	;;#ASMEND
                                        ; implicit-def: $vgpr8
	s_and_saveexec_b64 s[18:19], s[14:15]
	s_xor_b64 s[14:15], exec, s[18:19]
	s_cbranch_execz .LBB406_67
; %bb.66:                               ;   in Loop: Header=BB406_9 Depth=1
	v_fma_f32 v8, |v5|, s28, v67
	v_fma_f32 v8, |v5|, v8, s29
	;; [unrolled: 1-line block ×6, first 2 shown]
	v_fma_f32 v8, |v5|, v8, |v5|
	v_mul_f32_e32 v9, 0xbfb8aa3b, v8
	v_fma_f32 v10, v8, s35, -v9
	v_rndne_f32_e32 v12, v9
	v_fmac_f32_e32 v10, 0xb2a5705f, v8
	v_sub_f32_e32 v9, v9, v12
	v_add_f32_e32 v9, v9, v10
	v_cvt_i32_f32_e32 v10, v12
	v_exp_f32_e32 v9, v9
	v_cmp_nlt_f32_e32 vcc, s36, v8
	v_ldexp_f32 v9, v9, v10
	s_nop 0
	v_cndmask_b32_e32 v9, 0, v9, vcc
	v_cmp_ngt_f32_e32 vcc, s37, v8
	s_nop 1
	v_cndmask_b32_e32 v8, v68, v9, vcc
	v_sub_f32_e32 v8, 1.0, v8
.LBB406_67:                             ;   in Loop: Header=BB406_9 Depth=1
	s_andn2_saveexec_b64 s[14:15], s[14:15]
; %bb.68:                               ;   in Loop: Header=BB406_9 Depth=1
	v_mul_f32_e32 v8, v5, v5
	v_fmamk_f32 v9, v8, 0xba1345e1, v66
	v_fmaak_f32 v9, v8, v9, 0xbcdac9b8
	v_fmaak_f32 v9, v8, v9, 0x3de703be
	;; [unrolled: 1-line block ×4, first 2 shown]
	v_fma_f32 v8, |v5|, v8, |v5|
; %bb.69:                               ;   in Loop: Header=BB406_9 Depth=1
	s_or_b64 exec, exec, s[14:15]
	v_add_f32_e32 v9, v11, v15
	v_mul_f32_e32 v10, 0x3f3504f3, v9
	v_cmp_nlt_f32_e64 s[14:15], |v10|, 1.0
                                        ; implicit-def: $vgpr11
	s_and_saveexec_b64 s[18:19], s[14:15]
	s_xor_b64 s[14:15], exec, s[18:19]
	s_cbranch_execz .LBB406_71
; %bb.70:                               ;   in Loop: Header=BB406_9 Depth=1
	v_fma_f32 v11, |v10|, s28, v67
	v_fma_f32 v11, |v10|, v11, s29
	v_fma_f32 v11, |v10|, v11, s30
	v_fma_f32 v11, |v10|, v11, s31
	v_fma_f32 v11, |v10|, v11, s33
	v_fma_f32 v11, |v10|, v11, s34
	v_fma_f32 v11, |v10|, v11, |v10|
	v_mul_f32_e32 v12, 0xbfb8aa3b, v11
	v_fma_f32 v13, v11, s35, -v12
	v_rndne_f32_e32 v14, v12
	v_fmac_f32_e32 v13, 0xb2a5705f, v11
	v_sub_f32_e32 v12, v12, v14
	v_add_f32_e32 v12, v12, v13
	v_cvt_i32_f32_e32 v13, v14
	v_exp_f32_e32 v12, v12
	v_cmp_nlt_f32_e32 vcc, s36, v11
	v_ldexp_f32 v12, v12, v13
	s_nop 0
	v_cndmask_b32_e32 v12, 0, v12, vcc
	v_cmp_ngt_f32_e32 vcc, s37, v11
	s_nop 1
	v_cndmask_b32_e32 v11, v68, v12, vcc
	v_sub_f32_e32 v11, 1.0, v11
.LBB406_71:                             ;   in Loop: Header=BB406_9 Depth=1
	s_andn2_saveexec_b64 s[14:15], s[14:15]
	s_cbranch_execz .LBB406_8
; %bb.72:                               ;   in Loop: Header=BB406_9 Depth=1
	v_mul_f32_e32 v11, v10, v10
	v_fmamk_f32 v12, v11, 0xba1345e1, v66
	v_fmaak_f32 v12, v11, v12, 0xbcdac9b8
	v_fmaak_f32 v12, v11, v12, 0x3de703be
	;; [unrolled: 1-line block ×4, first 2 shown]
	v_fma_f32 v11, |v10|, v11, |v10|
	s_branch .LBB406_8
.LBB406_73:
	s_endpgm
	.section	.rodata,"a",@progbits
	.p2align	6, 0x0
	.amdhsa_kernel _ZN5aiter23act_and_mul_bias_kernelIftsfTnPFfRKT2_EXadL_ZNS_11gelu_kernelIfEEfRKT_EELi16EEEvPT0_PS8_PKT1_PS2_il
		.amdhsa_group_segment_fixed_size 0
		.amdhsa_private_segment_fixed_size 0
		.amdhsa_kernarg_size 304
		.amdhsa_user_sgpr_count 2
		.amdhsa_user_sgpr_dispatch_ptr 0
		.amdhsa_user_sgpr_queue_ptr 0
		.amdhsa_user_sgpr_kernarg_segment_ptr 1
		.amdhsa_user_sgpr_dispatch_id 0
		.amdhsa_user_sgpr_kernarg_preload_length 0
		.amdhsa_user_sgpr_kernarg_preload_offset 0
		.amdhsa_user_sgpr_private_segment_size 0
		.amdhsa_uses_dynamic_stack 0
		.amdhsa_enable_private_segment 0
		.amdhsa_system_sgpr_workgroup_id_x 1
		.amdhsa_system_sgpr_workgroup_id_y 0
		.amdhsa_system_sgpr_workgroup_id_z 0
		.amdhsa_system_sgpr_workgroup_info 0
		.amdhsa_system_vgpr_workitem_id 0
		.amdhsa_next_free_vgpr 74
		.amdhsa_next_free_sgpr 40
		.amdhsa_accum_offset 76
		.amdhsa_reserve_vcc 1
		.amdhsa_float_round_mode_32 0
		.amdhsa_float_round_mode_16_64 0
		.amdhsa_float_denorm_mode_32 3
		.amdhsa_float_denorm_mode_16_64 3
		.amdhsa_dx10_clamp 1
		.amdhsa_ieee_mode 1
		.amdhsa_fp16_overflow 0
		.amdhsa_tg_split 0
		.amdhsa_exception_fp_ieee_invalid_op 0
		.amdhsa_exception_fp_denorm_src 0
		.amdhsa_exception_fp_ieee_div_zero 0
		.amdhsa_exception_fp_ieee_overflow 0
		.amdhsa_exception_fp_ieee_underflow 0
		.amdhsa_exception_fp_ieee_inexact 0
		.amdhsa_exception_int_div_zero 0
	.end_amdhsa_kernel
	.section	.text._ZN5aiter23act_and_mul_bias_kernelIftsfTnPFfRKT2_EXadL_ZNS_11gelu_kernelIfEEfRKT_EELi16EEEvPT0_PS8_PKT1_PS2_il,"axG",@progbits,_ZN5aiter23act_and_mul_bias_kernelIftsfTnPFfRKT2_EXadL_ZNS_11gelu_kernelIfEEfRKT_EELi16EEEvPT0_PS8_PKT1_PS2_il,comdat
.Lfunc_end406:
	.size	_ZN5aiter23act_and_mul_bias_kernelIftsfTnPFfRKT2_EXadL_ZNS_11gelu_kernelIfEEfRKT_EELi16EEEvPT0_PS8_PKT1_PS2_il, .Lfunc_end406-_ZN5aiter23act_and_mul_bias_kernelIftsfTnPFfRKT2_EXadL_ZNS_11gelu_kernelIfEEfRKT_EELi16EEEvPT0_PS8_PKT1_PS2_il
                                        ; -- End function
	.section	.AMDGPU.csdata,"",@progbits
; Kernel info:
; codeLenInByte = 5036
; NumSgprs: 46
; NumVgprs: 74
; NumAgprs: 0
; TotalNumVgprs: 74
; ScratchSize: 0
; MemoryBound: 0
; FloatMode: 240
; IeeeMode: 1
; LDSByteSize: 0 bytes/workgroup (compile time only)
; SGPRBlocks: 5
; VGPRBlocks: 9
; NumSGPRsForWavesPerEU: 46
; NumVGPRsForWavesPerEU: 74
; AccumOffset: 76
; Occupancy: 6
; WaveLimiterHint : 0
; COMPUTE_PGM_RSRC2:SCRATCH_EN: 0
; COMPUTE_PGM_RSRC2:USER_SGPR: 2
; COMPUTE_PGM_RSRC2:TRAP_HANDLER: 0
; COMPUTE_PGM_RSRC2:TGID_X_EN: 1
; COMPUTE_PGM_RSRC2:TGID_Y_EN: 0
; COMPUTE_PGM_RSRC2:TGID_Z_EN: 0
; COMPUTE_PGM_RSRC2:TIDIG_COMP_CNT: 0
; COMPUTE_PGM_RSRC3_GFX90A:ACCUM_OFFSET: 18
; COMPUTE_PGM_RSRC3_GFX90A:TG_SPLIT: 0
	.section	.text._ZN5aiter23act_and_mul_bias_kernelIftsfTnPFfRKT2_EXadL_ZNS_11gelu_kernelIfEEfRKT_EELi8EEEvPT0_PS8_PKT1_PS2_il,"axG",@progbits,_ZN5aiter23act_and_mul_bias_kernelIftsfTnPFfRKT2_EXadL_ZNS_11gelu_kernelIfEEfRKT_EELi8EEEvPT0_PS8_PKT1_PS2_il,comdat
	.protected	_ZN5aiter23act_and_mul_bias_kernelIftsfTnPFfRKT2_EXadL_ZNS_11gelu_kernelIfEEfRKT_EELi8EEEvPT0_PS8_PKT1_PS2_il ; -- Begin function _ZN5aiter23act_and_mul_bias_kernelIftsfTnPFfRKT2_EXadL_ZNS_11gelu_kernelIfEEfRKT_EELi8EEEvPT0_PS8_PKT1_PS2_il
	.globl	_ZN5aiter23act_and_mul_bias_kernelIftsfTnPFfRKT2_EXadL_ZNS_11gelu_kernelIfEEfRKT_EELi8EEEvPT0_PS8_PKT1_PS2_il
	.p2align	8
	.type	_ZN5aiter23act_and_mul_bias_kernelIftsfTnPFfRKT2_EXadL_ZNS_11gelu_kernelIfEEfRKT_EELi8EEEvPT0_PS8_PKT1_PS2_il,@function
_ZN5aiter23act_and_mul_bias_kernelIftsfTnPFfRKT2_EXadL_ZNS_11gelu_kernelIfEEfRKT_EELi8EEEvPT0_PS8_PKT1_PS2_il: ; @_ZN5aiter23act_and_mul_bias_kernelIftsfTnPFfRKT2_EXadL_ZNS_11gelu_kernelIfEEfRKT_EELi8EEEvPT0_PS8_PKT1_PS2_il
; %bb.0:
	s_load_dwordx2 s[4:5], s[0:1], 0x10
	s_load_dword s24, s[0:1], 0x20
	s_load_dwordx2 s[6:7], s[0:1], 0x28
	s_mov_b32 s3, 0
	s_lshl_b64 s[8:9], s[2:3], 1
	s_waitcnt lgkmcnt(0)
	s_add_u32 s4, s4, s8
	s_addc_u32 s5, s5, s9
	v_mov_b32_e32 v1, 0
	global_load_ushort v1, v1, s[4:5]
	s_load_dwordx2 s[4:5], s[0:1], 0x0
	s_ashr_i32 s25, s24, 31
	s_mul_hi_u32 s3, s24, s2
	v_mov_b64_e32 v[2:3], s[6:7]
	s_mul_i32 s6, s25, s2
	s_mul_i32 s8, s24, s2
	s_add_i32 s9, s3, s6
	s_lshl_b64 s[6:7], s[8:9], 1
	s_mov_b64 s[10:11], -1
	v_lshlrev_b32_e32 v32, 3, v0
	s_waitcnt vmcnt(0)
	v_readfirstlane_b32 s3, v1
	s_sext_i32_i16 s8, s3
	s_ashr_i32 s9, s8, 31
	s_waitcnt lgkmcnt(0)
	s_add_u32 s4, s4, s6
	s_addc_u32 s3, s5, s7
	s_add_i32 s6, s24, 1
	s_lshr_b32 s7, s6, 31
	s_add_i32 s6, s6, s7
	s_and_b32 s5, s3, 0xffff
	s_lshl_b32 s3, s6, 1
	s_and_b32 s6, s3, -4
	s_cmp_gt_i32 s8, -1
	v_cmp_lt_i64_e32 vcc, s[8:9], v[2:3]
	s_cselect_b64 s[12:13], -1, 0
	s_and_b64 s[12:13], s[12:13], vcc
	s_and_b64 vcc, exec, s[12:13]
	s_cbranch_vccnz .LBB407_5
; %bb.1:
	v_cmp_gt_i32_e32 vcc, s24, v32
	s_and_saveexec_b64 s[10:11], vcc
	s_cbranch_execz .LBB407_4
; %bb.2:
	s_load_dword s3, s[0:1], 0x3c
	v_mov_b32_e32 v33, 0
	s_mov_b32 s13, 0
	v_lshlrev_b32_e32 v6, 4, v0
	s_mov_b64 s[14:15], 0
	s_waitcnt lgkmcnt(0)
	s_and_b32 s3, s3, 0xffff
	s_lshl_b32 s12, s3, 3
	s_lshl_b32 s3, s3, 4
	s_mov_b32 s7, 0x20000
	v_mov_b32_e32 v0, v33
	v_mov_b32_e32 v1, v33
	v_mov_b32_e32 v2, v33
	v_mov_b32_e32 v3, v33
	v_mov_b64_e32 v[4:5], v[32:33]
.LBB407_3:                              ; =>This Inner Loop Header: Depth=1
	v_lshl_add_u64 v[4:5], s[12:13], 0, v[4:5]
	v_cmp_le_i64_e32 vcc, s[24:25], v[4:5]
	buffer_store_dwordx4 v[0:3], v6, s[4:7], 0 offen
	s_or_b64 s[14:15], vcc, s[14:15]
	v_add_u32_e32 v6, s3, v6
	s_andn2_b64 exec, exec, s[14:15]
	s_cbranch_execnz .LBB407_3
.LBB407_4:
	s_or_b64 exec, exec, s[10:11]
	s_mov_b64 s[10:11], 0
.LBB407_5:
	s_andn2_b64 vcc, exec, s[10:11]
	s_cbranch_vccnz .LBB407_41
; %bb.6:
	v_cmp_gt_i32_e32 vcc, s24, v32
	s_and_saveexec_b64 s[10:11], vcc
	s_cbranch_execz .LBB407_41
; %bb.7:
	s_load_dwordx2 s[14:15], s[0:1], 0x8
	s_load_dwordx2 s[12:13], s[0:1], 0x18
	s_mul_hi_i32 s9, s24, s8
	s_mul_i32 s8, s24, s8
	s_lshl_b32 s10, s24, 2
	s_lshl_b64 s[8:9], s[8:9], 3
	s_waitcnt lgkmcnt(0)
	s_add_u32 s8, s12, s8
	s_addc_u32 s3, s13, s9
	s_lshl_b64 s[18:19], s[24:25], 2
	s_add_u32 s12, s8, s18
	s_addc_u32 s13, s3, s19
	s_and_b32 s9, s3, 0xffff
	s_mul_i32 s3, s2, s25
	s_mul_hi_u32 s16, s2, s24
	s_add_i32 s3, s16, s3
	s_mul_i32 s2, s2, s24
	s_and_b32 s13, s13, 0xffff
	s_lshl_b64 s[2:3], s[2:3], 3
	s_add_u32 s16, s14, s2
	s_addc_u32 s2, s15, s3
	s_add_u32 s20, s16, s18
	s_addc_u32 s3, s2, s19
	s_and_b32 s17, s2, 0xffff
	s_and_b32 s21, s3, 0xffff
	s_mov_b32 s7, 0x20000
	s_add_u32 s0, s0, 48
	s_mov_b32 s11, s7
	v_mov_b32_e32 v33, 0
	s_addc_u32 s1, s1, 0
	s_mov_b64 s[2:3], 0
	s_mov_b32 s23, s7
	s_mov_b32 s22, s10
	;; [unrolled: 1-line block ×14, first 2 shown]
	v_mov_b32_e32 v34, 0x3ba10414
	s_brev_b32 s38, -2
	s_mov_b32 s39, 0x7060302
	v_mov_b32_e32 v35, 0xb9c68948
	v_mov_b32_e32 v36, 0x7f800000
                                        ; implicit-def: $vgpr0
                                        ; implicit-def: $vgpr0
	;; [unrolled: 1-line block ×4, first 2 shown]
	s_branch .LBB407_9
.LBB407_8:                              ;   in Loop: Header=BB407_9 Depth=1
	s_or_b64 exec, exec, s[14:15]
	v_bfi_b32 v5, s38, v8, v5
	v_mul_f32_e32 v4, 0.5, v4
	v_add_f32_e32 v5, 1.0, v5
	v_add_f32_e32 v2, v2, v6
	v_bfi_b32 v6, s38, v11, v10
	v_mul_f32_e32 v4, v4, v5
	v_add_f32_e32 v3, v3, v7
	v_mul_f32_e32 v5, 0.5, v9
	v_add_f32_e32 v6, 1.0, v6
	v_mul_f32_e32 v5, v5, v6
	;;#ASMSTART
	v_pk_mul_f32 v[2:3], v[4:5], v[2:3]
	;;#ASMEND
	s_load_dword s14, s[0:1], 0xc
	v_lshlrev_b32_e32 v4, 1, v32
	v_perm_b32 v3, v3, v2, s39
	v_perm_b32 v2, v1, v0, s39
	;; [unrolled: 1-line block ×3, first 2 shown]
	s_waitcnt lgkmcnt(0)
	s_and_b32 s14, s14, 0xffff
	s_lshl_b32 s26, s14, 3
	v_lshl_add_u64 v[32:33], s[26:27], 0, v[32:33]
	v_cmp_le_i64_e32 vcc, s[24:25], v[32:33]
	v_perm_b32 v0, v17, v16, s39
	s_or_b64 s[2:3], vcc, s[2:3]
	buffer_store_dwordx4 v[0:3], v4, s[4:7], 0 offen
	s_andn2_b64 exec, exec, s[2:3]
	s_cbranch_execz .LBB407_41
.LBB407_9:                              ; =>This Inner Loop Header: Depth=1
	v_lshlrev_b32_e32 v37, 2, v32
	buffer_load_dwordx4 v[24:27], v37, s[16:19], 0 offen
	buffer_load_dwordx4 v[8:11], v37, s[16:19], 16 offen
	;; [unrolled: 1-line block ×6, first 2 shown]
	s_mov_b32 s14, s10
	s_mov_b32 s15, s11
	buffer_load_dwordx4 v[20:23], v37, s[12:15], 0 offen
	buffer_load_dwordx4 v[4:7], v37, s[12:15], 16 offen
                                        ; implicit-def: $vgpr37
	s_waitcnt vmcnt(3)
	v_add_f32_e32 v24, v24, v28
	v_mul_f32_e32 v28, 0x3f3504f3, v24
	v_cmp_nlt_f32_e64 s[14:15], |v28|, 1.0
	s_and_saveexec_b64 s[40:41], s[14:15]
	s_xor_b64 s[14:15], exec, s[40:41]
	s_cbranch_execz .LBB407_11
; %bb.10:                               ;   in Loop: Header=BB407_9 Depth=1
	v_fma_f32 v37, |v28|, s28, v35
	v_fma_f32 v37, |v28|, v37, s29
	;; [unrolled: 1-line block ×6, first 2 shown]
	v_fma_f32 v37, |v28|, v37, |v28|
	v_mul_f32_e32 v38, 0xbfb8aa3b, v37
	v_fma_f32 v39, v37, s35, -v38
	v_rndne_f32_e32 v40, v38
	v_fmac_f32_e32 v39, 0xb2a5705f, v37
	v_sub_f32_e32 v38, v38, v40
	v_add_f32_e32 v38, v38, v39
	v_cvt_i32_f32_e32 v39, v40
	v_exp_f32_e32 v38, v38
	v_cmp_nlt_f32_e32 vcc, s36, v37
	v_ldexp_f32 v38, v38, v39
	s_nop 0
	v_cndmask_b32_e32 v38, 0, v38, vcc
	v_cmp_ngt_f32_e32 vcc, s37, v37
	s_nop 1
	v_cndmask_b32_e32 v37, v36, v38, vcc
	v_sub_f32_e32 v37, 1.0, v37
.LBB407_11:                             ;   in Loop: Header=BB407_9 Depth=1
	s_andn2_saveexec_b64 s[14:15], s[14:15]
; %bb.12:                               ;   in Loop: Header=BB407_9 Depth=1
	v_mul_f32_e32 v37, v28, v28
	v_fmamk_f32 v38, v37, 0xba1345e1, v34
	v_fmaak_f32 v38, v37, v38, 0xbcdac9b8
	v_fmaak_f32 v38, v37, v38, 0x3de703be
	;; [unrolled: 1-line block ×4, first 2 shown]
	v_fma_f32 v37, |v28|, v37, |v28|
; %bb.13:                               ;   in Loop: Header=BB407_9 Depth=1
	s_or_b64 exec, exec, s[14:15]
	v_add_f32_e32 v25, v25, v29
	v_mul_f32_e32 v29, 0x3f3504f3, v25
	v_cmp_nlt_f32_e64 s[14:15], |v29|, 1.0
                                        ; implicit-def: $vgpr38
	s_and_saveexec_b64 s[40:41], s[14:15]
	s_xor_b64 s[14:15], exec, s[40:41]
	s_cbranch_execz .LBB407_15
; %bb.14:                               ;   in Loop: Header=BB407_9 Depth=1
	v_fma_f32 v38, |v29|, s28, v35
	v_fma_f32 v38, |v29|, v38, s29
	;; [unrolled: 1-line block ×6, first 2 shown]
	v_fma_f32 v38, |v29|, v38, |v29|
	v_mul_f32_e32 v39, 0xbfb8aa3b, v38
	v_fma_f32 v40, v38, s35, -v39
	v_rndne_f32_e32 v41, v39
	v_fmac_f32_e32 v40, 0xb2a5705f, v38
	v_sub_f32_e32 v39, v39, v41
	v_add_f32_e32 v39, v39, v40
	v_cvt_i32_f32_e32 v40, v41
	v_exp_f32_e32 v39, v39
	v_cmp_nlt_f32_e32 vcc, s36, v38
	v_ldexp_f32 v39, v39, v40
	s_nop 0
	v_cndmask_b32_e32 v39, 0, v39, vcc
	v_cmp_ngt_f32_e32 vcc, s37, v38
	s_nop 1
	v_cndmask_b32_e32 v38, v36, v39, vcc
	v_sub_f32_e32 v38, 1.0, v38
.LBB407_15:                             ;   in Loop: Header=BB407_9 Depth=1
	s_andn2_saveexec_b64 s[14:15], s[14:15]
; %bb.16:                               ;   in Loop: Header=BB407_9 Depth=1
	v_mul_f32_e32 v38, v29, v29
	v_fmamk_f32 v39, v38, 0xba1345e1, v34
	v_fmaak_f32 v39, v38, v39, 0xbcdac9b8
	v_fmaak_f32 v39, v38, v39, 0x3de703be
	;; [unrolled: 1-line block ×4, first 2 shown]
	v_fma_f32 v38, |v29|, v38, |v29|
; %bb.17:                               ;   in Loop: Header=BB407_9 Depth=1
	s_or_b64 exec, exec, s[14:15]
	s_waitcnt vmcnt(1)
	v_add_f32_e32 v17, v17, v21
	v_bfi_b32 v21, s38, v38, v29
	v_add_f32_e32 v16, v16, v20
	v_mul_f32_e32 v20, 0.5, v25
	v_add_f32_e32 v21, 1.0, v21
	v_bfi_b32 v28, s38, v37, v28
	v_mul_f32_e32 v25, v20, v21
	v_add_f32_e32 v20, v26, v30
	v_mul_f32_e32 v24, 0.5, v24
	v_add_f32_e32 v28, 1.0, v28
	v_mul_f32_e32 v21, 0x3f3504f3, v20
	v_mul_f32_e32 v24, v24, v28
	v_cmp_nlt_f32_e64 s[14:15], |v21|, 1.0
	;;#ASMSTART
	v_pk_mul_f32 v[16:17], v[24:25], v[16:17]
	;;#ASMEND
                                        ; implicit-def: $vgpr24
	s_and_saveexec_b64 s[40:41], s[14:15]
	s_xor_b64 s[14:15], exec, s[40:41]
	s_cbranch_execz .LBB407_19
; %bb.18:                               ;   in Loop: Header=BB407_9 Depth=1
	v_fma_f32 v24, |v21|, s28, v35
	v_fma_f32 v24, |v21|, v24, s29
	;; [unrolled: 1-line block ×6, first 2 shown]
	v_fma_f32 v24, |v21|, v24, |v21|
	v_mul_f32_e32 v25, 0xbfb8aa3b, v24
	v_fma_f32 v26, v24, s35, -v25
	v_rndne_f32_e32 v28, v25
	v_fmac_f32_e32 v26, 0xb2a5705f, v24
	v_sub_f32_e32 v25, v25, v28
	v_add_f32_e32 v25, v25, v26
	v_cvt_i32_f32_e32 v26, v28
	v_exp_f32_e32 v25, v25
	v_cmp_nlt_f32_e32 vcc, s36, v24
	v_ldexp_f32 v25, v25, v26
	s_nop 0
	v_cndmask_b32_e32 v25, 0, v25, vcc
	v_cmp_ngt_f32_e32 vcc, s37, v24
	s_nop 1
	v_cndmask_b32_e32 v24, v36, v25, vcc
	v_sub_f32_e32 v24, 1.0, v24
.LBB407_19:                             ;   in Loop: Header=BB407_9 Depth=1
	s_andn2_saveexec_b64 s[14:15], s[14:15]
; %bb.20:                               ;   in Loop: Header=BB407_9 Depth=1
	v_mul_f32_e32 v24, v21, v21
	v_fmamk_f32 v25, v24, 0xba1345e1, v34
	v_fmaak_f32 v25, v24, v25, 0xbcdac9b8
	v_fmaak_f32 v25, v24, v25, 0x3de703be
	;; [unrolled: 1-line block ×4, first 2 shown]
	v_fma_f32 v24, |v21|, v24, |v21|
; %bb.21:                               ;   in Loop: Header=BB407_9 Depth=1
	s_or_b64 exec, exec, s[14:15]
	v_add_f32_e32 v25, v27, v31
	v_mul_f32_e32 v26, 0x3f3504f3, v25
	v_cmp_nlt_f32_e64 s[14:15], |v26|, 1.0
                                        ; implicit-def: $vgpr27
	s_and_saveexec_b64 s[40:41], s[14:15]
	s_xor_b64 s[14:15], exec, s[40:41]
	s_cbranch_execz .LBB407_23
; %bb.22:                               ;   in Loop: Header=BB407_9 Depth=1
	v_fma_f32 v27, |v26|, s28, v35
	v_fma_f32 v27, |v26|, v27, s29
	v_fma_f32 v27, |v26|, v27, s30
	v_fma_f32 v27, |v26|, v27, s31
	v_fma_f32 v27, |v26|, v27, s33
	v_fma_f32 v27, |v26|, v27, s34
	v_fma_f32 v27, |v26|, v27, |v26|
	v_mul_f32_e32 v28, 0xbfb8aa3b, v27
	v_fma_f32 v29, v27, s35, -v28
	v_rndne_f32_e32 v30, v28
	v_fmac_f32_e32 v29, 0xb2a5705f, v27
	v_sub_f32_e32 v28, v28, v30
	v_add_f32_e32 v28, v28, v29
	v_cvt_i32_f32_e32 v29, v30
	v_exp_f32_e32 v28, v28
	v_cmp_nlt_f32_e32 vcc, s36, v27
	v_ldexp_f32 v28, v28, v29
	s_nop 0
	v_cndmask_b32_e32 v28, 0, v28, vcc
	v_cmp_ngt_f32_e32 vcc, s37, v27
	s_nop 1
	v_cndmask_b32_e32 v27, v36, v28, vcc
	v_sub_f32_e32 v27, 1.0, v27
.LBB407_23:                             ;   in Loop: Header=BB407_9 Depth=1
	s_andn2_saveexec_b64 s[14:15], s[14:15]
; %bb.24:                               ;   in Loop: Header=BB407_9 Depth=1
	v_mul_f32_e32 v27, v26, v26
	v_fmamk_f32 v28, v27, 0xba1345e1, v34
	v_fmaak_f32 v28, v27, v28, 0xbcdac9b8
	v_fmaak_f32 v28, v27, v28, 0x3de703be
	;; [unrolled: 1-line block ×4, first 2 shown]
	v_fma_f32 v27, |v26|, v27, |v26|
; %bb.25:                               ;   in Loop: Header=BB407_9 Depth=1
	s_or_b64 exec, exec, s[14:15]
	v_bfi_b32 v21, s38, v24, v21
	v_add_f32_e32 v8, v8, v12
	v_mul_f32_e32 v20, 0.5, v20
	v_add_f32_e32 v21, 1.0, v21
	v_add_f32_e32 v18, v18, v22
	v_bfi_b32 v22, s38, v27, v26
	v_mul_f32_e32 v12, 0x3f3504f3, v8
	v_mul_f32_e32 v20, v20, v21
	v_add_f32_e32 v19, v19, v23
	v_mul_f32_e32 v21, 0.5, v25
	v_add_f32_e32 v22, 1.0, v22
	v_cmp_nlt_f32_e64 s[14:15], |v12|, 1.0
	v_mul_f32_e32 v21, v21, v22
	;;#ASMSTART
	v_pk_mul_f32 v[18:19], v[20:21], v[18:19]
	;;#ASMEND
                                        ; implicit-def: $vgpr20
	s_and_saveexec_b64 s[40:41], s[14:15]
	s_xor_b64 s[14:15], exec, s[40:41]
	s_cbranch_execz .LBB407_27
; %bb.26:                               ;   in Loop: Header=BB407_9 Depth=1
	v_fma_f32 v20, |v12|, s28, v35
	v_fma_f32 v20, |v12|, v20, s29
	;; [unrolled: 1-line block ×6, first 2 shown]
	v_fma_f32 v20, |v12|, v20, |v12|
	v_mul_f32_e32 v21, 0xbfb8aa3b, v20
	v_fma_f32 v22, v20, s35, -v21
	v_rndne_f32_e32 v23, v21
	v_fmac_f32_e32 v22, 0xb2a5705f, v20
	v_sub_f32_e32 v21, v21, v23
	v_add_f32_e32 v21, v21, v22
	v_cvt_i32_f32_e32 v22, v23
	v_exp_f32_e32 v21, v21
	v_cmp_nlt_f32_e32 vcc, s36, v20
	v_ldexp_f32 v21, v21, v22
	s_nop 0
	v_cndmask_b32_e32 v21, 0, v21, vcc
	v_cmp_ngt_f32_e32 vcc, s37, v20
	s_nop 1
	v_cndmask_b32_e32 v20, v36, v21, vcc
	v_sub_f32_e32 v20, 1.0, v20
.LBB407_27:                             ;   in Loop: Header=BB407_9 Depth=1
	s_andn2_saveexec_b64 s[14:15], s[14:15]
; %bb.28:                               ;   in Loop: Header=BB407_9 Depth=1
	v_mul_f32_e32 v20, v12, v12
	v_fmamk_f32 v21, v20, 0xba1345e1, v34
	v_fmaak_f32 v21, v20, v21, 0xbcdac9b8
	v_fmaak_f32 v21, v20, v21, 0x3de703be
	;; [unrolled: 1-line block ×4, first 2 shown]
	v_fma_f32 v20, |v12|, v20, |v12|
; %bb.29:                               ;   in Loop: Header=BB407_9 Depth=1
	s_or_b64 exec, exec, s[14:15]
	v_add_f32_e32 v9, v9, v13
	v_mul_f32_e32 v13, 0x3f3504f3, v9
	v_cmp_nlt_f32_e64 s[14:15], |v13|, 1.0
                                        ; implicit-def: $vgpr21
	s_and_saveexec_b64 s[40:41], s[14:15]
	s_xor_b64 s[14:15], exec, s[40:41]
	s_cbranch_execz .LBB407_31
; %bb.30:                               ;   in Loop: Header=BB407_9 Depth=1
	v_fma_f32 v21, |v13|, s28, v35
	v_fma_f32 v21, |v13|, v21, s29
	v_fma_f32 v21, |v13|, v21, s30
	v_fma_f32 v21, |v13|, v21, s31
	v_fma_f32 v21, |v13|, v21, s33
	v_fma_f32 v21, |v13|, v21, s34
	v_fma_f32 v21, |v13|, v21, |v13|
	v_mul_f32_e32 v22, 0xbfb8aa3b, v21
	v_fma_f32 v23, v21, s35, -v22
	v_rndne_f32_e32 v24, v22
	v_fmac_f32_e32 v23, 0xb2a5705f, v21
	v_sub_f32_e32 v22, v22, v24
	v_add_f32_e32 v22, v22, v23
	v_cvt_i32_f32_e32 v23, v24
	v_exp_f32_e32 v22, v22
	v_cmp_nlt_f32_e32 vcc, s36, v21
	v_ldexp_f32 v22, v22, v23
	s_nop 0
	v_cndmask_b32_e32 v22, 0, v22, vcc
	v_cmp_ngt_f32_e32 vcc, s37, v21
	s_nop 1
	v_cndmask_b32_e32 v21, v36, v22, vcc
	v_sub_f32_e32 v21, 1.0, v21
.LBB407_31:                             ;   in Loop: Header=BB407_9 Depth=1
	s_andn2_saveexec_b64 s[14:15], s[14:15]
; %bb.32:                               ;   in Loop: Header=BB407_9 Depth=1
	v_mul_f32_e32 v21, v13, v13
	v_fmamk_f32 v22, v21, 0xba1345e1, v34
	v_fmaak_f32 v22, v21, v22, 0xbcdac9b8
	v_fmaak_f32 v22, v21, v22, 0x3de703be
	;; [unrolled: 1-line block ×4, first 2 shown]
	v_fma_f32 v21, |v13|, v21, |v13|
; %bb.33:                               ;   in Loop: Header=BB407_9 Depth=1
	s_or_b64 exec, exec, s[14:15]
	s_waitcnt vmcnt(0)
	v_add_f32_e32 v1, v1, v5
	v_bfi_b32 v5, s38, v21, v13
	v_add_f32_e32 v0, v0, v4
	v_mul_f32_e32 v4, 0.5, v9
	v_add_f32_e32 v5, 1.0, v5
	v_bfi_b32 v12, s38, v20, v12
	v_mul_f32_e32 v9, v4, v5
	v_add_f32_e32 v4, v10, v14
	v_mul_f32_e32 v8, 0.5, v8
	v_add_f32_e32 v12, 1.0, v12
	v_mul_f32_e32 v5, 0x3f3504f3, v4
	v_mul_f32_e32 v8, v8, v12
	v_cmp_nlt_f32_e64 s[14:15], |v5|, 1.0
	;;#ASMSTART
	v_pk_mul_f32 v[0:1], v[8:9], v[0:1]
	;;#ASMEND
                                        ; implicit-def: $vgpr8
	s_and_saveexec_b64 s[40:41], s[14:15]
	s_xor_b64 s[14:15], exec, s[40:41]
	s_cbranch_execz .LBB407_35
; %bb.34:                               ;   in Loop: Header=BB407_9 Depth=1
	v_fma_f32 v8, |v5|, s28, v35
	v_fma_f32 v8, |v5|, v8, s29
	;; [unrolled: 1-line block ×6, first 2 shown]
	v_fma_f32 v8, |v5|, v8, |v5|
	v_mul_f32_e32 v9, 0xbfb8aa3b, v8
	v_fma_f32 v10, v8, s35, -v9
	v_rndne_f32_e32 v12, v9
	v_fmac_f32_e32 v10, 0xb2a5705f, v8
	v_sub_f32_e32 v9, v9, v12
	v_add_f32_e32 v9, v9, v10
	v_cvt_i32_f32_e32 v10, v12
	v_exp_f32_e32 v9, v9
	v_cmp_nlt_f32_e32 vcc, s36, v8
	v_ldexp_f32 v9, v9, v10
	s_nop 0
	v_cndmask_b32_e32 v9, 0, v9, vcc
	v_cmp_ngt_f32_e32 vcc, s37, v8
	s_nop 1
	v_cndmask_b32_e32 v8, v36, v9, vcc
	v_sub_f32_e32 v8, 1.0, v8
.LBB407_35:                             ;   in Loop: Header=BB407_9 Depth=1
	s_andn2_saveexec_b64 s[14:15], s[14:15]
; %bb.36:                               ;   in Loop: Header=BB407_9 Depth=1
	v_mul_f32_e32 v8, v5, v5
	v_fmamk_f32 v9, v8, 0xba1345e1, v34
	v_fmaak_f32 v9, v8, v9, 0xbcdac9b8
	v_fmaak_f32 v9, v8, v9, 0x3de703be
	;; [unrolled: 1-line block ×4, first 2 shown]
	v_fma_f32 v8, |v5|, v8, |v5|
; %bb.37:                               ;   in Loop: Header=BB407_9 Depth=1
	s_or_b64 exec, exec, s[14:15]
	v_add_f32_e32 v9, v11, v15
	v_mul_f32_e32 v10, 0x3f3504f3, v9
	v_cmp_nlt_f32_e64 s[14:15], |v10|, 1.0
                                        ; implicit-def: $vgpr11
	s_and_saveexec_b64 s[40:41], s[14:15]
	s_xor_b64 s[14:15], exec, s[40:41]
	s_cbranch_execz .LBB407_39
; %bb.38:                               ;   in Loop: Header=BB407_9 Depth=1
	v_fma_f32 v11, |v10|, s28, v35
	v_fma_f32 v11, |v10|, v11, s29
	;; [unrolled: 1-line block ×6, first 2 shown]
	v_fma_f32 v11, |v10|, v11, |v10|
	v_mul_f32_e32 v12, 0xbfb8aa3b, v11
	v_fma_f32 v13, v11, s35, -v12
	v_rndne_f32_e32 v14, v12
	v_fmac_f32_e32 v13, 0xb2a5705f, v11
	v_sub_f32_e32 v12, v12, v14
	v_add_f32_e32 v12, v12, v13
	v_cvt_i32_f32_e32 v13, v14
	v_exp_f32_e32 v12, v12
	v_cmp_nlt_f32_e32 vcc, s36, v11
	v_ldexp_f32 v12, v12, v13
	s_nop 0
	v_cndmask_b32_e32 v12, 0, v12, vcc
	v_cmp_ngt_f32_e32 vcc, s37, v11
	s_nop 1
	v_cndmask_b32_e32 v11, v36, v12, vcc
	v_sub_f32_e32 v11, 1.0, v11
.LBB407_39:                             ;   in Loop: Header=BB407_9 Depth=1
	s_andn2_saveexec_b64 s[14:15], s[14:15]
	s_cbranch_execz .LBB407_8
; %bb.40:                               ;   in Loop: Header=BB407_9 Depth=1
	v_mul_f32_e32 v11, v10, v10
	v_fmamk_f32 v12, v11, 0xba1345e1, v34
	v_fmaak_f32 v12, v11, v12, 0xbcdac9b8
	v_fmaak_f32 v12, v11, v12, 0x3de703be
	;; [unrolled: 1-line block ×4, first 2 shown]
	v_fma_f32 v11, |v10|, v11, |v10|
	s_branch .LBB407_8
.LBB407_41:
	s_endpgm
	.section	.rodata,"a",@progbits
	.p2align	6, 0x0
	.amdhsa_kernel _ZN5aiter23act_and_mul_bias_kernelIftsfTnPFfRKT2_EXadL_ZNS_11gelu_kernelIfEEfRKT_EELi8EEEvPT0_PS8_PKT1_PS2_il
		.amdhsa_group_segment_fixed_size 0
		.amdhsa_private_segment_fixed_size 0
		.amdhsa_kernarg_size 304
		.amdhsa_user_sgpr_count 2
		.amdhsa_user_sgpr_dispatch_ptr 0
		.amdhsa_user_sgpr_queue_ptr 0
		.amdhsa_user_sgpr_kernarg_segment_ptr 1
		.amdhsa_user_sgpr_dispatch_id 0
		.amdhsa_user_sgpr_kernarg_preload_length 0
		.amdhsa_user_sgpr_kernarg_preload_offset 0
		.amdhsa_user_sgpr_private_segment_size 0
		.amdhsa_uses_dynamic_stack 0
		.amdhsa_enable_private_segment 0
		.amdhsa_system_sgpr_workgroup_id_x 1
		.amdhsa_system_sgpr_workgroup_id_y 0
		.amdhsa_system_sgpr_workgroup_id_z 0
		.amdhsa_system_sgpr_workgroup_info 0
		.amdhsa_system_vgpr_workitem_id 0
		.amdhsa_next_free_vgpr 42
		.amdhsa_next_free_sgpr 42
		.amdhsa_accum_offset 44
		.amdhsa_reserve_vcc 1
		.amdhsa_float_round_mode_32 0
		.amdhsa_float_round_mode_16_64 0
		.amdhsa_float_denorm_mode_32 3
		.amdhsa_float_denorm_mode_16_64 3
		.amdhsa_dx10_clamp 1
		.amdhsa_ieee_mode 1
		.amdhsa_fp16_overflow 0
		.amdhsa_tg_split 0
		.amdhsa_exception_fp_ieee_invalid_op 0
		.amdhsa_exception_fp_denorm_src 0
		.amdhsa_exception_fp_ieee_div_zero 0
		.amdhsa_exception_fp_ieee_overflow 0
		.amdhsa_exception_fp_ieee_underflow 0
		.amdhsa_exception_fp_ieee_inexact 0
		.amdhsa_exception_int_div_zero 0
	.end_amdhsa_kernel
	.section	.text._ZN5aiter23act_and_mul_bias_kernelIftsfTnPFfRKT2_EXadL_ZNS_11gelu_kernelIfEEfRKT_EELi8EEEvPT0_PS8_PKT1_PS2_il,"axG",@progbits,_ZN5aiter23act_and_mul_bias_kernelIftsfTnPFfRKT2_EXadL_ZNS_11gelu_kernelIfEEfRKT_EELi8EEEvPT0_PS8_PKT1_PS2_il,comdat
.Lfunc_end407:
	.size	_ZN5aiter23act_and_mul_bias_kernelIftsfTnPFfRKT2_EXadL_ZNS_11gelu_kernelIfEEfRKT_EELi8EEEvPT0_PS8_PKT1_PS2_il, .Lfunc_end407-_ZN5aiter23act_and_mul_bias_kernelIftsfTnPFfRKT2_EXadL_ZNS_11gelu_kernelIfEEfRKT_EELi8EEEvPT0_PS8_PKT1_PS2_il
                                        ; -- End function
	.section	.AMDGPU.csdata,"",@progbits
; Kernel info:
; codeLenInByte = 2852
; NumSgprs: 48
; NumVgprs: 42
; NumAgprs: 0
; TotalNumVgprs: 42
; ScratchSize: 0
; MemoryBound: 0
; FloatMode: 240
; IeeeMode: 1
; LDSByteSize: 0 bytes/workgroup (compile time only)
; SGPRBlocks: 5
; VGPRBlocks: 5
; NumSGPRsForWavesPerEU: 48
; NumVGPRsForWavesPerEU: 42
; AccumOffset: 44
; Occupancy: 8
; WaveLimiterHint : 0
; COMPUTE_PGM_RSRC2:SCRATCH_EN: 0
; COMPUTE_PGM_RSRC2:USER_SGPR: 2
; COMPUTE_PGM_RSRC2:TRAP_HANDLER: 0
; COMPUTE_PGM_RSRC2:TGID_X_EN: 1
; COMPUTE_PGM_RSRC2:TGID_Y_EN: 0
; COMPUTE_PGM_RSRC2:TGID_Z_EN: 0
; COMPUTE_PGM_RSRC2:TIDIG_COMP_CNT: 0
; COMPUTE_PGM_RSRC3_GFX90A:ACCUM_OFFSET: 10
; COMPUTE_PGM_RSRC3_GFX90A:TG_SPLIT: 0
	.section	.text._ZN5aiter23act_and_mul_bias_kernelIftsfTnPFfRKT2_EXadL_ZNS_11gelu_kernelIfEEfRKT_EELi4EEEvPT0_PS8_PKT1_PS2_il,"axG",@progbits,_ZN5aiter23act_and_mul_bias_kernelIftsfTnPFfRKT2_EXadL_ZNS_11gelu_kernelIfEEfRKT_EELi4EEEvPT0_PS8_PKT1_PS2_il,comdat
	.protected	_ZN5aiter23act_and_mul_bias_kernelIftsfTnPFfRKT2_EXadL_ZNS_11gelu_kernelIfEEfRKT_EELi4EEEvPT0_PS8_PKT1_PS2_il ; -- Begin function _ZN5aiter23act_and_mul_bias_kernelIftsfTnPFfRKT2_EXadL_ZNS_11gelu_kernelIfEEfRKT_EELi4EEEvPT0_PS8_PKT1_PS2_il
	.globl	_ZN5aiter23act_and_mul_bias_kernelIftsfTnPFfRKT2_EXadL_ZNS_11gelu_kernelIfEEfRKT_EELi4EEEvPT0_PS8_PKT1_PS2_il
	.p2align	8
	.type	_ZN5aiter23act_and_mul_bias_kernelIftsfTnPFfRKT2_EXadL_ZNS_11gelu_kernelIfEEfRKT_EELi4EEEvPT0_PS8_PKT1_PS2_il,@function
_ZN5aiter23act_and_mul_bias_kernelIftsfTnPFfRKT2_EXadL_ZNS_11gelu_kernelIfEEfRKT_EELi4EEEvPT0_PS8_PKT1_PS2_il: ; @_ZN5aiter23act_and_mul_bias_kernelIftsfTnPFfRKT2_EXadL_ZNS_11gelu_kernelIfEEfRKT_EELi4EEEvPT0_PS8_PKT1_PS2_il
; %bb.0:
	s_load_dwordx2 s[4:5], s[0:1], 0x10
	s_load_dword s24, s[0:1], 0x20
	s_load_dwordx2 s[6:7], s[0:1], 0x28
	s_mov_b32 s3, 0
	s_lshl_b64 s[8:9], s[2:3], 1
	s_waitcnt lgkmcnt(0)
	s_add_u32 s4, s4, s8
	s_addc_u32 s5, s5, s9
	v_mov_b32_e32 v1, 0
	global_load_ushort v1, v1, s[4:5]
	s_load_dwordx2 s[4:5], s[0:1], 0x0
	s_ashr_i32 s25, s24, 31
	s_mul_hi_u32 s3, s24, s2
	v_mov_b64_e32 v[2:3], s[6:7]
	s_mul_i32 s6, s25, s2
	s_mul_i32 s8, s24, s2
	s_add_i32 s9, s3, s6
	s_lshl_b64 s[6:7], s[8:9], 1
	s_mov_b64 s[10:11], -1
	v_lshlrev_b32_e32 v16, 2, v0
	s_waitcnt vmcnt(0)
	v_readfirstlane_b32 s3, v1
	s_sext_i32_i16 s8, s3
	s_ashr_i32 s9, s8, 31
	s_waitcnt lgkmcnt(0)
	s_add_u32 s4, s4, s6
	s_addc_u32 s3, s5, s7
	s_add_i32 s6, s24, 1
	s_lshr_b32 s7, s6, 31
	s_add_i32 s6, s6, s7
	s_and_b32 s5, s3, 0xffff
	s_lshl_b32 s3, s6, 1
	s_and_b32 s6, s3, -4
	s_cmp_gt_i32 s8, -1
	v_cmp_lt_i64_e32 vcc, s[8:9], v[2:3]
	s_cselect_b64 s[12:13], -1, 0
	s_and_b64 s[12:13], s[12:13], vcc
	s_and_b64 vcc, exec, s[12:13]
	s_cbranch_vccnz .LBB408_5
; %bb.1:
	v_cmp_gt_i32_e32 vcc, s24, v16
	s_and_saveexec_b64 s[10:11], vcc
	s_cbranch_execz .LBB408_4
; %bb.2:
	s_load_dword s3, s[0:1], 0x3c
	v_mov_b32_e32 v17, 0
	s_mov_b32 s13, 0
	v_lshlrev_b32_e32 v4, 3, v0
	s_mov_b64 s[14:15], 0
	s_waitcnt lgkmcnt(0)
	s_and_b32 s3, s3, 0xffff
	s_lshl_b32 s12, s3, 2
	s_lshl_b32 s3, s3, 3
	s_mov_b32 s7, 0x20000
	v_mov_b32_e32 v0, v17
	v_mov_b32_e32 v1, v17
	v_mov_b64_e32 v[2:3], v[16:17]
.LBB408_3:                              ; =>This Inner Loop Header: Depth=1
	v_lshl_add_u64 v[2:3], s[12:13], 0, v[2:3]
	v_cmp_le_i64_e32 vcc, s[24:25], v[2:3]
	buffer_store_dwordx2 v[0:1], v4, s[4:7], 0 offen
	s_or_b64 s[14:15], vcc, s[14:15]
	v_add_u32_e32 v4, s3, v4
	s_andn2_b64 exec, exec, s[14:15]
	s_cbranch_execnz .LBB408_3
.LBB408_4:
	s_or_b64 exec, exec, s[10:11]
	s_mov_b64 s[10:11], 0
.LBB408_5:
	s_andn2_b64 vcc, exec, s[10:11]
	s_cbranch_vccnz .LBB408_25
; %bb.6:
	v_cmp_gt_i32_e32 vcc, s24, v16
	s_and_saveexec_b64 s[10:11], vcc
	s_cbranch_execz .LBB408_25
; %bb.7:
	s_load_dwordx2 s[14:15], s[0:1], 0x8
	s_load_dwordx2 s[12:13], s[0:1], 0x18
	s_mul_hi_i32 s9, s24, s8
	s_mul_i32 s8, s24, s8
	s_lshl_b32 s10, s24, 2
	s_lshl_b64 s[8:9], s[8:9], 3
	s_waitcnt lgkmcnt(0)
	s_add_u32 s8, s12, s8
	s_addc_u32 s3, s13, s9
	s_lshl_b64 s[18:19], s[24:25], 2
	s_add_u32 s12, s8, s18
	s_addc_u32 s13, s3, s19
	s_and_b32 s9, s3, 0xffff
	s_mul_i32 s3, s2, s25
	s_mul_hi_u32 s16, s2, s24
	s_add_i32 s3, s16, s3
	s_mul_i32 s2, s2, s24
	s_and_b32 s13, s13, 0xffff
	s_lshl_b64 s[2:3], s[2:3], 3
	s_add_u32 s16, s14, s2
	s_addc_u32 s2, s15, s3
	s_add_u32 s20, s16, s18
	s_addc_u32 s3, s2, s19
	s_and_b32 s17, s2, 0xffff
	s_and_b32 s21, s3, 0xffff
	s_mov_b32 s7, 0x20000
	s_add_u32 s0, s0, 48
	s_mov_b32 s11, s7
	v_mov_b32_e32 v17, 0
	s_addc_u32 s1, s1, 0
	s_mov_b64 s[2:3], 0
	s_mov_b32 s23, s7
	s_mov_b32 s22, s10
	;; [unrolled: 1-line block ×14, first 2 shown]
	v_mov_b32_e32 v18, 0x3ba10414
	s_brev_b32 s38, -2
	s_mov_b32 s39, 0x7060302
	v_mov_b32_e32 v19, 0xb9c68948
	v_mov_b32_e32 v20, 0x7f800000
                                        ; implicit-def: $vgpr0
                                        ; implicit-def: $vgpr0
	;; [unrolled: 1-line block ×4, first 2 shown]
	s_branch .LBB408_9
.LBB408_8:                              ;   in Loop: Header=BB408_9 Depth=1
	s_or_b64 exec, exec, s[14:15]
	v_bfi_b32 v5, s38, v8, v5
	v_mul_f32_e32 v4, 0.5, v4
	v_add_f32_e32 v5, 1.0, v5
	v_add_f32_e32 v2, v2, v6
	v_bfi_b32 v6, s38, v11, v10
	v_mul_f32_e32 v4, v4, v5
	v_add_f32_e32 v3, v3, v7
	v_mul_f32_e32 v5, 0.5, v9
	v_add_f32_e32 v6, 1.0, v6
	v_mul_f32_e32 v5, v5, v6
	;;#ASMSTART
	v_pk_mul_f32 v[2:3], v[4:5], v[2:3]
	;;#ASMEND
	s_load_dword s14, s[0:1], 0xc
	v_perm_b32 v3, v3, v2, s39
	v_perm_b32 v2, v1, v0, s39
	v_lshlrev_b32_e32 v0, 1, v16
	buffer_store_dwordx2 v[2:3], v0, s[4:7], 0 offen
	s_waitcnt lgkmcnt(0)
	s_and_b32 s14, s14, 0xffff
	s_lshl_b32 s26, s14, 2
	v_lshl_add_u64 v[16:17], s[26:27], 0, v[16:17]
	v_cmp_le_i64_e32 vcc, s[24:25], v[16:17]
	s_or_b64 s[2:3], vcc, s[2:3]
	s_andn2_b64 exec, exec, s[2:3]
	s_cbranch_execz .LBB408_25
.LBB408_9:                              ; =>This Inner Loop Header: Depth=1
	v_lshlrev_b32_e32 v4, 2, v16
	buffer_load_dwordx4 v[8:11], v4, s[16:19], 0 offen
	buffer_load_dwordx4 v[0:3], v4, s[20:23], 0 offen
	;; [unrolled: 1-line block ×3, first 2 shown]
	s_mov_b32 s14, s10
	s_mov_b32 s15, s11
	buffer_load_dwordx4 v[4:7], v4, s[12:15], 0 offen
                                        ; implicit-def: $vgpr21
	s_waitcnt vmcnt(1)
	v_add_f32_e32 v8, v8, v12
	v_mul_f32_e32 v12, 0x3f3504f3, v8
	v_cmp_nlt_f32_e64 s[14:15], |v12|, 1.0
	s_and_saveexec_b64 s[40:41], s[14:15]
	s_xor_b64 s[14:15], exec, s[40:41]
	s_cbranch_execz .LBB408_11
; %bb.10:                               ;   in Loop: Header=BB408_9 Depth=1
	v_fma_f32 v21, |v12|, s28, v19
	v_fma_f32 v21, |v12|, v21, s29
	;; [unrolled: 1-line block ×6, first 2 shown]
	v_fma_f32 v21, |v12|, v21, |v12|
	v_mul_f32_e32 v22, 0xbfb8aa3b, v21
	v_fma_f32 v23, v21, s35, -v22
	v_rndne_f32_e32 v24, v22
	v_fmac_f32_e32 v23, 0xb2a5705f, v21
	v_sub_f32_e32 v22, v22, v24
	v_add_f32_e32 v22, v22, v23
	v_cvt_i32_f32_e32 v23, v24
	v_exp_f32_e32 v22, v22
	v_cmp_nlt_f32_e32 vcc, s36, v21
	v_ldexp_f32 v22, v22, v23
	s_nop 0
	v_cndmask_b32_e32 v22, 0, v22, vcc
	v_cmp_ngt_f32_e32 vcc, s37, v21
	s_nop 1
	v_cndmask_b32_e32 v21, v20, v22, vcc
	v_sub_f32_e32 v21, 1.0, v21
.LBB408_11:                             ;   in Loop: Header=BB408_9 Depth=1
	s_andn2_saveexec_b64 s[14:15], s[14:15]
; %bb.12:                               ;   in Loop: Header=BB408_9 Depth=1
	v_mul_f32_e32 v21, v12, v12
	v_fmamk_f32 v22, v21, 0xba1345e1, v18
	v_fmaak_f32 v22, v21, v22, 0xbcdac9b8
	v_fmaak_f32 v22, v21, v22, 0x3de703be
	;; [unrolled: 1-line block ×4, first 2 shown]
	v_fma_f32 v21, |v12|, v21, |v12|
; %bb.13:                               ;   in Loop: Header=BB408_9 Depth=1
	s_or_b64 exec, exec, s[14:15]
	v_add_f32_e32 v9, v9, v13
	v_mul_f32_e32 v13, 0x3f3504f3, v9
	v_cmp_nlt_f32_e64 s[14:15], |v13|, 1.0
                                        ; implicit-def: $vgpr22
	s_and_saveexec_b64 s[40:41], s[14:15]
	s_xor_b64 s[14:15], exec, s[40:41]
	s_cbranch_execz .LBB408_15
; %bb.14:                               ;   in Loop: Header=BB408_9 Depth=1
	v_fma_f32 v22, |v13|, s28, v19
	v_fma_f32 v22, |v13|, v22, s29
	;; [unrolled: 1-line block ×6, first 2 shown]
	v_fma_f32 v22, |v13|, v22, |v13|
	v_mul_f32_e32 v23, 0xbfb8aa3b, v22
	v_fma_f32 v24, v22, s35, -v23
	v_rndne_f32_e32 v25, v23
	v_fmac_f32_e32 v24, 0xb2a5705f, v22
	v_sub_f32_e32 v23, v23, v25
	v_add_f32_e32 v23, v23, v24
	v_cvt_i32_f32_e32 v24, v25
	v_exp_f32_e32 v23, v23
	v_cmp_nlt_f32_e32 vcc, s36, v22
	v_ldexp_f32 v23, v23, v24
	s_nop 0
	v_cndmask_b32_e32 v23, 0, v23, vcc
	v_cmp_ngt_f32_e32 vcc, s37, v22
	s_nop 1
	v_cndmask_b32_e32 v22, v20, v23, vcc
	v_sub_f32_e32 v22, 1.0, v22
.LBB408_15:                             ;   in Loop: Header=BB408_9 Depth=1
	s_andn2_saveexec_b64 s[14:15], s[14:15]
; %bb.16:                               ;   in Loop: Header=BB408_9 Depth=1
	v_mul_f32_e32 v22, v13, v13
	v_fmamk_f32 v23, v22, 0xba1345e1, v18
	v_fmaak_f32 v23, v22, v23, 0xbcdac9b8
	v_fmaak_f32 v23, v22, v23, 0x3de703be
	;; [unrolled: 1-line block ×4, first 2 shown]
	v_fma_f32 v22, |v13|, v22, |v13|
; %bb.17:                               ;   in Loop: Header=BB408_9 Depth=1
	s_or_b64 exec, exec, s[14:15]
	s_waitcnt vmcnt(0)
	v_add_f32_e32 v1, v1, v5
	v_bfi_b32 v5, s38, v22, v13
	v_add_f32_e32 v0, v0, v4
	v_mul_f32_e32 v4, 0.5, v9
	v_add_f32_e32 v5, 1.0, v5
	v_bfi_b32 v12, s38, v21, v12
	v_mul_f32_e32 v9, v4, v5
	v_add_f32_e32 v4, v10, v14
	v_mul_f32_e32 v8, 0.5, v8
	v_add_f32_e32 v12, 1.0, v12
	v_mul_f32_e32 v5, 0x3f3504f3, v4
	v_mul_f32_e32 v8, v8, v12
	v_cmp_nlt_f32_e64 s[14:15], |v5|, 1.0
	;;#ASMSTART
	v_pk_mul_f32 v[0:1], v[8:9], v[0:1]
	;;#ASMEND
                                        ; implicit-def: $vgpr8
	s_and_saveexec_b64 s[40:41], s[14:15]
	s_xor_b64 s[14:15], exec, s[40:41]
	s_cbranch_execz .LBB408_19
; %bb.18:                               ;   in Loop: Header=BB408_9 Depth=1
	v_fma_f32 v8, |v5|, s28, v19
	v_fma_f32 v8, |v5|, v8, s29
	;; [unrolled: 1-line block ×6, first 2 shown]
	v_fma_f32 v8, |v5|, v8, |v5|
	v_mul_f32_e32 v9, 0xbfb8aa3b, v8
	v_fma_f32 v10, v8, s35, -v9
	v_rndne_f32_e32 v12, v9
	v_fmac_f32_e32 v10, 0xb2a5705f, v8
	v_sub_f32_e32 v9, v9, v12
	v_add_f32_e32 v9, v9, v10
	v_cvt_i32_f32_e32 v10, v12
	v_exp_f32_e32 v9, v9
	v_cmp_nlt_f32_e32 vcc, s36, v8
	v_ldexp_f32 v9, v9, v10
	s_nop 0
	v_cndmask_b32_e32 v9, 0, v9, vcc
	v_cmp_ngt_f32_e32 vcc, s37, v8
	s_nop 1
	v_cndmask_b32_e32 v8, v20, v9, vcc
	v_sub_f32_e32 v8, 1.0, v8
.LBB408_19:                             ;   in Loop: Header=BB408_9 Depth=1
	s_andn2_saveexec_b64 s[14:15], s[14:15]
; %bb.20:                               ;   in Loop: Header=BB408_9 Depth=1
	v_mul_f32_e32 v8, v5, v5
	v_fmamk_f32 v9, v8, 0xba1345e1, v18
	v_fmaak_f32 v9, v8, v9, 0xbcdac9b8
	v_fmaak_f32 v9, v8, v9, 0x3de703be
	v_fmaak_f32 v9, v8, v9, 0xbec09330
	v_fmaak_f32 v8, v8, v9, 0x3e0375d0
	v_fma_f32 v8, |v5|, v8, |v5|
; %bb.21:                               ;   in Loop: Header=BB408_9 Depth=1
	s_or_b64 exec, exec, s[14:15]
	v_add_f32_e32 v9, v11, v15
	v_mul_f32_e32 v10, 0x3f3504f3, v9
	v_cmp_nlt_f32_e64 s[14:15], |v10|, 1.0
                                        ; implicit-def: $vgpr11
	s_and_saveexec_b64 s[40:41], s[14:15]
	s_xor_b64 s[14:15], exec, s[40:41]
	s_cbranch_execz .LBB408_23
; %bb.22:                               ;   in Loop: Header=BB408_9 Depth=1
	v_fma_f32 v11, |v10|, s28, v19
	v_fma_f32 v11, |v10|, v11, s29
	;; [unrolled: 1-line block ×6, first 2 shown]
	v_fma_f32 v11, |v10|, v11, |v10|
	v_mul_f32_e32 v12, 0xbfb8aa3b, v11
	v_fma_f32 v13, v11, s35, -v12
	v_rndne_f32_e32 v14, v12
	v_fmac_f32_e32 v13, 0xb2a5705f, v11
	v_sub_f32_e32 v12, v12, v14
	v_add_f32_e32 v12, v12, v13
	v_cvt_i32_f32_e32 v13, v14
	v_exp_f32_e32 v12, v12
	v_cmp_nlt_f32_e32 vcc, s36, v11
	v_ldexp_f32 v12, v12, v13
	s_nop 0
	v_cndmask_b32_e32 v12, 0, v12, vcc
	v_cmp_ngt_f32_e32 vcc, s37, v11
	s_nop 1
	v_cndmask_b32_e32 v11, v20, v12, vcc
	v_sub_f32_e32 v11, 1.0, v11
.LBB408_23:                             ;   in Loop: Header=BB408_9 Depth=1
	s_andn2_saveexec_b64 s[14:15], s[14:15]
	s_cbranch_execz .LBB408_8
; %bb.24:                               ;   in Loop: Header=BB408_9 Depth=1
	v_mul_f32_e32 v11, v10, v10
	v_fmamk_f32 v12, v11, 0xba1345e1, v18
	v_fmaak_f32 v12, v11, v12, 0xbcdac9b8
	v_fmaak_f32 v12, v11, v12, 0x3de703be
	v_fmaak_f32 v12, v11, v12, 0xbec09330
	v_fmaak_f32 v11, v11, v12, 0x3e0375d0
	v_fma_f32 v11, |v10|, v11, |v10|
	s_branch .LBB408_8
.LBB408_25:
	s_endpgm
	.section	.rodata,"a",@progbits
	.p2align	6, 0x0
	.amdhsa_kernel _ZN5aiter23act_and_mul_bias_kernelIftsfTnPFfRKT2_EXadL_ZNS_11gelu_kernelIfEEfRKT_EELi4EEEvPT0_PS8_PKT1_PS2_il
		.amdhsa_group_segment_fixed_size 0
		.amdhsa_private_segment_fixed_size 0
		.amdhsa_kernarg_size 304
		.amdhsa_user_sgpr_count 2
		.amdhsa_user_sgpr_dispatch_ptr 0
		.amdhsa_user_sgpr_queue_ptr 0
		.amdhsa_user_sgpr_kernarg_segment_ptr 1
		.amdhsa_user_sgpr_dispatch_id 0
		.amdhsa_user_sgpr_kernarg_preload_length 0
		.amdhsa_user_sgpr_kernarg_preload_offset 0
		.amdhsa_user_sgpr_private_segment_size 0
		.amdhsa_uses_dynamic_stack 0
		.amdhsa_enable_private_segment 0
		.amdhsa_system_sgpr_workgroup_id_x 1
		.amdhsa_system_sgpr_workgroup_id_y 0
		.amdhsa_system_sgpr_workgroup_id_z 0
		.amdhsa_system_sgpr_workgroup_info 0
		.amdhsa_system_vgpr_workitem_id 0
		.amdhsa_next_free_vgpr 26
		.amdhsa_next_free_sgpr 42
		.amdhsa_accum_offset 28
		.amdhsa_reserve_vcc 1
		.amdhsa_float_round_mode_32 0
		.amdhsa_float_round_mode_16_64 0
		.amdhsa_float_denorm_mode_32 3
		.amdhsa_float_denorm_mode_16_64 3
		.amdhsa_dx10_clamp 1
		.amdhsa_ieee_mode 1
		.amdhsa_fp16_overflow 0
		.amdhsa_tg_split 0
		.amdhsa_exception_fp_ieee_invalid_op 0
		.amdhsa_exception_fp_denorm_src 0
		.amdhsa_exception_fp_ieee_div_zero 0
		.amdhsa_exception_fp_ieee_overflow 0
		.amdhsa_exception_fp_ieee_underflow 0
		.amdhsa_exception_fp_ieee_inexact 0
		.amdhsa_exception_int_div_zero 0
	.end_amdhsa_kernel
	.section	.text._ZN5aiter23act_and_mul_bias_kernelIftsfTnPFfRKT2_EXadL_ZNS_11gelu_kernelIfEEfRKT_EELi4EEEvPT0_PS8_PKT1_PS2_il,"axG",@progbits,_ZN5aiter23act_and_mul_bias_kernelIftsfTnPFfRKT2_EXadL_ZNS_11gelu_kernelIfEEfRKT_EELi4EEEvPT0_PS8_PKT1_PS2_il,comdat
.Lfunc_end408:
	.size	_ZN5aiter23act_and_mul_bias_kernelIftsfTnPFfRKT2_EXadL_ZNS_11gelu_kernelIfEEfRKT_EELi4EEEvPT0_PS8_PKT1_PS2_il, .Lfunc_end408-_ZN5aiter23act_and_mul_bias_kernelIftsfTnPFfRKT2_EXadL_ZNS_11gelu_kernelIfEEfRKT_EELi4EEEvPT0_PS8_PKT1_PS2_il
                                        ; -- End function
	.section	.AMDGPU.csdata,"",@progbits
; Kernel info:
; codeLenInByte = 1768
; NumSgprs: 48
; NumVgprs: 26
; NumAgprs: 0
; TotalNumVgprs: 26
; ScratchSize: 0
; MemoryBound: 0
; FloatMode: 240
; IeeeMode: 1
; LDSByteSize: 0 bytes/workgroup (compile time only)
; SGPRBlocks: 5
; VGPRBlocks: 3
; NumSGPRsForWavesPerEU: 48
; NumVGPRsForWavesPerEU: 26
; AccumOffset: 28
; Occupancy: 8
; WaveLimiterHint : 0
; COMPUTE_PGM_RSRC2:SCRATCH_EN: 0
; COMPUTE_PGM_RSRC2:USER_SGPR: 2
; COMPUTE_PGM_RSRC2:TRAP_HANDLER: 0
; COMPUTE_PGM_RSRC2:TGID_X_EN: 1
; COMPUTE_PGM_RSRC2:TGID_Y_EN: 0
; COMPUTE_PGM_RSRC2:TGID_Z_EN: 0
; COMPUTE_PGM_RSRC2:TIDIG_COMP_CNT: 0
; COMPUTE_PGM_RSRC3_GFX90A:ACCUM_OFFSET: 6
; COMPUTE_PGM_RSRC3_GFX90A:TG_SPLIT: 0
	.section	.text._ZN5aiter23act_and_mul_bias_kernelIftsfTnPFfRKT2_EXadL_ZNS_11gelu_kernelIfEEfRKT_EELi2EEEvPT0_PS8_PKT1_PS2_il,"axG",@progbits,_ZN5aiter23act_and_mul_bias_kernelIftsfTnPFfRKT2_EXadL_ZNS_11gelu_kernelIfEEfRKT_EELi2EEEvPT0_PS8_PKT1_PS2_il,comdat
	.protected	_ZN5aiter23act_and_mul_bias_kernelIftsfTnPFfRKT2_EXadL_ZNS_11gelu_kernelIfEEfRKT_EELi2EEEvPT0_PS8_PKT1_PS2_il ; -- Begin function _ZN5aiter23act_and_mul_bias_kernelIftsfTnPFfRKT2_EXadL_ZNS_11gelu_kernelIfEEfRKT_EELi2EEEvPT0_PS8_PKT1_PS2_il
	.globl	_ZN5aiter23act_and_mul_bias_kernelIftsfTnPFfRKT2_EXadL_ZNS_11gelu_kernelIfEEfRKT_EELi2EEEvPT0_PS8_PKT1_PS2_il
	.p2align	8
	.type	_ZN5aiter23act_and_mul_bias_kernelIftsfTnPFfRKT2_EXadL_ZNS_11gelu_kernelIfEEfRKT_EELi2EEEvPT0_PS8_PKT1_PS2_il,@function
_ZN5aiter23act_and_mul_bias_kernelIftsfTnPFfRKT2_EXadL_ZNS_11gelu_kernelIfEEfRKT_EELi2EEEvPT0_PS8_PKT1_PS2_il: ; @_ZN5aiter23act_and_mul_bias_kernelIftsfTnPFfRKT2_EXadL_ZNS_11gelu_kernelIfEEfRKT_EELi2EEEvPT0_PS8_PKT1_PS2_il
; %bb.0:
	s_load_dwordx2 s[4:5], s[0:1], 0x10
	s_load_dword s24, s[0:1], 0x20
	s_load_dwordx2 s[6:7], s[0:1], 0x28
	s_mov_b32 s3, 0
	s_lshl_b64 s[8:9], s[2:3], 1
	s_waitcnt lgkmcnt(0)
	s_add_u32 s4, s4, s8
	s_addc_u32 s5, s5, s9
	v_mov_b32_e32 v1, 0
	global_load_ushort v1, v1, s[4:5]
	s_load_dwordx2 s[4:5], s[0:1], 0x0
	s_ashr_i32 s25, s24, 31
	s_mul_hi_u32 s3, s24, s2
	v_mov_b64_e32 v[2:3], s[6:7]
	s_mul_i32 s6, s25, s2
	s_mul_i32 s8, s24, s2
	s_add_i32 s9, s3, s6
	s_lshl_b64 s[6:7], s[8:9], 1
	s_mov_b64 s[10:11], -1
	s_waitcnt vmcnt(0)
	v_readfirstlane_b32 s3, v1
	s_sext_i32_i16 s8, s3
	s_ashr_i32 s9, s8, 31
	s_waitcnt lgkmcnt(0)
	s_add_u32 s4, s4, s6
	s_addc_u32 s3, s5, s7
	s_add_i32 s6, s24, 1
	s_lshr_b32 s7, s6, 31
	s_add_i32 s6, s6, s7
	s_and_b32 s5, s3, 0xffff
	s_lshl_b32 s3, s6, 1
	s_and_b32 s6, s3, -4
	s_cmp_gt_i32 s8, -1
	v_cmp_lt_i64_e32 vcc, s[8:9], v[2:3]
	s_cselect_b64 s[12:13], -1, 0
	s_and_b64 s[12:13], s[12:13], vcc
	s_and_b64 vcc, exec, s[12:13]
	v_lshlrev_b32_e32 v2, 1, v0
	s_cbranch_vccnz .LBB409_5
; %bb.1:
	v_cmp_gt_i32_e32 vcc, s24, v2
	s_and_saveexec_b64 s[10:11], vcc
	s_cbranch_execz .LBB409_4
; %bb.2:
	s_load_dword s3, s[0:1], 0x3c
	v_mov_b32_e32 v3, 0
	s_mov_b32 s13, 0
	v_lshlrev_b32_e32 v4, 2, v0
	s_mov_b64 s[14:15], 0
	s_waitcnt lgkmcnt(0)
	s_and_b32 s3, s3, 0xffff
	s_lshl_b32 s12, s3, 1
	s_lshl_b32 s3, s3, 2
	s_mov_b32 s7, 0x20000
	v_mov_b64_e32 v[0:1], v[2:3]
.LBB409_3:                              ; =>This Inner Loop Header: Depth=1
	v_lshl_add_u64 v[0:1], s[12:13], 0, v[0:1]
	v_cmp_le_i64_e32 vcc, s[24:25], v[0:1]
	buffer_store_dword v3, v4, s[4:7], 0 offen
	s_or_b64 s[14:15], vcc, s[14:15]
	v_add_u32_e32 v4, s3, v4
	s_andn2_b64 exec, exec, s[14:15]
	s_cbranch_execnz .LBB409_3
.LBB409_4:
	s_or_b64 exec, exec, s[10:11]
	s_mov_b64 s[10:11], 0
.LBB409_5:
	s_andn2_b64 vcc, exec, s[10:11]
	s_cbranch_vccnz .LBB409_13
; %bb.6:
	v_cmp_gt_i32_e32 vcc, s24, v2
	s_and_saveexec_b64 s[10:11], vcc
	s_cbranch_execz .LBB409_13
; %bb.7:
	s_load_dwordx2 s[14:15], s[0:1], 0x8
	s_load_dwordx2 s[12:13], s[0:1], 0x18
	s_mul_hi_i32 s9, s24, s8
	s_mul_i32 s8, s24, s8
	s_lshl_b32 s10, s24, 2
	s_lshl_b64 s[8:9], s[8:9], 3
	s_waitcnt lgkmcnt(0)
	s_add_u32 s8, s12, s8
	s_addc_u32 s3, s13, s9
	s_lshl_b64 s[18:19], s[24:25], 2
	s_add_u32 s12, s8, s18
	s_addc_u32 s13, s3, s19
	s_and_b32 s9, s3, 0xffff
	s_mul_i32 s3, s2, s25
	s_mul_hi_u32 s16, s2, s24
	s_add_i32 s3, s16, s3
	s_mul_i32 s2, s2, s24
	s_and_b32 s13, s13, 0xffff
	s_lshl_b64 s[2:3], s[2:3], 3
	s_add_u32 s16, s14, s2
	s_addc_u32 s2, s15, s3
	s_add_u32 s20, s16, s18
	s_addc_u32 s3, s2, s19
	s_and_b32 s17, s2, 0xffff
	s_and_b32 s21, s3, 0xffff
	s_mov_b32 s7, 0x20000
	s_add_u32 s0, s0, 48
	s_mov_b32 s11, s7
	v_mov_b32_e32 v3, 0
	s_addc_u32 s1, s1, 0
	s_mov_b64 s[2:3], 0
	s_mov_b32 s23, s7
	s_mov_b32 s22, s10
	;; [unrolled: 1-line block ×15, first 2 shown]
	v_mov_b32_e32 v12, 0x3ba10414
	v_mov_b32_e32 v13, 0xb9c68948
	;; [unrolled: 1-line block ×3, first 2 shown]
	s_brev_b32 s39, -2
	s_mov_b32 s40, 0x7060302
                                        ; implicit-def: $vgpr0
                                        ; implicit-def: $vgpr0
                                        ; implicit-def: $vgpr0
                                        ; implicit-def: $vgpr0
	s_branch .LBB409_9
.LBB409_8:                              ;   in Loop: Header=BB409_9 Depth=1
	s_or_b64 exec, exec, s[14:15]
	v_fma_f32 v10, |v1|, s29, v13
	v_fma_f32 v10, |v1|, v10, s30
	;; [unrolled: 1-line block ×6, first 2 shown]
	v_fma_f32 v10, |v1|, v10, |v1|
	v_mul_f32_e32 v16, 0xbfb8aa3b, v10
	v_fma_f32 v17, v10, s36, -v16
	v_rndne_f32_e32 v18, v16
	v_fmac_f32_e32 v17, 0xb2a5705f, v10
	v_sub_f32_e32 v16, v16, v18
	v_add_f32_e32 v16, v16, v17
	v_exp_f32_e32 v16, v16
	v_cvt_i32_f32_e32 v17, v18
	s_waitcnt vmcnt(0)
	v_pk_add_f32 v[4:5], v[4:5], v[8:9]
	v_fmamk_f32 v9, v11, 0xba1345e1, v12
	v_fmaak_f32 v9, v11, v9, 0xbcdac9b8
	v_ldexp_f32 v8, v16, v17
	v_cmp_nlt_f32_e32 vcc, s37, v10
	v_fmaak_f32 v9, v11, v9, 0x3de703be
	v_fmaak_f32 v9, v11, v9, 0xbec09330
	v_cndmask_b32_e32 v8, 0, v8, vcc
	v_cmp_ngt_f32_e32 vcc, s38, v10
	v_fmaak_f32 v9, v11, v9, 0x3e0375d0
	v_fma_f32 v9, |v1|, v9, |v1|
	v_cndmask_b32_e32 v8, v14, v8, vcc
	v_sub_f32_e32 v8, 1.0, v8
	v_cmp_lt_f32_e64 vcc, |v1|, 1.0
	v_bfi_b32 v0, s39, v15, v0
	v_mul_f32_e32 v7, 0.5, v7
	v_cndmask_b32_e32 v8, v8, v9, vcc
	v_bfi_b32 v1, s39, v8, v1
	v_mul_f32_e32 v6, 0.5, v6
	v_pk_add_f32 v[0:1], v[0:1], 1.0 op_sel_hi:[1,0]
	s_nop 0
	v_pk_mul_f32 v[0:1], v[6:7], v[0:1]
	s_nop 0
	;;#ASMSTART
	v_pk_mul_f32 v[0:1], v[0:1], v[4:5]
	;;#ASMEND
	s_load_dword s14, s[0:1], 0xc
	v_perm_b32 v0, v1, v0, s40
	v_lshlrev_b32_e32 v1, 1, v2
	buffer_store_dword v0, v1, s[4:7], 0 offen
	s_waitcnt lgkmcnt(0)
	s_and_b32 s14, s14, 0xffff
	s_lshl_b32 s26, s14, 1
	v_lshl_add_u64 v[2:3], s[26:27], 0, v[2:3]
	v_cmp_le_i64_e32 vcc, s[24:25], v[2:3]
	s_or_b64 s[2:3], vcc, s[2:3]
	s_andn2_b64 exec, exec, s[2:3]
	s_cbranch_execz .LBB409_13
.LBB409_9:                              ; =>This Inner Loop Header: Depth=1
	v_lshlrev_b32_e32 v8, 2, v2
	buffer_load_dwordx2 v[0:1], v8, s[16:19], 0 offen
	buffer_load_dwordx2 v[4:5], v8, s[20:23], 0 offen
	;; [unrolled: 1-line block ×3, first 2 shown]
	s_mov_b32 s14, s10
	s_mov_b32 s15, s11
	buffer_load_dwordx2 v[8:9], v8, s[12:15], 0 offen
                                        ; implicit-def: $vgpr15
	s_waitcnt vmcnt(1)
	v_pk_add_f32 v[6:7], v[0:1], v[6:7]
	s_nop 0
	v_pk_mul_f32 v[0:1], v[6:7], s[28:29] op_sel_hi:[1,0]
	s_nop 0
	v_cmp_nlt_f32_e64 s[14:15], |v0|, 1.0
	s_and_saveexec_b64 s[42:43], s[14:15]
	s_xor_b64 s[14:15], exec, s[42:43]
	s_cbranch_execz .LBB409_11
; %bb.10:                               ;   in Loop: Header=BB409_9 Depth=1
	v_fma_f32 v10, |v0|, s29, v13
	v_fma_f32 v10, |v0|, v10, s30
	;; [unrolled: 1-line block ×6, first 2 shown]
	v_fma_f32 v10, |v0|, v10, |v0|
	v_mul_f32_e32 v11, 0xbfb8aa3b, v10
	v_fma_f32 v15, v10, s36, -v11
	v_rndne_f32_e32 v16, v11
	v_fmac_f32_e32 v15, 0xb2a5705f, v10
	v_sub_f32_e32 v11, v11, v16
	v_add_f32_e32 v11, v11, v15
	v_cvt_i32_f32_e32 v15, v16
	v_exp_f32_e32 v11, v11
	v_cmp_nlt_f32_e32 vcc, s37, v10
	v_ldexp_f32 v11, v11, v15
	s_nop 0
	v_cndmask_b32_e32 v11, 0, v11, vcc
	v_cmp_ngt_f32_e32 vcc, s38, v10
	s_nop 1
	v_cndmask_b32_e32 v10, v14, v11, vcc
	v_sub_f32_e32 v15, 1.0, v10
.LBB409_11:                             ;   in Loop: Header=BB409_9 Depth=1
	s_or_saveexec_b64 s[14:15], s[14:15]
	v_pk_mul_f32 v[10:11], v[0:1], v[0:1]
	s_xor_b64 exec, exec, s[14:15]
	s_cbranch_execz .LBB409_8
; %bb.12:                               ;   in Loop: Header=BB409_9 Depth=1
	v_fmamk_f32 v15, v10, 0xba1345e1, v12
	v_fmaak_f32 v15, v10, v15, 0xbcdac9b8
	v_fmaak_f32 v15, v10, v15, 0x3de703be
	;; [unrolled: 1-line block ×4, first 2 shown]
	v_fma_f32 v15, |v0|, v10, |v0|
	s_branch .LBB409_8
.LBB409_13:
	s_endpgm
	.section	.rodata,"a",@progbits
	.p2align	6, 0x0
	.amdhsa_kernel _ZN5aiter23act_and_mul_bias_kernelIftsfTnPFfRKT2_EXadL_ZNS_11gelu_kernelIfEEfRKT_EELi2EEEvPT0_PS8_PKT1_PS2_il
		.amdhsa_group_segment_fixed_size 0
		.amdhsa_private_segment_fixed_size 0
		.amdhsa_kernarg_size 304
		.amdhsa_user_sgpr_count 2
		.amdhsa_user_sgpr_dispatch_ptr 0
		.amdhsa_user_sgpr_queue_ptr 0
		.amdhsa_user_sgpr_kernarg_segment_ptr 1
		.amdhsa_user_sgpr_dispatch_id 0
		.amdhsa_user_sgpr_kernarg_preload_length 0
		.amdhsa_user_sgpr_kernarg_preload_offset 0
		.amdhsa_user_sgpr_private_segment_size 0
		.amdhsa_uses_dynamic_stack 0
		.amdhsa_enable_private_segment 0
		.amdhsa_system_sgpr_workgroup_id_x 1
		.amdhsa_system_sgpr_workgroup_id_y 0
		.amdhsa_system_sgpr_workgroup_id_z 0
		.amdhsa_system_sgpr_workgroup_info 0
		.amdhsa_system_vgpr_workitem_id 0
		.amdhsa_next_free_vgpr 19
		.amdhsa_next_free_sgpr 44
		.amdhsa_accum_offset 20
		.amdhsa_reserve_vcc 1
		.amdhsa_float_round_mode_32 0
		.amdhsa_float_round_mode_16_64 0
		.amdhsa_float_denorm_mode_32 3
		.amdhsa_float_denorm_mode_16_64 3
		.amdhsa_dx10_clamp 1
		.amdhsa_ieee_mode 1
		.amdhsa_fp16_overflow 0
		.amdhsa_tg_split 0
		.amdhsa_exception_fp_ieee_invalid_op 0
		.amdhsa_exception_fp_denorm_src 0
		.amdhsa_exception_fp_ieee_div_zero 0
		.amdhsa_exception_fp_ieee_overflow 0
		.amdhsa_exception_fp_ieee_underflow 0
		.amdhsa_exception_fp_ieee_inexact 0
		.amdhsa_exception_int_div_zero 0
	.end_amdhsa_kernel
	.section	.text._ZN5aiter23act_and_mul_bias_kernelIftsfTnPFfRKT2_EXadL_ZNS_11gelu_kernelIfEEfRKT_EELi2EEEvPT0_PS8_PKT1_PS2_il,"axG",@progbits,_ZN5aiter23act_and_mul_bias_kernelIftsfTnPFfRKT2_EXadL_ZNS_11gelu_kernelIfEEfRKT_EELi2EEEvPT0_PS8_PKT1_PS2_il,comdat
.Lfunc_end409:
	.size	_ZN5aiter23act_and_mul_bias_kernelIftsfTnPFfRKT2_EXadL_ZNS_11gelu_kernelIfEEfRKT_EELi2EEEvPT0_PS8_PKT1_PS2_il, .Lfunc_end409-_ZN5aiter23act_and_mul_bias_kernelIftsfTnPFfRKT2_EXadL_ZNS_11gelu_kernelIfEEfRKT_EELi2EEEvPT0_PS8_PKT1_PS2_il
                                        ; -- End function
	.section	.AMDGPU.csdata,"",@progbits
; Kernel info:
; codeLenInByte = 1236
; NumSgprs: 50
; NumVgprs: 19
; NumAgprs: 0
; TotalNumVgprs: 19
; ScratchSize: 0
; MemoryBound: 0
; FloatMode: 240
; IeeeMode: 1
; LDSByteSize: 0 bytes/workgroup (compile time only)
; SGPRBlocks: 6
; VGPRBlocks: 2
; NumSGPRsForWavesPerEU: 50
; NumVGPRsForWavesPerEU: 19
; AccumOffset: 20
; Occupancy: 8
; WaveLimiterHint : 0
; COMPUTE_PGM_RSRC2:SCRATCH_EN: 0
; COMPUTE_PGM_RSRC2:USER_SGPR: 2
; COMPUTE_PGM_RSRC2:TRAP_HANDLER: 0
; COMPUTE_PGM_RSRC2:TGID_X_EN: 1
; COMPUTE_PGM_RSRC2:TGID_Y_EN: 0
; COMPUTE_PGM_RSRC2:TGID_Z_EN: 0
; COMPUTE_PGM_RSRC2:TIDIG_COMP_CNT: 0
; COMPUTE_PGM_RSRC3_GFX90A:ACCUM_OFFSET: 4
; COMPUTE_PGM_RSRC3_GFX90A:TG_SPLIT: 0
	.section	.text._ZN5aiter23act_and_mul_bias_kernelIftsfTnPFfRKT2_EXadL_ZNS_11gelu_kernelIfEEfRKT_EELi1EEEvPT0_PS8_PKT1_PS2_il,"axG",@progbits,_ZN5aiter23act_and_mul_bias_kernelIftsfTnPFfRKT2_EXadL_ZNS_11gelu_kernelIfEEfRKT_EELi1EEEvPT0_PS8_PKT1_PS2_il,comdat
	.protected	_ZN5aiter23act_and_mul_bias_kernelIftsfTnPFfRKT2_EXadL_ZNS_11gelu_kernelIfEEfRKT_EELi1EEEvPT0_PS8_PKT1_PS2_il ; -- Begin function _ZN5aiter23act_and_mul_bias_kernelIftsfTnPFfRKT2_EXadL_ZNS_11gelu_kernelIfEEfRKT_EELi1EEEvPT0_PS8_PKT1_PS2_il
	.globl	_ZN5aiter23act_and_mul_bias_kernelIftsfTnPFfRKT2_EXadL_ZNS_11gelu_kernelIfEEfRKT_EELi1EEEvPT0_PS8_PKT1_PS2_il
	.p2align	8
	.type	_ZN5aiter23act_and_mul_bias_kernelIftsfTnPFfRKT2_EXadL_ZNS_11gelu_kernelIfEEfRKT_EELi1EEEvPT0_PS8_PKT1_PS2_il,@function
_ZN5aiter23act_and_mul_bias_kernelIftsfTnPFfRKT2_EXadL_ZNS_11gelu_kernelIfEEfRKT_EELi1EEEvPT0_PS8_PKT1_PS2_il: ; @_ZN5aiter23act_and_mul_bias_kernelIftsfTnPFfRKT2_EXadL_ZNS_11gelu_kernelIfEEfRKT_EELi1EEEvPT0_PS8_PKT1_PS2_il
; %bb.0:
	s_load_dwordx2 s[4:5], s[0:1], 0x10
	s_load_dword s20, s[0:1], 0x20
	s_load_dwordx2 s[8:9], s[0:1], 0x28
	s_mov_b32 s3, 0
	s_lshl_b64 s[6:7], s[2:3], 1
	s_waitcnt lgkmcnt(0)
	s_add_u32 s4, s4, s6
	s_addc_u32 s5, s5, s7
	v_mov_b32_e32 v1, 0
	global_load_ushort v1, v1, s[4:5]
	s_load_dwordx2 s[4:5], s[0:1], 0x0
	s_ashr_i32 s21, s20, 31
	s_mul_hi_u32 s3, s20, s2
	v_mov_b64_e32 v[2:3], s[8:9]
	s_mul_i32 s8, s21, s2
	s_add_i32 s11, s3, s8
	s_mul_i32 s10, s20, s2
	s_lshl_b64 s[8:9], s[10:11], 1
	s_mov_b64 s[6:7], -1
	s_waitcnt vmcnt(0)
	v_readfirstlane_b32 s3, v1
	s_sext_i32_i16 s12, s3
	s_ashr_i32 s13, s12, 31
	s_waitcnt lgkmcnt(0)
	s_add_u32 s8, s4, s8
	s_addc_u32 s3, s5, s9
	s_add_i32 s4, s20, 1
	s_lshr_b32 s5, s4, 31
	s_add_i32 s4, s4, s5
	s_and_b32 s9, s3, 0xffff
	s_lshl_b32 s3, s4, 1
	s_and_b32 s10, s3, -4
	s_cmp_gt_i32 s12, -1
	v_cmp_lt_i64_e32 vcc, s[12:13], v[2:3]
	s_cselect_b64 s[4:5], -1, 0
	s_and_b64 s[4:5], s[4:5], vcc
	s_and_b64 vcc, exec, s[4:5]
	v_cmp_gt_i32_e64 s[4:5], s20, v0
	s_cbranch_vccnz .LBB410_5
; %bb.1:
	s_and_saveexec_b64 s[6:7], s[4:5]
	s_cbranch_execz .LBB410_4
; %bb.2:
	s_load_dword s3, s[0:1], 0x3c
	v_mov_b32_e32 v1, 0
	s_mov_b32 s5, 0
	v_lshlrev_b32_e32 v4, 1, v0
	s_mov_b64 s[14:15], 0
	s_waitcnt lgkmcnt(0)
	s_and_b32 s4, s3, 0xffff
	s_lshl_b32 s3, s4, 1
	s_mov_b32 s11, 0x20000
	v_mov_b64_e32 v[2:3], v[0:1]
.LBB410_3:                              ; =>This Inner Loop Header: Depth=1
	v_lshl_add_u64 v[2:3], v[2:3], 0, s[4:5]
	v_cmp_le_i64_e32 vcc, s[20:21], v[2:3]
	buffer_store_short v1, v4, s[8:11], 0 offen
	s_or_b64 s[14:15], vcc, s[14:15]
	v_add_u32_e32 v4, s3, v4
	s_andn2_b64 exec, exec, s[14:15]
	s_cbranch_execnz .LBB410_3
.LBB410_4:
	s_or_b64 exec, exec, s[6:7]
	s_mov_b64 s[6:7], 0
.LBB410_5:
	s_andn2_b64 vcc, exec, s[6:7]
	s_cbranch_vccnz .LBB410_13
; %bb.6:
	v_cmp_gt_i32_e32 vcc, s20, v0
	s_and_saveexec_b64 s[4:5], vcc
	s_cbranch_execz .LBB410_13
; %bb.7:
	s_load_dwordx2 s[14:15], s[0:1], 0x8
	s_load_dwordx2 s[4:5], s[0:1], 0x18
	s_mul_hi_i32 s13, s20, s12
	s_mul_i32 s12, s20, s12
	s_lshl_b32 s6, s20, 2
	s_lshl_b64 s[12:13], s[12:13], 3
	s_waitcnt lgkmcnt(0)
	s_add_u32 s4, s4, s12
	s_load_dword s18, s[0:1], 0x3c
	s_addc_u32 s1, s5, s13
	s_lshl_b64 s[16:17], s[20:21], 2
	s_add_u32 s0, s4, s16
	s_addc_u32 s3, s1, s17
	s_and_b32 s5, s1, 0xffff
	s_and_b32 s1, s3, 0xffff
	s_mul_i32 s3, s2, s21
	s_mul_hi_u32 s12, s2, s20
	s_add_i32 s3, s12, s3
	s_mul_i32 s2, s2, s20
	s_lshl_b64 s[2:3], s[2:3], 3
	s_add_u32 s12, s14, s2
	s_addc_u32 s2, s15, s3
	s_add_u32 s16, s12, s16
	s_mov_b32 s11, 0x20000
	s_addc_u32 s3, s2, s17
	s_waitcnt lgkmcnt(0)
	s_and_b32 s22, s18, 0xffff
                                        ; implicit-def: $vgpr5
                                        ; implicit-def: $vgpr5
	;; [unrolled: 1-line block ×4, first 2 shown]
	s_mov_b32 s7, s11
	s_and_b32 s13, s2, 0xffff
	s_and_b32 s17, s3, 0xffff
	s_mov_b32 s23, 0
	v_mov_b32_e32 v1, 0
	v_lshlrev_b32_e32 v2, 1, v0
	s_lshl_b32 s26, s22, 1
	v_lshlrev_b32_e32 v3, 2, v0
	s_lshl_b32 s27, s22, 2
	s_mov_b64 s[24:25], 0
	s_mov_b32 s19, s11
	s_mov_b32 s18, s6
	s_mov_b32 s14, s6
	s_mov_b32 s15, s11
	s_mov_b32 s28, 0x378e98ab
	s_mov_b32 s29, 0x3b7cd369
	s_mov_b32 s30, 0xbcc618b2
	s_mov_b32 s31, 0x3dda74e4
	s_mov_b32 s33, 0x3f228afd
	s_mov_b32 s34, 0x3e03c728
	s_mov_b32 s35, 0xbfb8aa3b
	s_mov_b32 s36, 0x42ce8ed0
	s_mov_b32 s37, 0xc2b17218
	v_mov_b32_e32 v4, 0x3ba10414
	s_brev_b32 s38, -2
	v_mov_b32_e32 v5, 0xb9c68948
	v_mov_b32_e32 v6, 0x7f800000
	s_branch .LBB410_9
.LBB410_8:                              ;   in Loop: Header=BB410_9 Depth=1
	s_or_b64 exec, exec, s[2:3]
	s_waitcnt vmcnt(0)
	v_add_f32_e32 v7, v7, v8
	v_mul_f32_e32 v8, 0.5, v9
	v_bfi_b32 v9, s38, v11, v10
	v_add_f32_e32 v9, 1.0, v9
	v_mul_f32_e32 v8, v8, v9
	v_mul_f32_e32 v7, v7, v8
	v_lshl_add_u64 v[0:1], v[0:1], 0, s[22:23]
	v_lshrrev_b32_e32 v7, 16, v7
	v_cmp_le_i64_e32 vcc, s[20:21], v[0:1]
	buffer_store_short v7, v2, s[8:11], 0 offen
	v_add_u32_e32 v2, s26, v2
	s_or_b64 s[24:25], vcc, s[24:25]
	v_add_u32_e32 v3, s27, v3
	s_andn2_b64 exec, exec, s[24:25]
	s_cbranch_execz .LBB410_13
.LBB410_9:                              ; =>This Inner Loop Header: Depth=1
	buffer_load_dword v9, v3, s[12:15], 0 offen
	buffer_load_dword v7, v3, s[16:19], 0 offen
	;; [unrolled: 1-line block ×3, first 2 shown]
	s_mov_b32 s2, s6
	s_mov_b32 s3, s7
	buffer_load_dword v8, v3, s[0:3], 0 offen
                                        ; implicit-def: $vgpr11
	s_waitcnt vmcnt(1)
	v_add_f32_e32 v9, v9, v10
	v_mul_f32_e32 v10, 0x3f3504f3, v9
	v_cmp_nlt_f32_e64 s[2:3], |v10|, 1.0
	s_and_saveexec_b64 s[40:41], s[2:3]
	s_xor_b64 s[2:3], exec, s[40:41]
	s_cbranch_execz .LBB410_11
; %bb.10:                               ;   in Loop: Header=BB410_9 Depth=1
	v_fma_f32 v11, |v10|, s28, v5
	v_fma_f32 v11, |v10|, v11, s29
	;; [unrolled: 1-line block ×6, first 2 shown]
	v_fma_f32 v11, |v10|, v11, |v10|
	v_mul_f32_e32 v12, 0xbfb8aa3b, v11
	v_fma_f32 v13, v11, s35, -v12
	v_rndne_f32_e32 v14, v12
	v_fmac_f32_e32 v13, 0xb2a5705f, v11
	v_sub_f32_e32 v12, v12, v14
	v_add_f32_e32 v12, v12, v13
	v_cvt_i32_f32_e32 v13, v14
	v_exp_f32_e32 v12, v12
	v_cmp_nlt_f32_e32 vcc, s36, v11
	v_ldexp_f32 v12, v12, v13
	s_nop 0
	v_cndmask_b32_e32 v12, 0, v12, vcc
	v_cmp_ngt_f32_e32 vcc, s37, v11
	s_nop 1
	v_cndmask_b32_e32 v11, v6, v12, vcc
	v_sub_f32_e32 v11, 1.0, v11
.LBB410_11:                             ;   in Loop: Header=BB410_9 Depth=1
	s_andn2_saveexec_b64 s[2:3], s[2:3]
	s_cbranch_execz .LBB410_8
; %bb.12:                               ;   in Loop: Header=BB410_9 Depth=1
	v_mul_f32_e32 v11, v10, v10
	v_fmamk_f32 v12, v11, 0xba1345e1, v4
	v_fmaak_f32 v12, v11, v12, 0xbcdac9b8
	v_fmaak_f32 v12, v11, v12, 0x3de703be
	;; [unrolled: 1-line block ×4, first 2 shown]
	v_fma_f32 v11, |v10|, v11, |v10|
	s_branch .LBB410_8
.LBB410_13:
	s_endpgm
	.section	.rodata,"a",@progbits
	.p2align	6, 0x0
	.amdhsa_kernel _ZN5aiter23act_and_mul_bias_kernelIftsfTnPFfRKT2_EXadL_ZNS_11gelu_kernelIfEEfRKT_EELi1EEEvPT0_PS8_PKT1_PS2_il
		.amdhsa_group_segment_fixed_size 0
		.amdhsa_private_segment_fixed_size 0
		.amdhsa_kernarg_size 304
		.amdhsa_user_sgpr_count 2
		.amdhsa_user_sgpr_dispatch_ptr 0
		.amdhsa_user_sgpr_queue_ptr 0
		.amdhsa_user_sgpr_kernarg_segment_ptr 1
		.amdhsa_user_sgpr_dispatch_id 0
		.amdhsa_user_sgpr_kernarg_preload_length 0
		.amdhsa_user_sgpr_kernarg_preload_offset 0
		.amdhsa_user_sgpr_private_segment_size 0
		.amdhsa_uses_dynamic_stack 0
		.amdhsa_enable_private_segment 0
		.amdhsa_system_sgpr_workgroup_id_x 1
		.amdhsa_system_sgpr_workgroup_id_y 0
		.amdhsa_system_sgpr_workgroup_id_z 0
		.amdhsa_system_sgpr_workgroup_info 0
		.amdhsa_system_vgpr_workitem_id 0
		.amdhsa_next_free_vgpr 15
		.amdhsa_next_free_sgpr 42
		.amdhsa_accum_offset 16
		.amdhsa_reserve_vcc 1
		.amdhsa_float_round_mode_32 0
		.amdhsa_float_round_mode_16_64 0
		.amdhsa_float_denorm_mode_32 3
		.amdhsa_float_denorm_mode_16_64 3
		.amdhsa_dx10_clamp 1
		.amdhsa_ieee_mode 1
		.amdhsa_fp16_overflow 0
		.amdhsa_tg_split 0
		.amdhsa_exception_fp_ieee_invalid_op 0
		.amdhsa_exception_fp_denorm_src 0
		.amdhsa_exception_fp_ieee_div_zero 0
		.amdhsa_exception_fp_ieee_overflow 0
		.amdhsa_exception_fp_ieee_underflow 0
		.amdhsa_exception_fp_ieee_inexact 0
		.amdhsa_exception_int_div_zero 0
	.end_amdhsa_kernel
	.section	.text._ZN5aiter23act_and_mul_bias_kernelIftsfTnPFfRKT2_EXadL_ZNS_11gelu_kernelIfEEfRKT_EELi1EEEvPT0_PS8_PKT1_PS2_il,"axG",@progbits,_ZN5aiter23act_and_mul_bias_kernelIftsfTnPFfRKT2_EXadL_ZNS_11gelu_kernelIfEEfRKT_EELi1EEEvPT0_PS8_PKT1_PS2_il,comdat
.Lfunc_end410:
	.size	_ZN5aiter23act_and_mul_bias_kernelIftsfTnPFfRKT2_EXadL_ZNS_11gelu_kernelIfEEfRKT_EELi1EEEvPT0_PS8_PKT1_PS2_il, .Lfunc_end410-_ZN5aiter23act_and_mul_bias_kernelIftsfTnPFfRKT2_EXadL_ZNS_11gelu_kernelIfEEfRKT_EELi1EEEvPT0_PS8_PKT1_PS2_il
                                        ; -- End function
	.section	.AMDGPU.csdata,"",@progbits
; Kernel info:
; codeLenInByte = 972
; NumSgprs: 48
; NumVgprs: 15
; NumAgprs: 0
; TotalNumVgprs: 15
; ScratchSize: 0
; MemoryBound: 0
; FloatMode: 240
; IeeeMode: 1
; LDSByteSize: 0 bytes/workgroup (compile time only)
; SGPRBlocks: 5
; VGPRBlocks: 1
; NumSGPRsForWavesPerEU: 48
; NumVGPRsForWavesPerEU: 15
; AccumOffset: 16
; Occupancy: 8
; WaveLimiterHint : 0
; COMPUTE_PGM_RSRC2:SCRATCH_EN: 0
; COMPUTE_PGM_RSRC2:USER_SGPR: 2
; COMPUTE_PGM_RSRC2:TRAP_HANDLER: 0
; COMPUTE_PGM_RSRC2:TGID_X_EN: 1
; COMPUTE_PGM_RSRC2:TGID_Y_EN: 0
; COMPUTE_PGM_RSRC2:TGID_Z_EN: 0
; COMPUTE_PGM_RSRC2:TIDIG_COMP_CNT: 0
; COMPUTE_PGM_RSRC3_GFX90A:ACCUM_OFFSET: 3
; COMPUTE_PGM_RSRC3_GFX90A:TG_SPLIT: 0
	.section	.text._ZN5aiter23act_and_mul_bias_kernelIfDF16_sfTnPFfRKT2_EXadL_ZNS_11gelu_kernelIfEEfRKT_EELi16EEEvPT0_PS8_PKT1_PS2_il,"axG",@progbits,_ZN5aiter23act_and_mul_bias_kernelIfDF16_sfTnPFfRKT2_EXadL_ZNS_11gelu_kernelIfEEfRKT_EELi16EEEvPT0_PS8_PKT1_PS2_il,comdat
	.protected	_ZN5aiter23act_and_mul_bias_kernelIfDF16_sfTnPFfRKT2_EXadL_ZNS_11gelu_kernelIfEEfRKT_EELi16EEEvPT0_PS8_PKT1_PS2_il ; -- Begin function _ZN5aiter23act_and_mul_bias_kernelIfDF16_sfTnPFfRKT2_EXadL_ZNS_11gelu_kernelIfEEfRKT_EELi16EEEvPT0_PS8_PKT1_PS2_il
	.globl	_ZN5aiter23act_and_mul_bias_kernelIfDF16_sfTnPFfRKT2_EXadL_ZNS_11gelu_kernelIfEEfRKT_EELi16EEEvPT0_PS8_PKT1_PS2_il
	.p2align	8
	.type	_ZN5aiter23act_and_mul_bias_kernelIfDF16_sfTnPFfRKT2_EXadL_ZNS_11gelu_kernelIfEEfRKT_EELi16EEEvPT0_PS8_PKT1_PS2_il,@function
_ZN5aiter23act_and_mul_bias_kernelIfDF16_sfTnPFfRKT2_EXadL_ZNS_11gelu_kernelIfEEfRKT_EELi16EEEvPT0_PS8_PKT1_PS2_il: ; @_ZN5aiter23act_and_mul_bias_kernelIfDF16_sfTnPFfRKT2_EXadL_ZNS_11gelu_kernelIfEEfRKT_EELi16EEEvPT0_PS8_PKT1_PS2_il
; %bb.0:
	s_load_dwordx2 s[4:5], s[0:1], 0x10
	s_load_dword s24, s[0:1], 0x20
	s_load_dwordx2 s[6:7], s[0:1], 0x28
	s_mov_b32 s3, 0
	s_lshl_b64 s[8:9], s[2:3], 1
	s_waitcnt lgkmcnt(0)
	s_add_u32 s4, s4, s8
	s_addc_u32 s5, s5, s9
	v_mov_b32_e32 v1, 0
	global_load_ushort v1, v1, s[4:5]
	s_load_dwordx2 s[4:5], s[0:1], 0x0
	s_ashr_i32 s25, s24, 31
	s_mul_hi_u32 s3, s24, s2
	v_mov_b64_e32 v[2:3], s[6:7]
	s_mul_i32 s6, s25, s2
	s_mul_i32 s8, s24, s2
	s_add_i32 s9, s3, s6
	s_lshl_b64 s[6:7], s[8:9], 1
	s_mov_b64 s[10:11], -1
	v_lshlrev_b32_e32 v64, 4, v0
	s_waitcnt vmcnt(0)
	v_readfirstlane_b32 s3, v1
	s_sext_i32_i16 s8, s3
	s_ashr_i32 s9, s8, 31
	s_waitcnt lgkmcnt(0)
	s_add_u32 s4, s4, s6
	s_addc_u32 s3, s5, s7
	s_add_i32 s6, s24, 1
	s_lshr_b32 s7, s6, 31
	s_add_i32 s6, s6, s7
	s_and_b32 s5, s3, 0xffff
	s_lshl_b32 s3, s6, 1
	s_and_b32 s6, s3, -4
	s_cmp_gt_i32 s8, -1
	v_cmp_lt_i64_e32 vcc, s[8:9], v[2:3]
	s_cselect_b64 s[12:13], -1, 0
	s_and_b64 s[12:13], s[12:13], vcc
	s_and_b64 vcc, exec, s[12:13]
	s_cbranch_vccnz .LBB411_5
; %bb.1:
	v_cmp_gt_i32_e32 vcc, s24, v64
	s_and_saveexec_b64 s[10:11], vcc
	s_cbranch_execz .LBB411_4
; %bb.2:
	s_load_dword s3, s[0:1], 0x3c
	s_mov_b32 s13, 0
	s_mov_b32 s16, s13
	;; [unrolled: 1-line block ×3, first 2 shown]
	v_mov_b32_e32 v65, 0
	v_lshlrev_b32_e32 v6, 5, v0
	s_waitcnt lgkmcnt(0)
	s_and_b32 s3, s3, 0xffff
	s_mov_b32 s18, s13
	s_mov_b32 s19, s13
	v_mov_b64_e32 v[0:1], s[16:17]
	s_lshl_b32 s12, s3, 4
	s_lshl_b32 s3, s3, 5
	s_mov_b64 s[14:15], 0
	s_mov_b32 s7, 0x20000
	v_mov_b64_e32 v[2:3], s[18:19]
	v_mov_b64_e32 v[4:5], v[64:65]
.LBB411_3:                              ; =>This Inner Loop Header: Depth=1
	v_lshl_add_u64 v[4:5], s[12:13], 0, v[4:5]
	v_cmp_le_i64_e32 vcc, s[24:25], v[4:5]
	buffer_store_dwordx4 v[0:3], v6, s[4:7], 0 offen
	buffer_store_dwordx4 v[0:3], v6, s[4:7], 16 offen
	s_or_b64 s[14:15], vcc, s[14:15]
	v_add_u32_e32 v6, s3, v6
	s_andn2_b64 exec, exec, s[14:15]
	s_cbranch_execnz .LBB411_3
.LBB411_4:
	s_or_b64 exec, exec, s[10:11]
	s_mov_b64 s[10:11], 0
.LBB411_5:
	s_andn2_b64 vcc, exec, s[10:11]
	s_cbranch_vccnz .LBB411_73
; %bb.6:
	v_cmp_gt_i32_e32 vcc, s24, v64
	s_and_saveexec_b64 s[10:11], vcc
	s_cbranch_execz .LBB411_73
; %bb.7:
	s_load_dwordx2 s[14:15], s[0:1], 0x8
	s_load_dwordx2 s[12:13], s[0:1], 0x18
	s_mul_hi_i32 s9, s24, s8
	s_mul_i32 s8, s24, s8
	s_lshl_b32 s10, s24, 2
	s_lshl_b64 s[8:9], s[8:9], 3
	s_waitcnt lgkmcnt(0)
	s_add_u32 s8, s12, s8
	s_addc_u32 s3, s13, s9
	s_lshl_b64 s[18:19], s[24:25], 2
	s_add_u32 s12, s8, s18
	s_addc_u32 s13, s3, s19
	s_and_b32 s9, s3, 0xffff
	s_mul_i32 s3, s2, s25
	s_mul_hi_u32 s16, s2, s24
	s_add_i32 s3, s16, s3
	s_mul_i32 s2, s2, s24
	s_and_b32 s13, s13, 0xffff
	s_lshl_b64 s[2:3], s[2:3], 3
	s_add_u32 s16, s14, s2
	s_addc_u32 s2, s15, s3
	s_add_u32 s20, s16, s18
	s_addc_u32 s3, s2, s19
	s_and_b32 s17, s2, 0xffff
	s_and_b32 s21, s3, 0xffff
	s_mov_b32 s7, 0x20000
	s_add_u32 s0, s0, 48
	s_mov_b32 s11, s7
	v_mov_b32_e32 v65, 0
	s_addc_u32 s1, s1, 0
	s_mov_b64 s[2:3], 0
	s_mov_b32 s18, s10
	s_mov_b32 s19, s7
	;; [unrolled: 1-line block ×12, first 2 shown]
	v_mov_b32_e32 v66, 0x3ba10414
	s_brev_b32 s38, -2
	s_mov_b32 s22, s10
	s_mov_b32 s23, s7
	v_mov_b32_e32 v67, 0xb9c68948
	v_mov_b32_e32 v68, 0x7f800000
                                        ; implicit-def: $vgpr0
                                        ; implicit-def: $vgpr0
	;; [unrolled: 1-line block ×4, first 2 shown]
	s_branch .LBB411_9
.LBB411_8:                              ;   in Loop: Header=BB411_9 Depth=1
	s_or_b64 exec, exec, s[14:15]
	v_bfi_b32 v5, s38, v8, v5
	v_cvt_f16_f32_e32 v15, v1
	v_bfi_b32 v1, s38, v11, v10
	v_mul_f32_e32 v4, 0.5, v4
	v_add_f32_e32 v5, 1.0, v5
	v_cvt_f16_f32_e32 v14, v0
	v_mul_f32_e32 v0, 0.5, v9
	v_add_f32_e32 v1, 1.0, v1
	v_mul_f32_e32 v4, v4, v5
	v_add_f32_e32 v3, v3, v7
	v_add_f32_e32 v2, v2, v6
	v_mul_f32_e32 v5, v0, v1
	;;#ASMSTART
	v_pk_mul_f32 v[0:1], v[4:5], v[2:3]
	;;#ASMEND
	s_load_dword s14, s[0:1], 0xc
	v_cvt_f16_f32_e32 v7, v16
	v_cvt_f16_f32_e32 v6, v48
	;; [unrolled: 1-line block ×14, first 2 shown]
	s_waitcnt lgkmcnt(0)
	s_and_b32 s14, s14, 0xffff
	s_lshl_b32 s26, s14, 4
	v_pack_b32_f16 v0, v6, v16
	v_lshlrev_b32_e32 v6, 1, v64
	v_lshl_add_u64 v[64:65], s[26:27], 0, v[64:65]
	v_pack_b32_f16 v3, v21, v22
	v_pack_b32_f16 v2, v19, v20
	;; [unrolled: 1-line block ×3, first 2 shown]
	v_cmp_le_i64_e32 vcc, s[24:25], v[64:65]
	buffer_store_dwordx4 v[0:3], v6, s[4:7], 0 offen
	s_or_b64 s[2:3], vcc, s[2:3]
	s_nop 0
	v_pack_b32_f16 v3, v4, v5
	v_pack_b32_f16 v2, v14, v15
	;; [unrolled: 1-line block ×4, first 2 shown]
	buffer_store_dwordx4 v[0:3], v6, s[4:7], 16 offen
	s_andn2_b64 exec, exec, s[2:3]
	s_cbranch_execz .LBB411_73
.LBB411_9:                              ; =>This Inner Loop Header: Depth=1
	v_lshlrev_b32_e32 v4, 2, v64
	s_mov_b32 s14, s10
	s_mov_b32 s15, s11
	buffer_load_dwordx4 v[56:59], v4, s[16:19], 0 offen
	buffer_load_dwordx4 v[40:43], v4, s[16:19], 16 offen
	;; [unrolled: 1-line block ×15, first 2 shown]
	s_nop 0
	buffer_load_dwordx4 v[4:7], v4, s[12:15], 48 offen
                                        ; implicit-def: $vgpr69
	s_waitcnt vmcnt(7)
	v_add_f32_e32 v56, v56, v60
	v_mul_f32_e32 v60, 0x3f3504f3, v56
	v_cmp_nlt_f32_e64 s[14:15], |v60|, 1.0
	s_and_saveexec_b64 s[40:41], s[14:15]
	s_xor_b64 s[14:15], exec, s[40:41]
	s_cbranch_execz .LBB411_11
; %bb.10:                               ;   in Loop: Header=BB411_9 Depth=1
	v_fma_f32 v69, |v60|, s28, v67
	v_fma_f32 v69, |v60|, v69, s29
	;; [unrolled: 1-line block ×6, first 2 shown]
	v_fma_f32 v69, |v60|, v69, |v60|
	v_mul_f32_e32 v70, 0xbfb8aa3b, v69
	v_fma_f32 v71, v69, s35, -v70
	v_rndne_f32_e32 v72, v70
	v_fmac_f32_e32 v71, 0xb2a5705f, v69
	v_sub_f32_e32 v70, v70, v72
	v_add_f32_e32 v70, v70, v71
	v_cvt_i32_f32_e32 v71, v72
	v_exp_f32_e32 v70, v70
	v_cmp_nlt_f32_e32 vcc, s36, v69
	v_ldexp_f32 v70, v70, v71
	s_nop 0
	v_cndmask_b32_e32 v70, 0, v70, vcc
	v_cmp_ngt_f32_e32 vcc, s37, v69
	s_nop 1
	v_cndmask_b32_e32 v69, v68, v70, vcc
	v_sub_f32_e32 v69, 1.0, v69
.LBB411_11:                             ;   in Loop: Header=BB411_9 Depth=1
	s_andn2_saveexec_b64 s[14:15], s[14:15]
; %bb.12:                               ;   in Loop: Header=BB411_9 Depth=1
	v_mul_f32_e32 v69, v60, v60
	v_fmamk_f32 v70, v69, 0xba1345e1, v66
	v_fmaak_f32 v70, v69, v70, 0xbcdac9b8
	v_fmaak_f32 v70, v69, v70, 0x3de703be
	;; [unrolled: 1-line block ×4, first 2 shown]
	v_fma_f32 v69, |v60|, v69, |v60|
; %bb.13:                               ;   in Loop: Header=BB411_9 Depth=1
	s_or_b64 exec, exec, s[14:15]
	v_add_f32_e32 v57, v57, v61
	v_mul_f32_e32 v61, 0x3f3504f3, v57
	v_cmp_nlt_f32_e64 s[14:15], |v61|, 1.0
                                        ; implicit-def: $vgpr70
	s_and_saveexec_b64 s[40:41], s[14:15]
	s_xor_b64 s[14:15], exec, s[40:41]
	s_cbranch_execz .LBB411_15
; %bb.14:                               ;   in Loop: Header=BB411_9 Depth=1
	v_fma_f32 v70, |v61|, s28, v67
	v_fma_f32 v70, |v61|, v70, s29
	;; [unrolled: 1-line block ×6, first 2 shown]
	v_fma_f32 v70, |v61|, v70, |v61|
	v_mul_f32_e32 v71, 0xbfb8aa3b, v70
	v_fma_f32 v72, v70, s35, -v71
	v_rndne_f32_e32 v73, v71
	v_fmac_f32_e32 v72, 0xb2a5705f, v70
	v_sub_f32_e32 v71, v71, v73
	v_add_f32_e32 v71, v71, v72
	v_cvt_i32_f32_e32 v72, v73
	v_exp_f32_e32 v71, v71
	v_cmp_nlt_f32_e32 vcc, s36, v70
	v_ldexp_f32 v71, v71, v72
	s_nop 0
	v_cndmask_b32_e32 v71, 0, v71, vcc
	v_cmp_ngt_f32_e32 vcc, s37, v70
	s_nop 1
	v_cndmask_b32_e32 v70, v68, v71, vcc
	v_sub_f32_e32 v70, 1.0, v70
.LBB411_15:                             ;   in Loop: Header=BB411_9 Depth=1
	s_andn2_saveexec_b64 s[14:15], s[14:15]
; %bb.16:                               ;   in Loop: Header=BB411_9 Depth=1
	v_mul_f32_e32 v70, v61, v61
	v_fmamk_f32 v71, v70, 0xba1345e1, v66
	v_fmaak_f32 v71, v70, v71, 0xbcdac9b8
	v_fmaak_f32 v71, v70, v71, 0x3de703be
	;; [unrolled: 1-line block ×4, first 2 shown]
	v_fma_f32 v70, |v61|, v70, |v61|
; %bb.17:                               ;   in Loop: Header=BB411_9 Depth=1
	s_or_b64 exec, exec, s[14:15]
	s_waitcnt vmcnt(3)
	v_add_f32_e32 v49, v49, v53
	v_bfi_b32 v53, s38, v70, v61
	v_add_f32_e32 v48, v48, v52
	v_mul_f32_e32 v52, 0.5, v57
	v_add_f32_e32 v53, 1.0, v53
	v_bfi_b32 v60, s38, v69, v60
	v_mul_f32_e32 v57, v52, v53
	v_add_f32_e32 v52, v58, v62
	v_mul_f32_e32 v56, 0.5, v56
	v_add_f32_e32 v60, 1.0, v60
	v_mul_f32_e32 v53, 0x3f3504f3, v52
	v_mul_f32_e32 v56, v56, v60
	v_cmp_nlt_f32_e64 s[14:15], |v53|, 1.0
	;;#ASMSTART
	v_pk_mul_f32 v[48:49], v[56:57], v[48:49]
	;;#ASMEND
                                        ; implicit-def: $vgpr56
	s_and_saveexec_b64 s[40:41], s[14:15]
	s_xor_b64 s[14:15], exec, s[40:41]
	s_cbranch_execz .LBB411_19
; %bb.18:                               ;   in Loop: Header=BB411_9 Depth=1
	v_fma_f32 v56, |v53|, s28, v67
	v_fma_f32 v56, |v53|, v56, s29
	;; [unrolled: 1-line block ×6, first 2 shown]
	v_fma_f32 v56, |v53|, v56, |v53|
	v_mul_f32_e32 v57, 0xbfb8aa3b, v56
	v_fma_f32 v58, v56, s35, -v57
	v_rndne_f32_e32 v60, v57
	v_fmac_f32_e32 v58, 0xb2a5705f, v56
	v_sub_f32_e32 v57, v57, v60
	v_add_f32_e32 v57, v57, v58
	v_cvt_i32_f32_e32 v58, v60
	v_exp_f32_e32 v57, v57
	v_cmp_nlt_f32_e32 vcc, s36, v56
	v_ldexp_f32 v57, v57, v58
	s_nop 0
	v_cndmask_b32_e32 v57, 0, v57, vcc
	v_cmp_ngt_f32_e32 vcc, s37, v56
	s_nop 1
	v_cndmask_b32_e32 v56, v68, v57, vcc
	v_sub_f32_e32 v56, 1.0, v56
.LBB411_19:                             ;   in Loop: Header=BB411_9 Depth=1
	s_andn2_saveexec_b64 s[14:15], s[14:15]
; %bb.20:                               ;   in Loop: Header=BB411_9 Depth=1
	v_mul_f32_e32 v56, v53, v53
	v_fmamk_f32 v57, v56, 0xba1345e1, v66
	v_fmaak_f32 v57, v56, v57, 0xbcdac9b8
	v_fmaak_f32 v57, v56, v57, 0x3de703be
	;; [unrolled: 1-line block ×4, first 2 shown]
	v_fma_f32 v56, |v53|, v56, |v53|
; %bb.21:                               ;   in Loop: Header=BB411_9 Depth=1
	s_or_b64 exec, exec, s[14:15]
	v_add_f32_e32 v57, v59, v63
	v_mul_f32_e32 v58, 0x3f3504f3, v57
	v_cmp_nlt_f32_e64 s[14:15], |v58|, 1.0
                                        ; implicit-def: $vgpr59
	s_and_saveexec_b64 s[40:41], s[14:15]
	s_xor_b64 s[14:15], exec, s[40:41]
	s_cbranch_execz .LBB411_23
; %bb.22:                               ;   in Loop: Header=BB411_9 Depth=1
	v_fma_f32 v59, |v58|, s28, v67
	v_fma_f32 v59, |v58|, v59, s29
	;; [unrolled: 1-line block ×6, first 2 shown]
	v_fma_f32 v59, |v58|, v59, |v58|
	v_mul_f32_e32 v60, 0xbfb8aa3b, v59
	v_fma_f32 v61, v59, s35, -v60
	v_rndne_f32_e32 v62, v60
	v_fmac_f32_e32 v61, 0xb2a5705f, v59
	v_sub_f32_e32 v60, v60, v62
	v_add_f32_e32 v60, v60, v61
	v_cvt_i32_f32_e32 v61, v62
	v_exp_f32_e32 v60, v60
	v_cmp_nlt_f32_e32 vcc, s36, v59
	v_ldexp_f32 v60, v60, v61
	s_nop 0
	v_cndmask_b32_e32 v60, 0, v60, vcc
	v_cmp_ngt_f32_e32 vcc, s37, v59
	s_nop 1
	v_cndmask_b32_e32 v59, v68, v60, vcc
	v_sub_f32_e32 v59, 1.0, v59
.LBB411_23:                             ;   in Loop: Header=BB411_9 Depth=1
	s_andn2_saveexec_b64 s[14:15], s[14:15]
; %bb.24:                               ;   in Loop: Header=BB411_9 Depth=1
	v_mul_f32_e32 v59, v58, v58
	v_fmamk_f32 v60, v59, 0xba1345e1, v66
	v_fmaak_f32 v60, v59, v60, 0xbcdac9b8
	v_fmaak_f32 v60, v59, v60, 0x3de703be
	;; [unrolled: 1-line block ×4, first 2 shown]
	v_fma_f32 v59, |v58|, v59, |v58|
; %bb.25:                               ;   in Loop: Header=BB411_9 Depth=1
	s_or_b64 exec, exec, s[14:15]
	v_bfi_b32 v53, s38, v56, v53
	v_add_f32_e32 v40, v40, v44
	v_mul_f32_e32 v52, 0.5, v52
	v_add_f32_e32 v53, 1.0, v53
	v_add_f32_e32 v50, v50, v54
	v_bfi_b32 v54, s38, v59, v58
	v_mul_f32_e32 v44, 0x3f3504f3, v40
	v_mul_f32_e32 v52, v52, v53
	v_add_f32_e32 v51, v51, v55
	v_mul_f32_e32 v53, 0.5, v57
	v_add_f32_e32 v54, 1.0, v54
	v_cmp_nlt_f32_e64 s[14:15], |v44|, 1.0
	v_mul_f32_e32 v53, v53, v54
	;;#ASMSTART
	v_pk_mul_f32 v[50:51], v[52:53], v[50:51]
	;;#ASMEND
                                        ; implicit-def: $vgpr52
	s_and_saveexec_b64 s[40:41], s[14:15]
	s_xor_b64 s[14:15], exec, s[40:41]
	s_cbranch_execz .LBB411_27
; %bb.26:                               ;   in Loop: Header=BB411_9 Depth=1
	v_fma_f32 v52, |v44|, s28, v67
	v_fma_f32 v52, |v44|, v52, s29
	;; [unrolled: 1-line block ×6, first 2 shown]
	v_fma_f32 v52, |v44|, v52, |v44|
	v_mul_f32_e32 v53, 0xbfb8aa3b, v52
	v_fma_f32 v54, v52, s35, -v53
	v_rndne_f32_e32 v55, v53
	v_fmac_f32_e32 v54, 0xb2a5705f, v52
	v_sub_f32_e32 v53, v53, v55
	v_add_f32_e32 v53, v53, v54
	v_cvt_i32_f32_e32 v54, v55
	v_exp_f32_e32 v53, v53
	v_cmp_nlt_f32_e32 vcc, s36, v52
	v_ldexp_f32 v53, v53, v54
	s_nop 0
	v_cndmask_b32_e32 v53, 0, v53, vcc
	v_cmp_ngt_f32_e32 vcc, s37, v52
	s_nop 1
	v_cndmask_b32_e32 v52, v68, v53, vcc
	v_sub_f32_e32 v52, 1.0, v52
.LBB411_27:                             ;   in Loop: Header=BB411_9 Depth=1
	s_andn2_saveexec_b64 s[14:15], s[14:15]
; %bb.28:                               ;   in Loop: Header=BB411_9 Depth=1
	v_mul_f32_e32 v52, v44, v44
	v_fmamk_f32 v53, v52, 0xba1345e1, v66
	v_fmaak_f32 v53, v52, v53, 0xbcdac9b8
	v_fmaak_f32 v53, v52, v53, 0x3de703be
	;; [unrolled: 1-line block ×4, first 2 shown]
	v_fma_f32 v52, |v44|, v52, |v44|
; %bb.29:                               ;   in Loop: Header=BB411_9 Depth=1
	s_or_b64 exec, exec, s[14:15]
	v_add_f32_e32 v41, v41, v45
	v_mul_f32_e32 v45, 0x3f3504f3, v41
	v_cmp_nlt_f32_e64 s[14:15], |v45|, 1.0
                                        ; implicit-def: $vgpr53
	s_and_saveexec_b64 s[40:41], s[14:15]
	s_xor_b64 s[14:15], exec, s[40:41]
	s_cbranch_execz .LBB411_31
; %bb.30:                               ;   in Loop: Header=BB411_9 Depth=1
	v_fma_f32 v53, |v45|, s28, v67
	v_fma_f32 v53, |v45|, v53, s29
	;; [unrolled: 1-line block ×6, first 2 shown]
	v_fma_f32 v53, |v45|, v53, |v45|
	v_mul_f32_e32 v54, 0xbfb8aa3b, v53
	v_fma_f32 v55, v53, s35, -v54
	v_rndne_f32_e32 v56, v54
	v_fmac_f32_e32 v55, 0xb2a5705f, v53
	v_sub_f32_e32 v54, v54, v56
	v_add_f32_e32 v54, v54, v55
	v_cvt_i32_f32_e32 v55, v56
	v_exp_f32_e32 v54, v54
	v_cmp_nlt_f32_e32 vcc, s36, v53
	v_ldexp_f32 v54, v54, v55
	s_nop 0
	v_cndmask_b32_e32 v54, 0, v54, vcc
	v_cmp_ngt_f32_e32 vcc, s37, v53
	s_nop 1
	v_cndmask_b32_e32 v53, v68, v54, vcc
	v_sub_f32_e32 v53, 1.0, v53
.LBB411_31:                             ;   in Loop: Header=BB411_9 Depth=1
	s_andn2_saveexec_b64 s[14:15], s[14:15]
; %bb.32:                               ;   in Loop: Header=BB411_9 Depth=1
	v_mul_f32_e32 v53, v45, v45
	v_fmamk_f32 v54, v53, 0xba1345e1, v66
	v_fmaak_f32 v54, v53, v54, 0xbcdac9b8
	v_fmaak_f32 v54, v53, v54, 0x3de703be
	;; [unrolled: 1-line block ×4, first 2 shown]
	v_fma_f32 v53, |v45|, v53, |v45|
; %bb.33:                               ;   in Loop: Header=BB411_9 Depth=1
	s_or_b64 exec, exec, s[14:15]
	s_waitcnt vmcnt(2)
	v_add_f32_e32 v33, v33, v37
	v_bfi_b32 v37, s38, v53, v45
	v_add_f32_e32 v32, v32, v36
	v_mul_f32_e32 v36, 0.5, v41
	v_add_f32_e32 v37, 1.0, v37
	v_bfi_b32 v44, s38, v52, v44
	v_mul_f32_e32 v41, v36, v37
	v_add_f32_e32 v36, v42, v46
	v_mul_f32_e32 v40, 0.5, v40
	v_add_f32_e32 v44, 1.0, v44
	v_mul_f32_e32 v37, 0x3f3504f3, v36
	v_mul_f32_e32 v40, v40, v44
	v_cmp_nlt_f32_e64 s[14:15], |v37|, 1.0
	;;#ASMSTART
	v_pk_mul_f32 v[32:33], v[40:41], v[32:33]
	;;#ASMEND
                                        ; implicit-def: $vgpr40
	s_and_saveexec_b64 s[40:41], s[14:15]
	s_xor_b64 s[14:15], exec, s[40:41]
	s_cbranch_execz .LBB411_35
; %bb.34:                               ;   in Loop: Header=BB411_9 Depth=1
	v_fma_f32 v40, |v37|, s28, v67
	v_fma_f32 v40, |v37|, v40, s29
	;; [unrolled: 1-line block ×6, first 2 shown]
	v_fma_f32 v40, |v37|, v40, |v37|
	v_mul_f32_e32 v41, 0xbfb8aa3b, v40
	v_fma_f32 v42, v40, s35, -v41
	v_rndne_f32_e32 v44, v41
	v_fmac_f32_e32 v42, 0xb2a5705f, v40
	v_sub_f32_e32 v41, v41, v44
	v_add_f32_e32 v41, v41, v42
	v_cvt_i32_f32_e32 v42, v44
	v_exp_f32_e32 v41, v41
	v_cmp_nlt_f32_e32 vcc, s36, v40
	v_ldexp_f32 v41, v41, v42
	s_nop 0
	v_cndmask_b32_e32 v41, 0, v41, vcc
	v_cmp_ngt_f32_e32 vcc, s37, v40
	s_nop 1
	v_cndmask_b32_e32 v40, v68, v41, vcc
	v_sub_f32_e32 v40, 1.0, v40
.LBB411_35:                             ;   in Loop: Header=BB411_9 Depth=1
	s_andn2_saveexec_b64 s[14:15], s[14:15]
; %bb.36:                               ;   in Loop: Header=BB411_9 Depth=1
	v_mul_f32_e32 v40, v37, v37
	v_fmamk_f32 v41, v40, 0xba1345e1, v66
	v_fmaak_f32 v41, v40, v41, 0xbcdac9b8
	v_fmaak_f32 v41, v40, v41, 0x3de703be
	;; [unrolled: 1-line block ×4, first 2 shown]
	v_fma_f32 v40, |v37|, v40, |v37|
; %bb.37:                               ;   in Loop: Header=BB411_9 Depth=1
	s_or_b64 exec, exec, s[14:15]
	v_add_f32_e32 v41, v43, v47
	v_mul_f32_e32 v42, 0x3f3504f3, v41
	v_cmp_nlt_f32_e64 s[14:15], |v42|, 1.0
                                        ; implicit-def: $vgpr43
	s_and_saveexec_b64 s[40:41], s[14:15]
	s_xor_b64 s[14:15], exec, s[40:41]
	s_cbranch_execz .LBB411_39
; %bb.38:                               ;   in Loop: Header=BB411_9 Depth=1
	v_fma_f32 v43, |v42|, s28, v67
	v_fma_f32 v43, |v42|, v43, s29
	;; [unrolled: 1-line block ×6, first 2 shown]
	v_fma_f32 v43, |v42|, v43, |v42|
	v_mul_f32_e32 v44, 0xbfb8aa3b, v43
	v_fma_f32 v45, v43, s35, -v44
	v_rndne_f32_e32 v46, v44
	v_fmac_f32_e32 v45, 0xb2a5705f, v43
	v_sub_f32_e32 v44, v44, v46
	v_add_f32_e32 v44, v44, v45
	v_cvt_i32_f32_e32 v45, v46
	v_exp_f32_e32 v44, v44
	v_cmp_nlt_f32_e32 vcc, s36, v43
	v_ldexp_f32 v44, v44, v45
	s_nop 0
	v_cndmask_b32_e32 v44, 0, v44, vcc
	v_cmp_ngt_f32_e32 vcc, s37, v43
	s_nop 1
	v_cndmask_b32_e32 v43, v68, v44, vcc
	v_sub_f32_e32 v43, 1.0, v43
.LBB411_39:                             ;   in Loop: Header=BB411_9 Depth=1
	s_andn2_saveexec_b64 s[14:15], s[14:15]
; %bb.40:                               ;   in Loop: Header=BB411_9 Depth=1
	v_mul_f32_e32 v43, v42, v42
	v_fmamk_f32 v44, v43, 0xba1345e1, v66
	v_fmaak_f32 v44, v43, v44, 0xbcdac9b8
	v_fmaak_f32 v44, v43, v44, 0x3de703be
	;; [unrolled: 1-line block ×4, first 2 shown]
	v_fma_f32 v43, |v42|, v43, |v42|
; %bb.41:                               ;   in Loop: Header=BB411_9 Depth=1
	s_or_b64 exec, exec, s[14:15]
	v_bfi_b32 v37, s38, v40, v37
	v_add_f32_e32 v24, v24, v28
	v_mul_f32_e32 v36, 0.5, v36
	v_add_f32_e32 v37, 1.0, v37
	v_add_f32_e32 v34, v34, v38
	v_bfi_b32 v38, s38, v43, v42
	v_mul_f32_e32 v28, 0x3f3504f3, v24
	v_mul_f32_e32 v36, v36, v37
	v_add_f32_e32 v35, v35, v39
	v_mul_f32_e32 v37, 0.5, v41
	v_add_f32_e32 v38, 1.0, v38
	v_cmp_nlt_f32_e64 s[14:15], |v28|, 1.0
	v_mul_f32_e32 v37, v37, v38
	;;#ASMSTART
	v_pk_mul_f32 v[34:35], v[36:37], v[34:35]
	;;#ASMEND
                                        ; implicit-def: $vgpr36
	s_and_saveexec_b64 s[40:41], s[14:15]
	s_xor_b64 s[14:15], exec, s[40:41]
	s_cbranch_execz .LBB411_43
; %bb.42:                               ;   in Loop: Header=BB411_9 Depth=1
	v_fma_f32 v36, |v28|, s28, v67
	v_fma_f32 v36, |v28|, v36, s29
	;; [unrolled: 1-line block ×6, first 2 shown]
	v_fma_f32 v36, |v28|, v36, |v28|
	v_mul_f32_e32 v37, 0xbfb8aa3b, v36
	v_fma_f32 v38, v36, s35, -v37
	v_rndne_f32_e32 v39, v37
	v_fmac_f32_e32 v38, 0xb2a5705f, v36
	v_sub_f32_e32 v37, v37, v39
	v_add_f32_e32 v37, v37, v38
	v_cvt_i32_f32_e32 v38, v39
	v_exp_f32_e32 v37, v37
	v_cmp_nlt_f32_e32 vcc, s36, v36
	v_ldexp_f32 v37, v37, v38
	s_nop 0
	v_cndmask_b32_e32 v37, 0, v37, vcc
	v_cmp_ngt_f32_e32 vcc, s37, v36
	s_nop 1
	v_cndmask_b32_e32 v36, v68, v37, vcc
	v_sub_f32_e32 v36, 1.0, v36
.LBB411_43:                             ;   in Loop: Header=BB411_9 Depth=1
	s_andn2_saveexec_b64 s[14:15], s[14:15]
; %bb.44:                               ;   in Loop: Header=BB411_9 Depth=1
	v_mul_f32_e32 v36, v28, v28
	v_fmamk_f32 v37, v36, 0xba1345e1, v66
	v_fmaak_f32 v37, v36, v37, 0xbcdac9b8
	v_fmaak_f32 v37, v36, v37, 0x3de703be
	;; [unrolled: 1-line block ×4, first 2 shown]
	v_fma_f32 v36, |v28|, v36, |v28|
; %bb.45:                               ;   in Loop: Header=BB411_9 Depth=1
	s_or_b64 exec, exec, s[14:15]
	v_add_f32_e32 v25, v25, v29
	v_mul_f32_e32 v29, 0x3f3504f3, v25
	v_cmp_nlt_f32_e64 s[14:15], |v29|, 1.0
                                        ; implicit-def: $vgpr37
	s_and_saveexec_b64 s[40:41], s[14:15]
	s_xor_b64 s[14:15], exec, s[40:41]
	s_cbranch_execz .LBB411_47
; %bb.46:                               ;   in Loop: Header=BB411_9 Depth=1
	v_fma_f32 v37, |v29|, s28, v67
	v_fma_f32 v37, |v29|, v37, s29
	;; [unrolled: 1-line block ×6, first 2 shown]
	v_fma_f32 v37, |v29|, v37, |v29|
	v_mul_f32_e32 v38, 0xbfb8aa3b, v37
	v_fma_f32 v39, v37, s35, -v38
	v_rndne_f32_e32 v40, v38
	v_fmac_f32_e32 v39, 0xb2a5705f, v37
	v_sub_f32_e32 v38, v38, v40
	v_add_f32_e32 v38, v38, v39
	v_cvt_i32_f32_e32 v39, v40
	v_exp_f32_e32 v38, v38
	v_cmp_nlt_f32_e32 vcc, s36, v37
	v_ldexp_f32 v38, v38, v39
	s_nop 0
	v_cndmask_b32_e32 v38, 0, v38, vcc
	v_cmp_ngt_f32_e32 vcc, s37, v37
	s_nop 1
	v_cndmask_b32_e32 v37, v68, v38, vcc
	v_sub_f32_e32 v37, 1.0, v37
.LBB411_47:                             ;   in Loop: Header=BB411_9 Depth=1
	s_andn2_saveexec_b64 s[14:15], s[14:15]
; %bb.48:                               ;   in Loop: Header=BB411_9 Depth=1
	v_mul_f32_e32 v37, v29, v29
	v_fmamk_f32 v38, v37, 0xba1345e1, v66
	v_fmaak_f32 v38, v37, v38, 0xbcdac9b8
	v_fmaak_f32 v38, v37, v38, 0x3de703be
	;; [unrolled: 1-line block ×4, first 2 shown]
	v_fma_f32 v37, |v29|, v37, |v29|
; %bb.49:                               ;   in Loop: Header=BB411_9 Depth=1
	s_or_b64 exec, exec, s[14:15]
	s_waitcnt vmcnt(1)
	v_add_f32_e32 v17, v17, v21
	v_bfi_b32 v21, s38, v37, v29
	v_add_f32_e32 v16, v16, v20
	v_mul_f32_e32 v20, 0.5, v25
	v_add_f32_e32 v21, 1.0, v21
	v_bfi_b32 v28, s38, v36, v28
	v_mul_f32_e32 v25, v20, v21
	v_add_f32_e32 v20, v26, v30
	v_mul_f32_e32 v24, 0.5, v24
	v_add_f32_e32 v28, 1.0, v28
	v_mul_f32_e32 v21, 0x3f3504f3, v20
	v_mul_f32_e32 v24, v24, v28
	v_cmp_nlt_f32_e64 s[14:15], |v21|, 1.0
	;;#ASMSTART
	v_pk_mul_f32 v[16:17], v[24:25], v[16:17]
	;;#ASMEND
                                        ; implicit-def: $vgpr24
	s_and_saveexec_b64 s[40:41], s[14:15]
	s_xor_b64 s[14:15], exec, s[40:41]
	s_cbranch_execz .LBB411_51
; %bb.50:                               ;   in Loop: Header=BB411_9 Depth=1
	v_fma_f32 v24, |v21|, s28, v67
	v_fma_f32 v24, |v21|, v24, s29
	;; [unrolled: 1-line block ×6, first 2 shown]
	v_fma_f32 v24, |v21|, v24, |v21|
	v_mul_f32_e32 v25, 0xbfb8aa3b, v24
	v_fma_f32 v26, v24, s35, -v25
	v_rndne_f32_e32 v28, v25
	v_fmac_f32_e32 v26, 0xb2a5705f, v24
	v_sub_f32_e32 v25, v25, v28
	v_add_f32_e32 v25, v25, v26
	v_cvt_i32_f32_e32 v26, v28
	v_exp_f32_e32 v25, v25
	v_cmp_nlt_f32_e32 vcc, s36, v24
	v_ldexp_f32 v25, v25, v26
	s_nop 0
	v_cndmask_b32_e32 v25, 0, v25, vcc
	v_cmp_ngt_f32_e32 vcc, s37, v24
	s_nop 1
	v_cndmask_b32_e32 v24, v68, v25, vcc
	v_sub_f32_e32 v24, 1.0, v24
.LBB411_51:                             ;   in Loop: Header=BB411_9 Depth=1
	s_andn2_saveexec_b64 s[14:15], s[14:15]
; %bb.52:                               ;   in Loop: Header=BB411_9 Depth=1
	v_mul_f32_e32 v24, v21, v21
	v_fmamk_f32 v25, v24, 0xba1345e1, v66
	v_fmaak_f32 v25, v24, v25, 0xbcdac9b8
	v_fmaak_f32 v25, v24, v25, 0x3de703be
	;; [unrolled: 1-line block ×4, first 2 shown]
	v_fma_f32 v24, |v21|, v24, |v21|
; %bb.53:                               ;   in Loop: Header=BB411_9 Depth=1
	s_or_b64 exec, exec, s[14:15]
	v_add_f32_e32 v25, v27, v31
	v_mul_f32_e32 v26, 0x3f3504f3, v25
	v_cmp_nlt_f32_e64 s[14:15], |v26|, 1.0
                                        ; implicit-def: $vgpr27
	s_and_saveexec_b64 s[40:41], s[14:15]
	s_xor_b64 s[14:15], exec, s[40:41]
	s_cbranch_execz .LBB411_55
; %bb.54:                               ;   in Loop: Header=BB411_9 Depth=1
	v_fma_f32 v27, |v26|, s28, v67
	v_fma_f32 v27, |v26|, v27, s29
	;; [unrolled: 1-line block ×6, first 2 shown]
	v_fma_f32 v27, |v26|, v27, |v26|
	v_mul_f32_e32 v28, 0xbfb8aa3b, v27
	v_fma_f32 v29, v27, s35, -v28
	v_rndne_f32_e32 v30, v28
	v_fmac_f32_e32 v29, 0xb2a5705f, v27
	v_sub_f32_e32 v28, v28, v30
	v_add_f32_e32 v28, v28, v29
	v_cvt_i32_f32_e32 v29, v30
	v_exp_f32_e32 v28, v28
	v_cmp_nlt_f32_e32 vcc, s36, v27
	v_ldexp_f32 v28, v28, v29
	s_nop 0
	v_cndmask_b32_e32 v28, 0, v28, vcc
	v_cmp_ngt_f32_e32 vcc, s37, v27
	s_nop 1
	v_cndmask_b32_e32 v27, v68, v28, vcc
	v_sub_f32_e32 v27, 1.0, v27
.LBB411_55:                             ;   in Loop: Header=BB411_9 Depth=1
	s_andn2_saveexec_b64 s[14:15], s[14:15]
; %bb.56:                               ;   in Loop: Header=BB411_9 Depth=1
	v_mul_f32_e32 v27, v26, v26
	v_fmamk_f32 v28, v27, 0xba1345e1, v66
	v_fmaak_f32 v28, v27, v28, 0xbcdac9b8
	v_fmaak_f32 v28, v27, v28, 0x3de703be
	;; [unrolled: 1-line block ×4, first 2 shown]
	v_fma_f32 v27, |v26|, v27, |v26|
; %bb.57:                               ;   in Loop: Header=BB411_9 Depth=1
	s_or_b64 exec, exec, s[14:15]
	v_bfi_b32 v21, s38, v24, v21
	v_add_f32_e32 v8, v8, v12
	v_mul_f32_e32 v20, 0.5, v20
	v_add_f32_e32 v21, 1.0, v21
	v_add_f32_e32 v18, v18, v22
	v_bfi_b32 v22, s38, v27, v26
	v_mul_f32_e32 v12, 0x3f3504f3, v8
	v_mul_f32_e32 v20, v20, v21
	v_add_f32_e32 v19, v19, v23
	v_mul_f32_e32 v21, 0.5, v25
	v_add_f32_e32 v22, 1.0, v22
	v_cmp_nlt_f32_e64 s[14:15], |v12|, 1.0
	v_mul_f32_e32 v21, v21, v22
	;;#ASMSTART
	v_pk_mul_f32 v[18:19], v[20:21], v[18:19]
	;;#ASMEND
                                        ; implicit-def: $vgpr20
	s_and_saveexec_b64 s[40:41], s[14:15]
	s_xor_b64 s[14:15], exec, s[40:41]
	s_cbranch_execz .LBB411_59
; %bb.58:                               ;   in Loop: Header=BB411_9 Depth=1
	v_fma_f32 v20, |v12|, s28, v67
	v_fma_f32 v20, |v12|, v20, s29
	;; [unrolled: 1-line block ×6, first 2 shown]
	v_fma_f32 v20, |v12|, v20, |v12|
	v_mul_f32_e32 v21, 0xbfb8aa3b, v20
	v_fma_f32 v22, v20, s35, -v21
	v_rndne_f32_e32 v23, v21
	v_fmac_f32_e32 v22, 0xb2a5705f, v20
	v_sub_f32_e32 v21, v21, v23
	v_add_f32_e32 v21, v21, v22
	v_cvt_i32_f32_e32 v22, v23
	v_exp_f32_e32 v21, v21
	v_cmp_nlt_f32_e32 vcc, s36, v20
	v_ldexp_f32 v21, v21, v22
	s_nop 0
	v_cndmask_b32_e32 v21, 0, v21, vcc
	v_cmp_ngt_f32_e32 vcc, s37, v20
	s_nop 1
	v_cndmask_b32_e32 v20, v68, v21, vcc
	v_sub_f32_e32 v20, 1.0, v20
.LBB411_59:                             ;   in Loop: Header=BB411_9 Depth=1
	s_andn2_saveexec_b64 s[14:15], s[14:15]
; %bb.60:                               ;   in Loop: Header=BB411_9 Depth=1
	v_mul_f32_e32 v20, v12, v12
	v_fmamk_f32 v21, v20, 0xba1345e1, v66
	v_fmaak_f32 v21, v20, v21, 0xbcdac9b8
	v_fmaak_f32 v21, v20, v21, 0x3de703be
	;; [unrolled: 1-line block ×4, first 2 shown]
	v_fma_f32 v20, |v12|, v20, |v12|
; %bb.61:                               ;   in Loop: Header=BB411_9 Depth=1
	s_or_b64 exec, exec, s[14:15]
	v_add_f32_e32 v9, v9, v13
	v_mul_f32_e32 v13, 0x3f3504f3, v9
	v_cmp_nlt_f32_e64 s[14:15], |v13|, 1.0
                                        ; implicit-def: $vgpr21
	s_and_saveexec_b64 s[40:41], s[14:15]
	s_xor_b64 s[14:15], exec, s[40:41]
	s_cbranch_execz .LBB411_63
; %bb.62:                               ;   in Loop: Header=BB411_9 Depth=1
	v_fma_f32 v21, |v13|, s28, v67
	v_fma_f32 v21, |v13|, v21, s29
	;; [unrolled: 1-line block ×6, first 2 shown]
	v_fma_f32 v21, |v13|, v21, |v13|
	v_mul_f32_e32 v22, 0xbfb8aa3b, v21
	v_fma_f32 v23, v21, s35, -v22
	v_rndne_f32_e32 v24, v22
	v_fmac_f32_e32 v23, 0xb2a5705f, v21
	v_sub_f32_e32 v22, v22, v24
	v_add_f32_e32 v22, v22, v23
	v_cvt_i32_f32_e32 v23, v24
	v_exp_f32_e32 v22, v22
	v_cmp_nlt_f32_e32 vcc, s36, v21
	v_ldexp_f32 v22, v22, v23
	s_nop 0
	v_cndmask_b32_e32 v22, 0, v22, vcc
	v_cmp_ngt_f32_e32 vcc, s37, v21
	s_nop 1
	v_cndmask_b32_e32 v21, v68, v22, vcc
	v_sub_f32_e32 v21, 1.0, v21
.LBB411_63:                             ;   in Loop: Header=BB411_9 Depth=1
	s_andn2_saveexec_b64 s[14:15], s[14:15]
; %bb.64:                               ;   in Loop: Header=BB411_9 Depth=1
	v_mul_f32_e32 v21, v13, v13
	v_fmamk_f32 v22, v21, 0xba1345e1, v66
	v_fmaak_f32 v22, v21, v22, 0xbcdac9b8
	v_fmaak_f32 v22, v21, v22, 0x3de703be
	;; [unrolled: 1-line block ×4, first 2 shown]
	v_fma_f32 v21, |v13|, v21, |v13|
; %bb.65:                               ;   in Loop: Header=BB411_9 Depth=1
	s_or_b64 exec, exec, s[14:15]
	s_waitcnt vmcnt(0)
	v_add_f32_e32 v1, v1, v5
	v_bfi_b32 v5, s38, v21, v13
	v_add_f32_e32 v0, v0, v4
	v_mul_f32_e32 v4, 0.5, v9
	v_add_f32_e32 v5, 1.0, v5
	v_bfi_b32 v12, s38, v20, v12
	v_mul_f32_e32 v9, v4, v5
	v_add_f32_e32 v4, v10, v14
	v_mul_f32_e32 v8, 0.5, v8
	v_add_f32_e32 v12, 1.0, v12
	v_mul_f32_e32 v5, 0x3f3504f3, v4
	v_mul_f32_e32 v8, v8, v12
	v_cmp_nlt_f32_e64 s[14:15], |v5|, 1.0
	;;#ASMSTART
	v_pk_mul_f32 v[0:1], v[8:9], v[0:1]
	;;#ASMEND
                                        ; implicit-def: $vgpr8
	s_and_saveexec_b64 s[40:41], s[14:15]
	s_xor_b64 s[14:15], exec, s[40:41]
	s_cbranch_execz .LBB411_67
; %bb.66:                               ;   in Loop: Header=BB411_9 Depth=1
	v_fma_f32 v8, |v5|, s28, v67
	v_fma_f32 v8, |v5|, v8, s29
	v_fma_f32 v8, |v5|, v8, s30
	v_fma_f32 v8, |v5|, v8, s31
	v_fma_f32 v8, |v5|, v8, s33
	v_fma_f32 v8, |v5|, v8, s34
	v_fma_f32 v8, |v5|, v8, |v5|
	v_mul_f32_e32 v9, 0xbfb8aa3b, v8
	v_fma_f32 v10, v8, s35, -v9
	v_rndne_f32_e32 v12, v9
	v_fmac_f32_e32 v10, 0xb2a5705f, v8
	v_sub_f32_e32 v9, v9, v12
	v_add_f32_e32 v9, v9, v10
	v_cvt_i32_f32_e32 v10, v12
	v_exp_f32_e32 v9, v9
	v_cmp_nlt_f32_e32 vcc, s36, v8
	v_ldexp_f32 v9, v9, v10
	s_nop 0
	v_cndmask_b32_e32 v9, 0, v9, vcc
	v_cmp_ngt_f32_e32 vcc, s37, v8
	s_nop 1
	v_cndmask_b32_e32 v8, v68, v9, vcc
	v_sub_f32_e32 v8, 1.0, v8
.LBB411_67:                             ;   in Loop: Header=BB411_9 Depth=1
	s_andn2_saveexec_b64 s[14:15], s[14:15]
; %bb.68:                               ;   in Loop: Header=BB411_9 Depth=1
	v_mul_f32_e32 v8, v5, v5
	v_fmamk_f32 v9, v8, 0xba1345e1, v66
	v_fmaak_f32 v9, v8, v9, 0xbcdac9b8
	v_fmaak_f32 v9, v8, v9, 0x3de703be
	;; [unrolled: 1-line block ×4, first 2 shown]
	v_fma_f32 v8, |v5|, v8, |v5|
; %bb.69:                               ;   in Loop: Header=BB411_9 Depth=1
	s_or_b64 exec, exec, s[14:15]
	v_add_f32_e32 v9, v11, v15
	v_mul_f32_e32 v10, 0x3f3504f3, v9
	v_cmp_nlt_f32_e64 s[14:15], |v10|, 1.0
                                        ; implicit-def: $vgpr11
	s_and_saveexec_b64 s[40:41], s[14:15]
	s_xor_b64 s[14:15], exec, s[40:41]
	s_cbranch_execz .LBB411_71
; %bb.70:                               ;   in Loop: Header=BB411_9 Depth=1
	v_fma_f32 v11, |v10|, s28, v67
	v_fma_f32 v11, |v10|, v11, s29
	;; [unrolled: 1-line block ×6, first 2 shown]
	v_fma_f32 v11, |v10|, v11, |v10|
	v_mul_f32_e32 v12, 0xbfb8aa3b, v11
	v_fma_f32 v13, v11, s35, -v12
	v_rndne_f32_e32 v14, v12
	v_fmac_f32_e32 v13, 0xb2a5705f, v11
	v_sub_f32_e32 v12, v12, v14
	v_add_f32_e32 v12, v12, v13
	v_cvt_i32_f32_e32 v13, v14
	v_exp_f32_e32 v12, v12
	v_cmp_nlt_f32_e32 vcc, s36, v11
	v_ldexp_f32 v12, v12, v13
	s_nop 0
	v_cndmask_b32_e32 v12, 0, v12, vcc
	v_cmp_ngt_f32_e32 vcc, s37, v11
	s_nop 1
	v_cndmask_b32_e32 v11, v68, v12, vcc
	v_sub_f32_e32 v11, 1.0, v11
.LBB411_71:                             ;   in Loop: Header=BB411_9 Depth=1
	s_andn2_saveexec_b64 s[14:15], s[14:15]
	s_cbranch_execz .LBB411_8
; %bb.72:                               ;   in Loop: Header=BB411_9 Depth=1
	v_mul_f32_e32 v11, v10, v10
	v_fmamk_f32 v12, v11, 0xba1345e1, v66
	v_fmaak_f32 v12, v11, v12, 0xbcdac9b8
	v_fmaak_f32 v12, v11, v12, 0x3de703be
	;; [unrolled: 1-line block ×4, first 2 shown]
	v_fma_f32 v11, |v10|, v11, |v10|
	s_branch .LBB411_8
.LBB411_73:
	s_endpgm
	.section	.rodata,"a",@progbits
	.p2align	6, 0x0
	.amdhsa_kernel _ZN5aiter23act_and_mul_bias_kernelIfDF16_sfTnPFfRKT2_EXadL_ZNS_11gelu_kernelIfEEfRKT_EELi16EEEvPT0_PS8_PKT1_PS2_il
		.amdhsa_group_segment_fixed_size 0
		.amdhsa_private_segment_fixed_size 0
		.amdhsa_kernarg_size 304
		.amdhsa_user_sgpr_count 2
		.amdhsa_user_sgpr_dispatch_ptr 0
		.amdhsa_user_sgpr_queue_ptr 0
		.amdhsa_user_sgpr_kernarg_segment_ptr 1
		.amdhsa_user_sgpr_dispatch_id 0
		.amdhsa_user_sgpr_kernarg_preload_length 0
		.amdhsa_user_sgpr_kernarg_preload_offset 0
		.amdhsa_user_sgpr_private_segment_size 0
		.amdhsa_uses_dynamic_stack 0
		.amdhsa_enable_private_segment 0
		.amdhsa_system_sgpr_workgroup_id_x 1
		.amdhsa_system_sgpr_workgroup_id_y 0
		.amdhsa_system_sgpr_workgroup_id_z 0
		.amdhsa_system_sgpr_workgroup_info 0
		.amdhsa_system_vgpr_workitem_id 0
		.amdhsa_next_free_vgpr 74
		.amdhsa_next_free_sgpr 42
		.amdhsa_accum_offset 76
		.amdhsa_reserve_vcc 1
		.amdhsa_float_round_mode_32 0
		.amdhsa_float_round_mode_16_64 0
		.amdhsa_float_denorm_mode_32 3
		.amdhsa_float_denorm_mode_16_64 3
		.amdhsa_dx10_clamp 1
		.amdhsa_ieee_mode 1
		.amdhsa_fp16_overflow 0
		.amdhsa_tg_split 0
		.amdhsa_exception_fp_ieee_invalid_op 0
		.amdhsa_exception_fp_denorm_src 0
		.amdhsa_exception_fp_ieee_div_zero 0
		.amdhsa_exception_fp_ieee_overflow 0
		.amdhsa_exception_fp_ieee_underflow 0
		.amdhsa_exception_fp_ieee_inexact 0
		.amdhsa_exception_int_div_zero 0
	.end_amdhsa_kernel
	.section	.text._ZN5aiter23act_and_mul_bias_kernelIfDF16_sfTnPFfRKT2_EXadL_ZNS_11gelu_kernelIfEEfRKT_EELi16EEEvPT0_PS8_PKT1_PS2_il,"axG",@progbits,_ZN5aiter23act_and_mul_bias_kernelIfDF16_sfTnPFfRKT2_EXadL_ZNS_11gelu_kernelIfEEfRKT_EELi16EEEvPT0_PS8_PKT1_PS2_il,comdat
.Lfunc_end411:
	.size	_ZN5aiter23act_and_mul_bias_kernelIfDF16_sfTnPFfRKT2_EXadL_ZNS_11gelu_kernelIfEEfRKT_EELi16EEEvPT0_PS8_PKT1_PS2_il, .Lfunc_end411-_ZN5aiter23act_and_mul_bias_kernelIfDF16_sfTnPFfRKT2_EXadL_ZNS_11gelu_kernelIfEEfRKT_EELi16EEEvPT0_PS8_PKT1_PS2_il
                                        ; -- End function
	.section	.AMDGPU.csdata,"",@progbits
; Kernel info:
; codeLenInByte = 5092
; NumSgprs: 48
; NumVgprs: 74
; NumAgprs: 0
; TotalNumVgprs: 74
; ScratchSize: 0
; MemoryBound: 0
; FloatMode: 240
; IeeeMode: 1
; LDSByteSize: 0 bytes/workgroup (compile time only)
; SGPRBlocks: 5
; VGPRBlocks: 9
; NumSGPRsForWavesPerEU: 48
; NumVGPRsForWavesPerEU: 74
; AccumOffset: 76
; Occupancy: 6
; WaveLimiterHint : 0
; COMPUTE_PGM_RSRC2:SCRATCH_EN: 0
; COMPUTE_PGM_RSRC2:USER_SGPR: 2
; COMPUTE_PGM_RSRC2:TRAP_HANDLER: 0
; COMPUTE_PGM_RSRC2:TGID_X_EN: 1
; COMPUTE_PGM_RSRC2:TGID_Y_EN: 0
; COMPUTE_PGM_RSRC2:TGID_Z_EN: 0
; COMPUTE_PGM_RSRC2:TIDIG_COMP_CNT: 0
; COMPUTE_PGM_RSRC3_GFX90A:ACCUM_OFFSET: 18
; COMPUTE_PGM_RSRC3_GFX90A:TG_SPLIT: 0
	.section	.text._ZN5aiter23act_and_mul_bias_kernelIfDF16_sfTnPFfRKT2_EXadL_ZNS_11gelu_kernelIfEEfRKT_EELi8EEEvPT0_PS8_PKT1_PS2_il,"axG",@progbits,_ZN5aiter23act_and_mul_bias_kernelIfDF16_sfTnPFfRKT2_EXadL_ZNS_11gelu_kernelIfEEfRKT_EELi8EEEvPT0_PS8_PKT1_PS2_il,comdat
	.protected	_ZN5aiter23act_and_mul_bias_kernelIfDF16_sfTnPFfRKT2_EXadL_ZNS_11gelu_kernelIfEEfRKT_EELi8EEEvPT0_PS8_PKT1_PS2_il ; -- Begin function _ZN5aiter23act_and_mul_bias_kernelIfDF16_sfTnPFfRKT2_EXadL_ZNS_11gelu_kernelIfEEfRKT_EELi8EEEvPT0_PS8_PKT1_PS2_il
	.globl	_ZN5aiter23act_and_mul_bias_kernelIfDF16_sfTnPFfRKT2_EXadL_ZNS_11gelu_kernelIfEEfRKT_EELi8EEEvPT0_PS8_PKT1_PS2_il
	.p2align	8
	.type	_ZN5aiter23act_and_mul_bias_kernelIfDF16_sfTnPFfRKT2_EXadL_ZNS_11gelu_kernelIfEEfRKT_EELi8EEEvPT0_PS8_PKT1_PS2_il,@function
_ZN5aiter23act_and_mul_bias_kernelIfDF16_sfTnPFfRKT2_EXadL_ZNS_11gelu_kernelIfEEfRKT_EELi8EEEvPT0_PS8_PKT1_PS2_il: ; @_ZN5aiter23act_and_mul_bias_kernelIfDF16_sfTnPFfRKT2_EXadL_ZNS_11gelu_kernelIfEEfRKT_EELi8EEEvPT0_PS8_PKT1_PS2_il
; %bb.0:
	s_load_dwordx2 s[4:5], s[0:1], 0x10
	s_load_dword s24, s[0:1], 0x20
	s_load_dwordx2 s[6:7], s[0:1], 0x28
	s_mov_b32 s3, 0
	s_lshl_b64 s[8:9], s[2:3], 1
	s_waitcnt lgkmcnt(0)
	s_add_u32 s4, s4, s8
	s_addc_u32 s5, s5, s9
	v_mov_b32_e32 v1, 0
	global_load_ushort v1, v1, s[4:5]
	s_load_dwordx2 s[4:5], s[0:1], 0x0
	s_ashr_i32 s25, s24, 31
	s_mul_hi_u32 s3, s24, s2
	v_mov_b64_e32 v[2:3], s[6:7]
	s_mul_i32 s6, s25, s2
	s_mul_i32 s8, s24, s2
	s_add_i32 s9, s3, s6
	s_lshl_b64 s[6:7], s[8:9], 1
	s_mov_b64 s[10:11], -1
	v_lshlrev_b32_e32 v32, 3, v0
	s_waitcnt vmcnt(0)
	v_readfirstlane_b32 s3, v1
	s_sext_i32_i16 s8, s3
	s_ashr_i32 s9, s8, 31
	s_waitcnt lgkmcnt(0)
	s_add_u32 s4, s4, s6
	s_addc_u32 s3, s5, s7
	s_add_i32 s6, s24, 1
	s_lshr_b32 s7, s6, 31
	s_add_i32 s6, s6, s7
	s_and_b32 s5, s3, 0xffff
	s_lshl_b32 s3, s6, 1
	s_and_b32 s6, s3, -4
	s_cmp_gt_i32 s8, -1
	v_cmp_lt_i64_e32 vcc, s[8:9], v[2:3]
	s_cselect_b64 s[12:13], -1, 0
	s_and_b64 s[12:13], s[12:13], vcc
	s_and_b64 vcc, exec, s[12:13]
	s_cbranch_vccnz .LBB412_5
; %bb.1:
	v_cmp_gt_i32_e32 vcc, s24, v32
	s_and_saveexec_b64 s[10:11], vcc
	s_cbranch_execz .LBB412_4
; %bb.2:
	s_load_dword s3, s[0:1], 0x3c
	v_mov_b32_e32 v33, 0
	s_mov_b32 s13, 0
	v_lshlrev_b32_e32 v6, 4, v0
	s_mov_b64 s[14:15], 0
	s_waitcnt lgkmcnt(0)
	s_and_b32 s3, s3, 0xffff
	s_lshl_b32 s12, s3, 3
	s_lshl_b32 s3, s3, 4
	s_mov_b32 s7, 0x20000
	v_mov_b32_e32 v0, v33
	v_mov_b32_e32 v1, v33
	;; [unrolled: 1-line block ×4, first 2 shown]
	v_mov_b64_e32 v[4:5], v[32:33]
.LBB412_3:                              ; =>This Inner Loop Header: Depth=1
	v_lshl_add_u64 v[4:5], s[12:13], 0, v[4:5]
	v_cmp_le_i64_e32 vcc, s[24:25], v[4:5]
	buffer_store_dwordx4 v[0:3], v6, s[4:7], 0 offen
	s_or_b64 s[14:15], vcc, s[14:15]
	v_add_u32_e32 v6, s3, v6
	s_andn2_b64 exec, exec, s[14:15]
	s_cbranch_execnz .LBB412_3
.LBB412_4:
	s_or_b64 exec, exec, s[10:11]
	s_mov_b64 s[10:11], 0
.LBB412_5:
	s_andn2_b64 vcc, exec, s[10:11]
	s_cbranch_vccnz .LBB412_41
; %bb.6:
	v_cmp_gt_i32_e32 vcc, s24, v32
	s_and_saveexec_b64 s[10:11], vcc
	s_cbranch_execz .LBB412_41
; %bb.7:
	s_load_dwordx2 s[14:15], s[0:1], 0x8
	s_load_dwordx2 s[12:13], s[0:1], 0x18
	s_mul_hi_i32 s9, s24, s8
	s_mul_i32 s8, s24, s8
	s_lshl_b32 s10, s24, 2
	s_lshl_b64 s[8:9], s[8:9], 3
	s_waitcnt lgkmcnt(0)
	s_add_u32 s8, s12, s8
	s_addc_u32 s3, s13, s9
	s_lshl_b64 s[18:19], s[24:25], 2
	s_add_u32 s12, s8, s18
	s_addc_u32 s13, s3, s19
	s_and_b32 s9, s3, 0xffff
	s_mul_i32 s3, s2, s25
	s_mul_hi_u32 s16, s2, s24
	s_add_i32 s3, s16, s3
	s_mul_i32 s2, s2, s24
	s_and_b32 s13, s13, 0xffff
	s_lshl_b64 s[2:3], s[2:3], 3
	s_add_u32 s16, s14, s2
	s_addc_u32 s2, s15, s3
	s_add_u32 s20, s16, s18
	s_addc_u32 s3, s2, s19
	s_and_b32 s17, s2, 0xffff
	s_and_b32 s21, s3, 0xffff
	s_mov_b32 s7, 0x20000
	s_add_u32 s0, s0, 48
	s_mov_b32 s11, s7
	v_mov_b32_e32 v33, 0
	s_addc_u32 s1, s1, 0
	s_mov_b64 s[2:3], 0
	s_mov_b32 s18, s10
	s_mov_b32 s19, s7
	;; [unrolled: 1-line block ×12, first 2 shown]
	v_mov_b32_e32 v34, 0x3ba10414
	s_brev_b32 s38, -2
	s_mov_b32 s22, s10
	s_mov_b32 s23, s7
	v_mov_b32_e32 v35, 0xb9c68948
	v_mov_b32_e32 v36, 0x7f800000
                                        ; implicit-def: $vgpr0
                                        ; implicit-def: $vgpr0
	;; [unrolled: 1-line block ×4, first 2 shown]
	s_branch .LBB412_9
.LBB412_8:                              ;   in Loop: Header=BB412_9 Depth=1
	s_or_b64 exec, exec, s[14:15]
	v_bfi_b32 v5, s38, v8, v5
	v_mul_f32_e32 v4, 0.5, v4
	v_add_f32_e32 v5, 1.0, v5
	v_add_f32_e32 v2, v2, v6
	v_bfi_b32 v6, s38, v11, v10
	v_mul_f32_e32 v4, v4, v5
	v_add_f32_e32 v3, v3, v7
	v_mul_f32_e32 v5, 0.5, v9
	v_add_f32_e32 v6, 1.0, v6
	v_mul_f32_e32 v5, v5, v6
	;;#ASMSTART
	v_pk_mul_f32 v[2:3], v[4:5], v[2:3]
	;;#ASMEND
	s_load_dword s14, s[0:1], 0xc
	v_cvt_f16_f32_e32 v12, v18
	v_cvt_f16_f32_e32 v2, v2
	;; [unrolled: 1-line block ×8, first 2 shown]
	s_waitcnt lgkmcnt(0)
	s_and_b32 s14, s14, 0xffff
	s_lshl_b32 s26, s14, 3
	v_pack_b32_f16 v3, v2, v3
	v_pack_b32_f16 v2, v0, v1
	;; [unrolled: 1-line block ×3, first 2 shown]
	v_lshlrev_b32_e32 v4, 1, v32
	v_lshl_add_u64 v[32:33], s[26:27], 0, v[32:33]
	v_cmp_le_i64_e32 vcc, s[24:25], v[32:33]
	v_pack_b32_f16 v0, v7, v8
	s_or_b64 s[2:3], vcc, s[2:3]
	buffer_store_dwordx4 v[0:3], v4, s[4:7], 0 offen
	s_andn2_b64 exec, exec, s[2:3]
	s_cbranch_execz .LBB412_41
.LBB412_9:                              ; =>This Inner Loop Header: Depth=1
	v_lshlrev_b32_e32 v37, 2, v32
	buffer_load_dwordx4 v[24:27], v37, s[16:19], 0 offen
	buffer_load_dwordx4 v[8:11], v37, s[16:19], 16 offen
	;; [unrolled: 1-line block ×6, first 2 shown]
	s_mov_b32 s14, s10
	s_mov_b32 s15, s11
	buffer_load_dwordx4 v[20:23], v37, s[12:15], 0 offen
	buffer_load_dwordx4 v[4:7], v37, s[12:15], 16 offen
                                        ; implicit-def: $vgpr37
	s_waitcnt vmcnt(3)
	v_add_f32_e32 v24, v24, v28
	v_mul_f32_e32 v28, 0x3f3504f3, v24
	v_cmp_nlt_f32_e64 s[14:15], |v28|, 1.0
	s_and_saveexec_b64 s[40:41], s[14:15]
	s_xor_b64 s[14:15], exec, s[40:41]
	s_cbranch_execz .LBB412_11
; %bb.10:                               ;   in Loop: Header=BB412_9 Depth=1
	v_fma_f32 v37, |v28|, s28, v35
	v_fma_f32 v37, |v28|, v37, s29
	;; [unrolled: 1-line block ×6, first 2 shown]
	v_fma_f32 v37, |v28|, v37, |v28|
	v_mul_f32_e32 v38, 0xbfb8aa3b, v37
	v_fma_f32 v39, v37, s35, -v38
	v_rndne_f32_e32 v40, v38
	v_fmac_f32_e32 v39, 0xb2a5705f, v37
	v_sub_f32_e32 v38, v38, v40
	v_add_f32_e32 v38, v38, v39
	v_cvt_i32_f32_e32 v39, v40
	v_exp_f32_e32 v38, v38
	v_cmp_nlt_f32_e32 vcc, s36, v37
	v_ldexp_f32 v38, v38, v39
	s_nop 0
	v_cndmask_b32_e32 v38, 0, v38, vcc
	v_cmp_ngt_f32_e32 vcc, s37, v37
	s_nop 1
	v_cndmask_b32_e32 v37, v36, v38, vcc
	v_sub_f32_e32 v37, 1.0, v37
.LBB412_11:                             ;   in Loop: Header=BB412_9 Depth=1
	s_andn2_saveexec_b64 s[14:15], s[14:15]
; %bb.12:                               ;   in Loop: Header=BB412_9 Depth=1
	v_mul_f32_e32 v37, v28, v28
	v_fmamk_f32 v38, v37, 0xba1345e1, v34
	v_fmaak_f32 v38, v37, v38, 0xbcdac9b8
	v_fmaak_f32 v38, v37, v38, 0x3de703be
	;; [unrolled: 1-line block ×4, first 2 shown]
	v_fma_f32 v37, |v28|, v37, |v28|
; %bb.13:                               ;   in Loop: Header=BB412_9 Depth=1
	s_or_b64 exec, exec, s[14:15]
	v_add_f32_e32 v25, v25, v29
	v_mul_f32_e32 v29, 0x3f3504f3, v25
	v_cmp_nlt_f32_e64 s[14:15], |v29|, 1.0
                                        ; implicit-def: $vgpr38
	s_and_saveexec_b64 s[40:41], s[14:15]
	s_xor_b64 s[14:15], exec, s[40:41]
	s_cbranch_execz .LBB412_15
; %bb.14:                               ;   in Loop: Header=BB412_9 Depth=1
	v_fma_f32 v38, |v29|, s28, v35
	v_fma_f32 v38, |v29|, v38, s29
	;; [unrolled: 1-line block ×6, first 2 shown]
	v_fma_f32 v38, |v29|, v38, |v29|
	v_mul_f32_e32 v39, 0xbfb8aa3b, v38
	v_fma_f32 v40, v38, s35, -v39
	v_rndne_f32_e32 v41, v39
	v_fmac_f32_e32 v40, 0xb2a5705f, v38
	v_sub_f32_e32 v39, v39, v41
	v_add_f32_e32 v39, v39, v40
	v_cvt_i32_f32_e32 v40, v41
	v_exp_f32_e32 v39, v39
	v_cmp_nlt_f32_e32 vcc, s36, v38
	v_ldexp_f32 v39, v39, v40
	s_nop 0
	v_cndmask_b32_e32 v39, 0, v39, vcc
	v_cmp_ngt_f32_e32 vcc, s37, v38
	s_nop 1
	v_cndmask_b32_e32 v38, v36, v39, vcc
	v_sub_f32_e32 v38, 1.0, v38
.LBB412_15:                             ;   in Loop: Header=BB412_9 Depth=1
	s_andn2_saveexec_b64 s[14:15], s[14:15]
; %bb.16:                               ;   in Loop: Header=BB412_9 Depth=1
	v_mul_f32_e32 v38, v29, v29
	v_fmamk_f32 v39, v38, 0xba1345e1, v34
	v_fmaak_f32 v39, v38, v39, 0xbcdac9b8
	v_fmaak_f32 v39, v38, v39, 0x3de703be
	;; [unrolled: 1-line block ×4, first 2 shown]
	v_fma_f32 v38, |v29|, v38, |v29|
; %bb.17:                               ;   in Loop: Header=BB412_9 Depth=1
	s_or_b64 exec, exec, s[14:15]
	s_waitcnt vmcnt(1)
	v_add_f32_e32 v17, v17, v21
	v_bfi_b32 v21, s38, v38, v29
	v_add_f32_e32 v16, v16, v20
	v_mul_f32_e32 v20, 0.5, v25
	v_add_f32_e32 v21, 1.0, v21
	v_bfi_b32 v28, s38, v37, v28
	v_mul_f32_e32 v25, v20, v21
	v_add_f32_e32 v20, v26, v30
	v_mul_f32_e32 v24, 0.5, v24
	v_add_f32_e32 v28, 1.0, v28
	v_mul_f32_e32 v21, 0x3f3504f3, v20
	v_mul_f32_e32 v24, v24, v28
	v_cmp_nlt_f32_e64 s[14:15], |v21|, 1.0
	;;#ASMSTART
	v_pk_mul_f32 v[16:17], v[24:25], v[16:17]
	;;#ASMEND
                                        ; implicit-def: $vgpr24
	s_and_saveexec_b64 s[40:41], s[14:15]
	s_xor_b64 s[14:15], exec, s[40:41]
	s_cbranch_execz .LBB412_19
; %bb.18:                               ;   in Loop: Header=BB412_9 Depth=1
	v_fma_f32 v24, |v21|, s28, v35
	v_fma_f32 v24, |v21|, v24, s29
	;; [unrolled: 1-line block ×6, first 2 shown]
	v_fma_f32 v24, |v21|, v24, |v21|
	v_mul_f32_e32 v25, 0xbfb8aa3b, v24
	v_fma_f32 v26, v24, s35, -v25
	v_rndne_f32_e32 v28, v25
	v_fmac_f32_e32 v26, 0xb2a5705f, v24
	v_sub_f32_e32 v25, v25, v28
	v_add_f32_e32 v25, v25, v26
	v_cvt_i32_f32_e32 v26, v28
	v_exp_f32_e32 v25, v25
	v_cmp_nlt_f32_e32 vcc, s36, v24
	v_ldexp_f32 v25, v25, v26
	s_nop 0
	v_cndmask_b32_e32 v25, 0, v25, vcc
	v_cmp_ngt_f32_e32 vcc, s37, v24
	s_nop 1
	v_cndmask_b32_e32 v24, v36, v25, vcc
	v_sub_f32_e32 v24, 1.0, v24
.LBB412_19:                             ;   in Loop: Header=BB412_9 Depth=1
	s_andn2_saveexec_b64 s[14:15], s[14:15]
; %bb.20:                               ;   in Loop: Header=BB412_9 Depth=1
	v_mul_f32_e32 v24, v21, v21
	v_fmamk_f32 v25, v24, 0xba1345e1, v34
	v_fmaak_f32 v25, v24, v25, 0xbcdac9b8
	v_fmaak_f32 v25, v24, v25, 0x3de703be
	;; [unrolled: 1-line block ×4, first 2 shown]
	v_fma_f32 v24, |v21|, v24, |v21|
; %bb.21:                               ;   in Loop: Header=BB412_9 Depth=1
	s_or_b64 exec, exec, s[14:15]
	v_add_f32_e32 v25, v27, v31
	v_mul_f32_e32 v26, 0x3f3504f3, v25
	v_cmp_nlt_f32_e64 s[14:15], |v26|, 1.0
                                        ; implicit-def: $vgpr27
	s_and_saveexec_b64 s[40:41], s[14:15]
	s_xor_b64 s[14:15], exec, s[40:41]
	s_cbranch_execz .LBB412_23
; %bb.22:                               ;   in Loop: Header=BB412_9 Depth=1
	v_fma_f32 v27, |v26|, s28, v35
	v_fma_f32 v27, |v26|, v27, s29
	;; [unrolled: 1-line block ×6, first 2 shown]
	v_fma_f32 v27, |v26|, v27, |v26|
	v_mul_f32_e32 v28, 0xbfb8aa3b, v27
	v_fma_f32 v29, v27, s35, -v28
	v_rndne_f32_e32 v30, v28
	v_fmac_f32_e32 v29, 0xb2a5705f, v27
	v_sub_f32_e32 v28, v28, v30
	v_add_f32_e32 v28, v28, v29
	v_cvt_i32_f32_e32 v29, v30
	v_exp_f32_e32 v28, v28
	v_cmp_nlt_f32_e32 vcc, s36, v27
	v_ldexp_f32 v28, v28, v29
	s_nop 0
	v_cndmask_b32_e32 v28, 0, v28, vcc
	v_cmp_ngt_f32_e32 vcc, s37, v27
	s_nop 1
	v_cndmask_b32_e32 v27, v36, v28, vcc
	v_sub_f32_e32 v27, 1.0, v27
.LBB412_23:                             ;   in Loop: Header=BB412_9 Depth=1
	s_andn2_saveexec_b64 s[14:15], s[14:15]
; %bb.24:                               ;   in Loop: Header=BB412_9 Depth=1
	v_mul_f32_e32 v27, v26, v26
	v_fmamk_f32 v28, v27, 0xba1345e1, v34
	v_fmaak_f32 v28, v27, v28, 0xbcdac9b8
	v_fmaak_f32 v28, v27, v28, 0x3de703be
	;; [unrolled: 1-line block ×4, first 2 shown]
	v_fma_f32 v27, |v26|, v27, |v26|
; %bb.25:                               ;   in Loop: Header=BB412_9 Depth=1
	s_or_b64 exec, exec, s[14:15]
	v_bfi_b32 v21, s38, v24, v21
	v_add_f32_e32 v8, v8, v12
	v_mul_f32_e32 v20, 0.5, v20
	v_add_f32_e32 v21, 1.0, v21
	v_add_f32_e32 v18, v18, v22
	v_bfi_b32 v22, s38, v27, v26
	v_mul_f32_e32 v12, 0x3f3504f3, v8
	v_mul_f32_e32 v20, v20, v21
	v_add_f32_e32 v19, v19, v23
	v_mul_f32_e32 v21, 0.5, v25
	v_add_f32_e32 v22, 1.0, v22
	v_cmp_nlt_f32_e64 s[14:15], |v12|, 1.0
	v_mul_f32_e32 v21, v21, v22
	;;#ASMSTART
	v_pk_mul_f32 v[18:19], v[20:21], v[18:19]
	;;#ASMEND
                                        ; implicit-def: $vgpr20
	s_and_saveexec_b64 s[40:41], s[14:15]
	s_xor_b64 s[14:15], exec, s[40:41]
	s_cbranch_execz .LBB412_27
; %bb.26:                               ;   in Loop: Header=BB412_9 Depth=1
	v_fma_f32 v20, |v12|, s28, v35
	v_fma_f32 v20, |v12|, v20, s29
	;; [unrolled: 1-line block ×6, first 2 shown]
	v_fma_f32 v20, |v12|, v20, |v12|
	v_mul_f32_e32 v21, 0xbfb8aa3b, v20
	v_fma_f32 v22, v20, s35, -v21
	v_rndne_f32_e32 v23, v21
	v_fmac_f32_e32 v22, 0xb2a5705f, v20
	v_sub_f32_e32 v21, v21, v23
	v_add_f32_e32 v21, v21, v22
	v_cvt_i32_f32_e32 v22, v23
	v_exp_f32_e32 v21, v21
	v_cmp_nlt_f32_e32 vcc, s36, v20
	v_ldexp_f32 v21, v21, v22
	s_nop 0
	v_cndmask_b32_e32 v21, 0, v21, vcc
	v_cmp_ngt_f32_e32 vcc, s37, v20
	s_nop 1
	v_cndmask_b32_e32 v20, v36, v21, vcc
	v_sub_f32_e32 v20, 1.0, v20
.LBB412_27:                             ;   in Loop: Header=BB412_9 Depth=1
	s_andn2_saveexec_b64 s[14:15], s[14:15]
; %bb.28:                               ;   in Loop: Header=BB412_9 Depth=1
	v_mul_f32_e32 v20, v12, v12
	v_fmamk_f32 v21, v20, 0xba1345e1, v34
	v_fmaak_f32 v21, v20, v21, 0xbcdac9b8
	v_fmaak_f32 v21, v20, v21, 0x3de703be
	;; [unrolled: 1-line block ×4, first 2 shown]
	v_fma_f32 v20, |v12|, v20, |v12|
; %bb.29:                               ;   in Loop: Header=BB412_9 Depth=1
	s_or_b64 exec, exec, s[14:15]
	v_add_f32_e32 v9, v9, v13
	v_mul_f32_e32 v13, 0x3f3504f3, v9
	v_cmp_nlt_f32_e64 s[14:15], |v13|, 1.0
                                        ; implicit-def: $vgpr21
	s_and_saveexec_b64 s[40:41], s[14:15]
	s_xor_b64 s[14:15], exec, s[40:41]
	s_cbranch_execz .LBB412_31
; %bb.30:                               ;   in Loop: Header=BB412_9 Depth=1
	v_fma_f32 v21, |v13|, s28, v35
	v_fma_f32 v21, |v13|, v21, s29
	;; [unrolled: 1-line block ×6, first 2 shown]
	v_fma_f32 v21, |v13|, v21, |v13|
	v_mul_f32_e32 v22, 0xbfb8aa3b, v21
	v_fma_f32 v23, v21, s35, -v22
	v_rndne_f32_e32 v24, v22
	v_fmac_f32_e32 v23, 0xb2a5705f, v21
	v_sub_f32_e32 v22, v22, v24
	v_add_f32_e32 v22, v22, v23
	v_cvt_i32_f32_e32 v23, v24
	v_exp_f32_e32 v22, v22
	v_cmp_nlt_f32_e32 vcc, s36, v21
	v_ldexp_f32 v22, v22, v23
	s_nop 0
	v_cndmask_b32_e32 v22, 0, v22, vcc
	v_cmp_ngt_f32_e32 vcc, s37, v21
	s_nop 1
	v_cndmask_b32_e32 v21, v36, v22, vcc
	v_sub_f32_e32 v21, 1.0, v21
.LBB412_31:                             ;   in Loop: Header=BB412_9 Depth=1
	s_andn2_saveexec_b64 s[14:15], s[14:15]
; %bb.32:                               ;   in Loop: Header=BB412_9 Depth=1
	v_mul_f32_e32 v21, v13, v13
	v_fmamk_f32 v22, v21, 0xba1345e1, v34
	v_fmaak_f32 v22, v21, v22, 0xbcdac9b8
	v_fmaak_f32 v22, v21, v22, 0x3de703be
	;; [unrolled: 1-line block ×4, first 2 shown]
	v_fma_f32 v21, |v13|, v21, |v13|
; %bb.33:                               ;   in Loop: Header=BB412_9 Depth=1
	s_or_b64 exec, exec, s[14:15]
	s_waitcnt vmcnt(0)
	v_add_f32_e32 v1, v1, v5
	v_bfi_b32 v5, s38, v21, v13
	v_add_f32_e32 v0, v0, v4
	v_mul_f32_e32 v4, 0.5, v9
	v_add_f32_e32 v5, 1.0, v5
	v_bfi_b32 v12, s38, v20, v12
	v_mul_f32_e32 v9, v4, v5
	v_add_f32_e32 v4, v10, v14
	v_mul_f32_e32 v8, 0.5, v8
	v_add_f32_e32 v12, 1.0, v12
	v_mul_f32_e32 v5, 0x3f3504f3, v4
	v_mul_f32_e32 v8, v8, v12
	v_cmp_nlt_f32_e64 s[14:15], |v5|, 1.0
	;;#ASMSTART
	v_pk_mul_f32 v[0:1], v[8:9], v[0:1]
	;;#ASMEND
                                        ; implicit-def: $vgpr8
	s_and_saveexec_b64 s[40:41], s[14:15]
	s_xor_b64 s[14:15], exec, s[40:41]
	s_cbranch_execz .LBB412_35
; %bb.34:                               ;   in Loop: Header=BB412_9 Depth=1
	v_fma_f32 v8, |v5|, s28, v35
	v_fma_f32 v8, |v5|, v8, s29
	;; [unrolled: 1-line block ×6, first 2 shown]
	v_fma_f32 v8, |v5|, v8, |v5|
	v_mul_f32_e32 v9, 0xbfb8aa3b, v8
	v_fma_f32 v10, v8, s35, -v9
	v_rndne_f32_e32 v12, v9
	v_fmac_f32_e32 v10, 0xb2a5705f, v8
	v_sub_f32_e32 v9, v9, v12
	v_add_f32_e32 v9, v9, v10
	v_cvt_i32_f32_e32 v10, v12
	v_exp_f32_e32 v9, v9
	v_cmp_nlt_f32_e32 vcc, s36, v8
	v_ldexp_f32 v9, v9, v10
	s_nop 0
	v_cndmask_b32_e32 v9, 0, v9, vcc
	v_cmp_ngt_f32_e32 vcc, s37, v8
	s_nop 1
	v_cndmask_b32_e32 v8, v36, v9, vcc
	v_sub_f32_e32 v8, 1.0, v8
.LBB412_35:                             ;   in Loop: Header=BB412_9 Depth=1
	s_andn2_saveexec_b64 s[14:15], s[14:15]
; %bb.36:                               ;   in Loop: Header=BB412_9 Depth=1
	v_mul_f32_e32 v8, v5, v5
	v_fmamk_f32 v9, v8, 0xba1345e1, v34
	v_fmaak_f32 v9, v8, v9, 0xbcdac9b8
	v_fmaak_f32 v9, v8, v9, 0x3de703be
	;; [unrolled: 1-line block ×4, first 2 shown]
	v_fma_f32 v8, |v5|, v8, |v5|
; %bb.37:                               ;   in Loop: Header=BB412_9 Depth=1
	s_or_b64 exec, exec, s[14:15]
	v_add_f32_e32 v9, v11, v15
	v_mul_f32_e32 v10, 0x3f3504f3, v9
	v_cmp_nlt_f32_e64 s[14:15], |v10|, 1.0
                                        ; implicit-def: $vgpr11
	s_and_saveexec_b64 s[40:41], s[14:15]
	s_xor_b64 s[14:15], exec, s[40:41]
	s_cbranch_execz .LBB412_39
; %bb.38:                               ;   in Loop: Header=BB412_9 Depth=1
	v_fma_f32 v11, |v10|, s28, v35
	v_fma_f32 v11, |v10|, v11, s29
	;; [unrolled: 1-line block ×6, first 2 shown]
	v_fma_f32 v11, |v10|, v11, |v10|
	v_mul_f32_e32 v12, 0xbfb8aa3b, v11
	v_fma_f32 v13, v11, s35, -v12
	v_rndne_f32_e32 v14, v12
	v_fmac_f32_e32 v13, 0xb2a5705f, v11
	v_sub_f32_e32 v12, v12, v14
	v_add_f32_e32 v12, v12, v13
	v_cvt_i32_f32_e32 v13, v14
	v_exp_f32_e32 v12, v12
	v_cmp_nlt_f32_e32 vcc, s36, v11
	v_ldexp_f32 v12, v12, v13
	s_nop 0
	v_cndmask_b32_e32 v12, 0, v12, vcc
	v_cmp_ngt_f32_e32 vcc, s37, v11
	s_nop 1
	v_cndmask_b32_e32 v11, v36, v12, vcc
	v_sub_f32_e32 v11, 1.0, v11
.LBB412_39:                             ;   in Loop: Header=BB412_9 Depth=1
	s_andn2_saveexec_b64 s[14:15], s[14:15]
	s_cbranch_execz .LBB412_8
; %bb.40:                               ;   in Loop: Header=BB412_9 Depth=1
	v_mul_f32_e32 v11, v10, v10
	v_fmamk_f32 v12, v11, 0xba1345e1, v34
	v_fmaak_f32 v12, v11, v12, 0xbcdac9b8
	v_fmaak_f32 v12, v11, v12, 0x3de703be
	;; [unrolled: 1-line block ×4, first 2 shown]
	v_fma_f32 v11, |v10|, v11, |v10|
	s_branch .LBB412_8
.LBB412_41:
	s_endpgm
	.section	.rodata,"a",@progbits
	.p2align	6, 0x0
	.amdhsa_kernel _ZN5aiter23act_and_mul_bias_kernelIfDF16_sfTnPFfRKT2_EXadL_ZNS_11gelu_kernelIfEEfRKT_EELi8EEEvPT0_PS8_PKT1_PS2_il
		.amdhsa_group_segment_fixed_size 0
		.amdhsa_private_segment_fixed_size 0
		.amdhsa_kernarg_size 304
		.amdhsa_user_sgpr_count 2
		.amdhsa_user_sgpr_dispatch_ptr 0
		.amdhsa_user_sgpr_queue_ptr 0
		.amdhsa_user_sgpr_kernarg_segment_ptr 1
		.amdhsa_user_sgpr_dispatch_id 0
		.amdhsa_user_sgpr_kernarg_preload_length 0
		.amdhsa_user_sgpr_kernarg_preload_offset 0
		.amdhsa_user_sgpr_private_segment_size 0
		.amdhsa_uses_dynamic_stack 0
		.amdhsa_enable_private_segment 0
		.amdhsa_system_sgpr_workgroup_id_x 1
		.amdhsa_system_sgpr_workgroup_id_y 0
		.amdhsa_system_sgpr_workgroup_id_z 0
		.amdhsa_system_sgpr_workgroup_info 0
		.amdhsa_system_vgpr_workitem_id 0
		.amdhsa_next_free_vgpr 42
		.amdhsa_next_free_sgpr 42
		.amdhsa_accum_offset 44
		.amdhsa_reserve_vcc 1
		.amdhsa_float_round_mode_32 0
		.amdhsa_float_round_mode_16_64 0
		.amdhsa_float_denorm_mode_32 3
		.amdhsa_float_denorm_mode_16_64 3
		.amdhsa_dx10_clamp 1
		.amdhsa_ieee_mode 1
		.amdhsa_fp16_overflow 0
		.amdhsa_tg_split 0
		.amdhsa_exception_fp_ieee_invalid_op 0
		.amdhsa_exception_fp_denorm_src 0
		.amdhsa_exception_fp_ieee_div_zero 0
		.amdhsa_exception_fp_ieee_overflow 0
		.amdhsa_exception_fp_ieee_underflow 0
		.amdhsa_exception_fp_ieee_inexact 0
		.amdhsa_exception_int_div_zero 0
	.end_amdhsa_kernel
	.section	.text._ZN5aiter23act_and_mul_bias_kernelIfDF16_sfTnPFfRKT2_EXadL_ZNS_11gelu_kernelIfEEfRKT_EELi8EEEvPT0_PS8_PKT1_PS2_il,"axG",@progbits,_ZN5aiter23act_and_mul_bias_kernelIfDF16_sfTnPFfRKT2_EXadL_ZNS_11gelu_kernelIfEEfRKT_EELi8EEEvPT0_PS8_PKT1_PS2_il,comdat
.Lfunc_end412:
	.size	_ZN5aiter23act_and_mul_bias_kernelIfDF16_sfTnPFfRKT2_EXadL_ZNS_11gelu_kernelIfEEfRKT_EELi8EEEvPT0_PS8_PKT1_PS2_il, .Lfunc_end412-_ZN5aiter23act_and_mul_bias_kernelIfDF16_sfTnPFfRKT2_EXadL_ZNS_11gelu_kernelIfEEfRKT_EELi8EEEvPT0_PS8_PKT1_PS2_il
                                        ; -- End function
	.section	.AMDGPU.csdata,"",@progbits
; Kernel info:
; codeLenInByte = 2876
; NumSgprs: 48
; NumVgprs: 42
; NumAgprs: 0
; TotalNumVgprs: 42
; ScratchSize: 0
; MemoryBound: 0
; FloatMode: 240
; IeeeMode: 1
; LDSByteSize: 0 bytes/workgroup (compile time only)
; SGPRBlocks: 5
; VGPRBlocks: 5
; NumSGPRsForWavesPerEU: 48
; NumVGPRsForWavesPerEU: 42
; AccumOffset: 44
; Occupancy: 8
; WaveLimiterHint : 0
; COMPUTE_PGM_RSRC2:SCRATCH_EN: 0
; COMPUTE_PGM_RSRC2:USER_SGPR: 2
; COMPUTE_PGM_RSRC2:TRAP_HANDLER: 0
; COMPUTE_PGM_RSRC2:TGID_X_EN: 1
; COMPUTE_PGM_RSRC2:TGID_Y_EN: 0
; COMPUTE_PGM_RSRC2:TGID_Z_EN: 0
; COMPUTE_PGM_RSRC2:TIDIG_COMP_CNT: 0
; COMPUTE_PGM_RSRC3_GFX90A:ACCUM_OFFSET: 10
; COMPUTE_PGM_RSRC3_GFX90A:TG_SPLIT: 0
	.section	.text._ZN5aiter23act_and_mul_bias_kernelIfDF16_sfTnPFfRKT2_EXadL_ZNS_11gelu_kernelIfEEfRKT_EELi4EEEvPT0_PS8_PKT1_PS2_il,"axG",@progbits,_ZN5aiter23act_and_mul_bias_kernelIfDF16_sfTnPFfRKT2_EXadL_ZNS_11gelu_kernelIfEEfRKT_EELi4EEEvPT0_PS8_PKT1_PS2_il,comdat
	.protected	_ZN5aiter23act_and_mul_bias_kernelIfDF16_sfTnPFfRKT2_EXadL_ZNS_11gelu_kernelIfEEfRKT_EELi4EEEvPT0_PS8_PKT1_PS2_il ; -- Begin function _ZN5aiter23act_and_mul_bias_kernelIfDF16_sfTnPFfRKT2_EXadL_ZNS_11gelu_kernelIfEEfRKT_EELi4EEEvPT0_PS8_PKT1_PS2_il
	.globl	_ZN5aiter23act_and_mul_bias_kernelIfDF16_sfTnPFfRKT2_EXadL_ZNS_11gelu_kernelIfEEfRKT_EELi4EEEvPT0_PS8_PKT1_PS2_il
	.p2align	8
	.type	_ZN5aiter23act_and_mul_bias_kernelIfDF16_sfTnPFfRKT2_EXadL_ZNS_11gelu_kernelIfEEfRKT_EELi4EEEvPT0_PS8_PKT1_PS2_il,@function
_ZN5aiter23act_and_mul_bias_kernelIfDF16_sfTnPFfRKT2_EXadL_ZNS_11gelu_kernelIfEEfRKT_EELi4EEEvPT0_PS8_PKT1_PS2_il: ; @_ZN5aiter23act_and_mul_bias_kernelIfDF16_sfTnPFfRKT2_EXadL_ZNS_11gelu_kernelIfEEfRKT_EELi4EEEvPT0_PS8_PKT1_PS2_il
; %bb.0:
	s_load_dwordx2 s[4:5], s[0:1], 0x10
	s_load_dword s24, s[0:1], 0x20
	s_load_dwordx2 s[6:7], s[0:1], 0x28
	s_mov_b32 s3, 0
	s_lshl_b64 s[8:9], s[2:3], 1
	s_waitcnt lgkmcnt(0)
	s_add_u32 s4, s4, s8
	s_addc_u32 s5, s5, s9
	v_mov_b32_e32 v1, 0
	global_load_ushort v1, v1, s[4:5]
	s_load_dwordx2 s[4:5], s[0:1], 0x0
	s_ashr_i32 s25, s24, 31
	s_mul_hi_u32 s3, s24, s2
	v_mov_b64_e32 v[2:3], s[6:7]
	s_mul_i32 s6, s25, s2
	s_mul_i32 s8, s24, s2
	s_add_i32 s9, s3, s6
	s_lshl_b64 s[6:7], s[8:9], 1
	s_mov_b64 s[10:11], -1
	v_lshlrev_b32_e32 v16, 2, v0
	s_waitcnt vmcnt(0)
	v_readfirstlane_b32 s3, v1
	s_sext_i32_i16 s8, s3
	s_ashr_i32 s9, s8, 31
	s_waitcnt lgkmcnt(0)
	s_add_u32 s4, s4, s6
	s_addc_u32 s3, s5, s7
	s_add_i32 s6, s24, 1
	s_lshr_b32 s7, s6, 31
	s_add_i32 s6, s6, s7
	s_and_b32 s5, s3, 0xffff
	s_lshl_b32 s3, s6, 1
	s_and_b32 s6, s3, -4
	s_cmp_gt_i32 s8, -1
	v_cmp_lt_i64_e32 vcc, s[8:9], v[2:3]
	s_cselect_b64 s[12:13], -1, 0
	s_and_b64 s[12:13], s[12:13], vcc
	s_and_b64 vcc, exec, s[12:13]
	s_cbranch_vccnz .LBB413_5
; %bb.1:
	v_cmp_gt_i32_e32 vcc, s24, v16
	s_and_saveexec_b64 s[10:11], vcc
	s_cbranch_execz .LBB413_4
; %bb.2:
	s_load_dword s3, s[0:1], 0x3c
	v_mov_b32_e32 v17, 0
	s_mov_b32 s13, 0
	v_lshlrev_b32_e32 v4, 3, v0
	s_mov_b64 s[14:15], 0
	s_waitcnt lgkmcnt(0)
	s_and_b32 s3, s3, 0xffff
	s_lshl_b32 s12, s3, 2
	s_lshl_b32 s3, s3, 3
	s_mov_b32 s7, 0x20000
	v_mov_b32_e32 v0, v17
	v_mov_b32_e32 v1, v17
	v_mov_b64_e32 v[2:3], v[16:17]
.LBB413_3:                              ; =>This Inner Loop Header: Depth=1
	v_lshl_add_u64 v[2:3], s[12:13], 0, v[2:3]
	v_cmp_le_i64_e32 vcc, s[24:25], v[2:3]
	buffer_store_dwordx2 v[0:1], v4, s[4:7], 0 offen
	s_or_b64 s[14:15], vcc, s[14:15]
	v_add_u32_e32 v4, s3, v4
	s_andn2_b64 exec, exec, s[14:15]
	s_cbranch_execnz .LBB413_3
.LBB413_4:
	s_or_b64 exec, exec, s[10:11]
	s_mov_b64 s[10:11], 0
.LBB413_5:
	s_andn2_b64 vcc, exec, s[10:11]
	s_cbranch_vccnz .LBB413_25
; %bb.6:
	v_cmp_gt_i32_e32 vcc, s24, v16
	s_and_saveexec_b64 s[10:11], vcc
	s_cbranch_execz .LBB413_25
; %bb.7:
	s_load_dwordx2 s[14:15], s[0:1], 0x8
	s_load_dwordx2 s[12:13], s[0:1], 0x18
	s_mul_hi_i32 s9, s24, s8
	s_mul_i32 s8, s24, s8
	s_lshl_b32 s10, s24, 2
	s_lshl_b64 s[8:9], s[8:9], 3
	s_waitcnt lgkmcnt(0)
	s_add_u32 s12, s12, s8
	s_addc_u32 s3, s13, s9
	s_lshl_b64 s[8:9], s[24:25], 2
	s_add_u32 s16, s12, s8
	s_addc_u32 s17, s3, s9
	s_and_b32 s13, s3, 0xffff
	s_mul_i32 s3, s2, s25
	s_mul_hi_u32 s18, s2, s24
	s_add_i32 s3, s18, s3
	s_mul_i32 s2, s2, s24
	s_and_b32 s17, s17, 0xffff
	s_lshl_b64 s[2:3], s[2:3], 3
	s_add_u32 s20, s14, s2
	s_addc_u32 s2, s15, s3
	s_add_u32 s8, s20, s8
	s_addc_u32 s3, s2, s9
	s_and_b32 s21, s2, 0xffff
	s_and_b32 s9, s3, 0xffff
	s_mov_b32 s7, 0x20000
	s_add_u32 s0, s0, 48
	s_mov_b32 s11, s7
	v_mov_b32_e32 v17, 0
	s_addc_u32 s1, s1, 0
	s_mov_b64 s[2:3], 0
	s_mov_b32 s22, s10
	s_mov_b32 s23, s7
	;; [unrolled: 1-line block ×12, first 2 shown]
	v_mov_b32_e32 v18, 0x3ba10414
	s_brev_b32 s38, -2
	v_mov_b32_e32 v19, 0xb9c68948
	v_mov_b32_e32 v20, 0x7f800000
                                        ; implicit-def: $vgpr0
                                        ; implicit-def: $vgpr0
	;; [unrolled: 1-line block ×4, first 2 shown]
	s_branch .LBB413_9
.LBB413_8:                              ;   in Loop: Header=BB413_9 Depth=1
	s_or_b64 exec, exec, s[14:15]
	v_bfi_b32 v5, s38, v8, v5
	v_mul_f32_e32 v4, 0.5, v4
	v_add_f32_e32 v5, 1.0, v5
	v_add_f32_e32 v2, v2, v6
	v_bfi_b32 v6, s38, v11, v10
	v_mul_f32_e32 v4, v4, v5
	v_add_f32_e32 v3, v3, v7
	v_mul_f32_e32 v5, 0.5, v9
	v_add_f32_e32 v6, 1.0, v6
	v_mul_f32_e32 v5, v5, v6
	;;#ASMSTART
	v_pk_mul_f32 v[2:3], v[4:5], v[2:3]
	;;#ASMEND
	s_load_dword s14, s[0:1], 0xc
	v_cvt_f16_f32_e32 v2, v2
	v_cvt_f16_f32_e32 v3, v3
	;; [unrolled: 1-line block ×4, first 2 shown]
	s_waitcnt lgkmcnt(0)
	s_and_b32 s14, s14, 0xffff
	s_lshl_b32 s26, s14, 2
	v_pack_b32_f16 v1, v2, v3
	v_lshlrev_b32_e32 v2, 1, v16
	v_lshl_add_u64 v[16:17], s[26:27], 0, v[16:17]
	v_cmp_le_i64_e32 vcc, s[24:25], v[16:17]
	v_pack_b32_f16 v0, v0, v4
	s_or_b64 s[2:3], vcc, s[2:3]
	buffer_store_dwordx2 v[0:1], v2, s[4:7], 0 offen
	s_andn2_b64 exec, exec, s[2:3]
	s_cbranch_execz .LBB413_25
.LBB413_9:                              ; =>This Inner Loop Header: Depth=1
	v_lshlrev_b32_e32 v4, 2, v16
	s_mov_b32 s14, s10
	s_mov_b32 s15, s11
	buffer_load_dwordx4 v[8:11], v4, s[20:23], 0 offen
	buffer_load_dwordx4 v[0:3], v4, s[8:11], 0 offen
	;; [unrolled: 1-line block ×3, first 2 shown]
	s_mov_b32 s18, s10
	s_mov_b32 s19, s11
	buffer_load_dwordx4 v[4:7], v4, s[16:19], 0 offen
                                        ; implicit-def: $vgpr21
	s_waitcnt vmcnt(1)
	v_add_f32_e32 v8, v8, v12
	v_mul_f32_e32 v12, 0x3f3504f3, v8
	v_cmp_nlt_f32_e64 s[14:15], |v12|, 1.0
	s_and_saveexec_b64 s[18:19], s[14:15]
	s_xor_b64 s[14:15], exec, s[18:19]
	s_cbranch_execz .LBB413_11
; %bb.10:                               ;   in Loop: Header=BB413_9 Depth=1
	v_fma_f32 v21, |v12|, s28, v19
	v_fma_f32 v21, |v12|, v21, s29
	v_fma_f32 v21, |v12|, v21, s30
	v_fma_f32 v21, |v12|, v21, s31
	v_fma_f32 v21, |v12|, v21, s33
	v_fma_f32 v21, |v12|, v21, s34
	v_fma_f32 v21, |v12|, v21, |v12|
	v_mul_f32_e32 v22, 0xbfb8aa3b, v21
	v_fma_f32 v23, v21, s35, -v22
	v_rndne_f32_e32 v24, v22
	v_fmac_f32_e32 v23, 0xb2a5705f, v21
	v_sub_f32_e32 v22, v22, v24
	v_add_f32_e32 v22, v22, v23
	v_cvt_i32_f32_e32 v23, v24
	v_exp_f32_e32 v22, v22
	v_cmp_nlt_f32_e32 vcc, s36, v21
	v_ldexp_f32 v22, v22, v23
	s_nop 0
	v_cndmask_b32_e32 v22, 0, v22, vcc
	v_cmp_ngt_f32_e32 vcc, s37, v21
	s_nop 1
	v_cndmask_b32_e32 v21, v20, v22, vcc
	v_sub_f32_e32 v21, 1.0, v21
.LBB413_11:                             ;   in Loop: Header=BB413_9 Depth=1
	s_andn2_saveexec_b64 s[14:15], s[14:15]
; %bb.12:                               ;   in Loop: Header=BB413_9 Depth=1
	v_mul_f32_e32 v21, v12, v12
	v_fmamk_f32 v22, v21, 0xba1345e1, v18
	v_fmaak_f32 v22, v21, v22, 0xbcdac9b8
	v_fmaak_f32 v22, v21, v22, 0x3de703be
	;; [unrolled: 1-line block ×4, first 2 shown]
	v_fma_f32 v21, |v12|, v21, |v12|
; %bb.13:                               ;   in Loop: Header=BB413_9 Depth=1
	s_or_b64 exec, exec, s[14:15]
	v_add_f32_e32 v9, v9, v13
	v_mul_f32_e32 v13, 0x3f3504f3, v9
	v_cmp_nlt_f32_e64 s[14:15], |v13|, 1.0
                                        ; implicit-def: $vgpr22
	s_and_saveexec_b64 s[18:19], s[14:15]
	s_xor_b64 s[14:15], exec, s[18:19]
	s_cbranch_execz .LBB413_15
; %bb.14:                               ;   in Loop: Header=BB413_9 Depth=1
	v_fma_f32 v22, |v13|, s28, v19
	v_fma_f32 v22, |v13|, v22, s29
	;; [unrolled: 1-line block ×6, first 2 shown]
	v_fma_f32 v22, |v13|, v22, |v13|
	v_mul_f32_e32 v23, 0xbfb8aa3b, v22
	v_fma_f32 v24, v22, s35, -v23
	v_rndne_f32_e32 v25, v23
	v_fmac_f32_e32 v24, 0xb2a5705f, v22
	v_sub_f32_e32 v23, v23, v25
	v_add_f32_e32 v23, v23, v24
	v_cvt_i32_f32_e32 v24, v25
	v_exp_f32_e32 v23, v23
	v_cmp_nlt_f32_e32 vcc, s36, v22
	v_ldexp_f32 v23, v23, v24
	s_nop 0
	v_cndmask_b32_e32 v23, 0, v23, vcc
	v_cmp_ngt_f32_e32 vcc, s37, v22
	s_nop 1
	v_cndmask_b32_e32 v22, v20, v23, vcc
	v_sub_f32_e32 v22, 1.0, v22
.LBB413_15:                             ;   in Loop: Header=BB413_9 Depth=1
	s_andn2_saveexec_b64 s[14:15], s[14:15]
; %bb.16:                               ;   in Loop: Header=BB413_9 Depth=1
	v_mul_f32_e32 v22, v13, v13
	v_fmamk_f32 v23, v22, 0xba1345e1, v18
	v_fmaak_f32 v23, v22, v23, 0xbcdac9b8
	v_fmaak_f32 v23, v22, v23, 0x3de703be
	v_fmaak_f32 v23, v22, v23, 0xbec09330
	v_fmaak_f32 v22, v22, v23, 0x3e0375d0
	v_fma_f32 v22, |v13|, v22, |v13|
; %bb.17:                               ;   in Loop: Header=BB413_9 Depth=1
	s_or_b64 exec, exec, s[14:15]
	s_waitcnt vmcnt(0)
	v_add_f32_e32 v1, v1, v5
	v_bfi_b32 v5, s38, v22, v13
	v_add_f32_e32 v0, v0, v4
	v_mul_f32_e32 v4, 0.5, v9
	v_add_f32_e32 v5, 1.0, v5
	v_bfi_b32 v12, s38, v21, v12
	v_mul_f32_e32 v9, v4, v5
	v_add_f32_e32 v4, v10, v14
	v_mul_f32_e32 v8, 0.5, v8
	v_add_f32_e32 v12, 1.0, v12
	v_mul_f32_e32 v5, 0x3f3504f3, v4
	v_mul_f32_e32 v8, v8, v12
	v_cmp_nlt_f32_e64 s[14:15], |v5|, 1.0
	;;#ASMSTART
	v_pk_mul_f32 v[0:1], v[8:9], v[0:1]
	;;#ASMEND
                                        ; implicit-def: $vgpr8
	s_and_saveexec_b64 s[18:19], s[14:15]
	s_xor_b64 s[14:15], exec, s[18:19]
	s_cbranch_execz .LBB413_19
; %bb.18:                               ;   in Loop: Header=BB413_9 Depth=1
	v_fma_f32 v8, |v5|, s28, v19
	v_fma_f32 v8, |v5|, v8, s29
	;; [unrolled: 1-line block ×6, first 2 shown]
	v_fma_f32 v8, |v5|, v8, |v5|
	v_mul_f32_e32 v9, 0xbfb8aa3b, v8
	v_fma_f32 v10, v8, s35, -v9
	v_rndne_f32_e32 v12, v9
	v_fmac_f32_e32 v10, 0xb2a5705f, v8
	v_sub_f32_e32 v9, v9, v12
	v_add_f32_e32 v9, v9, v10
	v_cvt_i32_f32_e32 v10, v12
	v_exp_f32_e32 v9, v9
	v_cmp_nlt_f32_e32 vcc, s36, v8
	v_ldexp_f32 v9, v9, v10
	s_nop 0
	v_cndmask_b32_e32 v9, 0, v9, vcc
	v_cmp_ngt_f32_e32 vcc, s37, v8
	s_nop 1
	v_cndmask_b32_e32 v8, v20, v9, vcc
	v_sub_f32_e32 v8, 1.0, v8
.LBB413_19:                             ;   in Loop: Header=BB413_9 Depth=1
	s_andn2_saveexec_b64 s[14:15], s[14:15]
; %bb.20:                               ;   in Loop: Header=BB413_9 Depth=1
	v_mul_f32_e32 v8, v5, v5
	v_fmamk_f32 v9, v8, 0xba1345e1, v18
	v_fmaak_f32 v9, v8, v9, 0xbcdac9b8
	v_fmaak_f32 v9, v8, v9, 0x3de703be
	v_fmaak_f32 v9, v8, v9, 0xbec09330
	v_fmaak_f32 v8, v8, v9, 0x3e0375d0
	v_fma_f32 v8, |v5|, v8, |v5|
; %bb.21:                               ;   in Loop: Header=BB413_9 Depth=1
	s_or_b64 exec, exec, s[14:15]
	v_add_f32_e32 v9, v11, v15
	v_mul_f32_e32 v10, 0x3f3504f3, v9
	v_cmp_nlt_f32_e64 s[14:15], |v10|, 1.0
                                        ; implicit-def: $vgpr11
	s_and_saveexec_b64 s[18:19], s[14:15]
	s_xor_b64 s[14:15], exec, s[18:19]
	s_cbranch_execz .LBB413_23
; %bb.22:                               ;   in Loop: Header=BB413_9 Depth=1
	v_fma_f32 v11, |v10|, s28, v19
	v_fma_f32 v11, |v10|, v11, s29
	;; [unrolled: 1-line block ×6, first 2 shown]
	v_fma_f32 v11, |v10|, v11, |v10|
	v_mul_f32_e32 v12, 0xbfb8aa3b, v11
	v_fma_f32 v13, v11, s35, -v12
	v_rndne_f32_e32 v14, v12
	v_fmac_f32_e32 v13, 0xb2a5705f, v11
	v_sub_f32_e32 v12, v12, v14
	v_add_f32_e32 v12, v12, v13
	v_cvt_i32_f32_e32 v13, v14
	v_exp_f32_e32 v12, v12
	v_cmp_nlt_f32_e32 vcc, s36, v11
	v_ldexp_f32 v12, v12, v13
	s_nop 0
	v_cndmask_b32_e32 v12, 0, v12, vcc
	v_cmp_ngt_f32_e32 vcc, s37, v11
	s_nop 1
	v_cndmask_b32_e32 v11, v20, v12, vcc
	v_sub_f32_e32 v11, 1.0, v11
.LBB413_23:                             ;   in Loop: Header=BB413_9 Depth=1
	s_andn2_saveexec_b64 s[14:15], s[14:15]
	s_cbranch_execz .LBB413_8
; %bb.24:                               ;   in Loop: Header=BB413_9 Depth=1
	v_mul_f32_e32 v11, v10, v10
	v_fmamk_f32 v12, v11, 0xba1345e1, v18
	v_fmaak_f32 v12, v11, v12, 0xbcdac9b8
	v_fmaak_f32 v12, v11, v12, 0x3de703be
	;; [unrolled: 1-line block ×4, first 2 shown]
	v_fma_f32 v11, |v10|, v11, |v10|
	s_branch .LBB413_8
.LBB413_25:
	s_endpgm
	.section	.rodata,"a",@progbits
	.p2align	6, 0x0
	.amdhsa_kernel _ZN5aiter23act_and_mul_bias_kernelIfDF16_sfTnPFfRKT2_EXadL_ZNS_11gelu_kernelIfEEfRKT_EELi4EEEvPT0_PS8_PKT1_PS2_il
		.amdhsa_group_segment_fixed_size 0
		.amdhsa_private_segment_fixed_size 0
		.amdhsa_kernarg_size 304
		.amdhsa_user_sgpr_count 2
		.amdhsa_user_sgpr_dispatch_ptr 0
		.amdhsa_user_sgpr_queue_ptr 0
		.amdhsa_user_sgpr_kernarg_segment_ptr 1
		.amdhsa_user_sgpr_dispatch_id 0
		.amdhsa_user_sgpr_kernarg_preload_length 0
		.amdhsa_user_sgpr_kernarg_preload_offset 0
		.amdhsa_user_sgpr_private_segment_size 0
		.amdhsa_uses_dynamic_stack 0
		.amdhsa_enable_private_segment 0
		.amdhsa_system_sgpr_workgroup_id_x 1
		.amdhsa_system_sgpr_workgroup_id_y 0
		.amdhsa_system_sgpr_workgroup_id_z 0
		.amdhsa_system_sgpr_workgroup_info 0
		.amdhsa_system_vgpr_workitem_id 0
		.amdhsa_next_free_vgpr 26
		.amdhsa_next_free_sgpr 39
		.amdhsa_accum_offset 28
		.amdhsa_reserve_vcc 1
		.amdhsa_float_round_mode_32 0
		.amdhsa_float_round_mode_16_64 0
		.amdhsa_float_denorm_mode_32 3
		.amdhsa_float_denorm_mode_16_64 3
		.amdhsa_dx10_clamp 1
		.amdhsa_ieee_mode 1
		.amdhsa_fp16_overflow 0
		.amdhsa_tg_split 0
		.amdhsa_exception_fp_ieee_invalid_op 0
		.amdhsa_exception_fp_denorm_src 0
		.amdhsa_exception_fp_ieee_div_zero 0
		.amdhsa_exception_fp_ieee_overflow 0
		.amdhsa_exception_fp_ieee_underflow 0
		.amdhsa_exception_fp_ieee_inexact 0
		.amdhsa_exception_int_div_zero 0
	.end_amdhsa_kernel
	.section	.text._ZN5aiter23act_and_mul_bias_kernelIfDF16_sfTnPFfRKT2_EXadL_ZNS_11gelu_kernelIfEEfRKT_EELi4EEEvPT0_PS8_PKT1_PS2_il,"axG",@progbits,_ZN5aiter23act_and_mul_bias_kernelIfDF16_sfTnPFfRKT2_EXadL_ZNS_11gelu_kernelIfEEfRKT_EELi4EEEvPT0_PS8_PKT1_PS2_il,comdat
.Lfunc_end413:
	.size	_ZN5aiter23act_and_mul_bias_kernelIfDF16_sfTnPFfRKT2_EXadL_ZNS_11gelu_kernelIfEEfRKT_EELi4EEEvPT0_PS8_PKT1_PS2_il, .Lfunc_end413-_ZN5aiter23act_and_mul_bias_kernelIfDF16_sfTnPFfRKT2_EXadL_ZNS_11gelu_kernelIfEEfRKT_EELi4EEEvPT0_PS8_PKT1_PS2_il
                                        ; -- End function
	.section	.AMDGPU.csdata,"",@progbits
; Kernel info:
; codeLenInByte = 1776
; NumSgprs: 45
; NumVgprs: 26
; NumAgprs: 0
; TotalNumVgprs: 26
; ScratchSize: 0
; MemoryBound: 0
; FloatMode: 240
; IeeeMode: 1
; LDSByteSize: 0 bytes/workgroup (compile time only)
; SGPRBlocks: 5
; VGPRBlocks: 3
; NumSGPRsForWavesPerEU: 45
; NumVGPRsForWavesPerEU: 26
; AccumOffset: 28
; Occupancy: 8
; WaveLimiterHint : 0
; COMPUTE_PGM_RSRC2:SCRATCH_EN: 0
; COMPUTE_PGM_RSRC2:USER_SGPR: 2
; COMPUTE_PGM_RSRC2:TRAP_HANDLER: 0
; COMPUTE_PGM_RSRC2:TGID_X_EN: 1
; COMPUTE_PGM_RSRC2:TGID_Y_EN: 0
; COMPUTE_PGM_RSRC2:TGID_Z_EN: 0
; COMPUTE_PGM_RSRC2:TIDIG_COMP_CNT: 0
; COMPUTE_PGM_RSRC3_GFX90A:ACCUM_OFFSET: 6
; COMPUTE_PGM_RSRC3_GFX90A:TG_SPLIT: 0
	.section	.text._ZN5aiter23act_and_mul_bias_kernelIfDF16_sfTnPFfRKT2_EXadL_ZNS_11gelu_kernelIfEEfRKT_EELi2EEEvPT0_PS8_PKT1_PS2_il,"axG",@progbits,_ZN5aiter23act_and_mul_bias_kernelIfDF16_sfTnPFfRKT2_EXadL_ZNS_11gelu_kernelIfEEfRKT_EELi2EEEvPT0_PS8_PKT1_PS2_il,comdat
	.protected	_ZN5aiter23act_and_mul_bias_kernelIfDF16_sfTnPFfRKT2_EXadL_ZNS_11gelu_kernelIfEEfRKT_EELi2EEEvPT0_PS8_PKT1_PS2_il ; -- Begin function _ZN5aiter23act_and_mul_bias_kernelIfDF16_sfTnPFfRKT2_EXadL_ZNS_11gelu_kernelIfEEfRKT_EELi2EEEvPT0_PS8_PKT1_PS2_il
	.globl	_ZN5aiter23act_and_mul_bias_kernelIfDF16_sfTnPFfRKT2_EXadL_ZNS_11gelu_kernelIfEEfRKT_EELi2EEEvPT0_PS8_PKT1_PS2_il
	.p2align	8
	.type	_ZN5aiter23act_and_mul_bias_kernelIfDF16_sfTnPFfRKT2_EXadL_ZNS_11gelu_kernelIfEEfRKT_EELi2EEEvPT0_PS8_PKT1_PS2_il,@function
_ZN5aiter23act_and_mul_bias_kernelIfDF16_sfTnPFfRKT2_EXadL_ZNS_11gelu_kernelIfEEfRKT_EELi2EEEvPT0_PS8_PKT1_PS2_il: ; @_ZN5aiter23act_and_mul_bias_kernelIfDF16_sfTnPFfRKT2_EXadL_ZNS_11gelu_kernelIfEEfRKT_EELi2EEEvPT0_PS8_PKT1_PS2_il
; %bb.0:
	s_load_dwordx2 s[4:5], s[0:1], 0x10
	s_load_dword s24, s[0:1], 0x20
	s_load_dwordx2 s[6:7], s[0:1], 0x28
	s_mov_b32 s3, 0
	s_lshl_b64 s[8:9], s[2:3], 1
	s_waitcnt lgkmcnt(0)
	s_add_u32 s4, s4, s8
	s_addc_u32 s5, s5, s9
	v_mov_b32_e32 v1, 0
	global_load_ushort v1, v1, s[4:5]
	s_load_dwordx2 s[4:5], s[0:1], 0x0
	s_ashr_i32 s25, s24, 31
	s_mul_hi_u32 s3, s24, s2
	v_mov_b64_e32 v[2:3], s[6:7]
	s_mul_i32 s6, s25, s2
	s_mul_i32 s8, s24, s2
	s_add_i32 s9, s3, s6
	s_lshl_b64 s[6:7], s[8:9], 1
	s_mov_b64 s[10:11], -1
	s_waitcnt vmcnt(0)
	v_readfirstlane_b32 s3, v1
	s_sext_i32_i16 s8, s3
	s_ashr_i32 s9, s8, 31
	s_waitcnt lgkmcnt(0)
	s_add_u32 s4, s4, s6
	s_addc_u32 s3, s5, s7
	s_add_i32 s6, s24, 1
	s_lshr_b32 s7, s6, 31
	s_add_i32 s6, s6, s7
	s_and_b32 s5, s3, 0xffff
	s_lshl_b32 s3, s6, 1
	s_and_b32 s6, s3, -4
	s_cmp_gt_i32 s8, -1
	v_cmp_lt_i64_e32 vcc, s[8:9], v[2:3]
	s_cselect_b64 s[12:13], -1, 0
	s_and_b64 s[12:13], s[12:13], vcc
	s_and_b64 vcc, exec, s[12:13]
	v_lshlrev_b32_e32 v2, 1, v0
	s_cbranch_vccnz .LBB414_5
; %bb.1:
	v_cmp_gt_i32_e32 vcc, s24, v2
	s_and_saveexec_b64 s[10:11], vcc
	s_cbranch_execz .LBB414_4
; %bb.2:
	s_load_dword s3, s[0:1], 0x3c
	v_mov_b32_e32 v3, 0
	s_mov_b32 s13, 0
	v_lshlrev_b32_e32 v4, 2, v0
	s_mov_b64 s[14:15], 0
	s_waitcnt lgkmcnt(0)
	s_and_b32 s3, s3, 0xffff
	s_lshl_b32 s12, s3, 1
	s_lshl_b32 s3, s3, 2
	s_mov_b32 s7, 0x20000
	v_mov_b64_e32 v[0:1], v[2:3]
.LBB414_3:                              ; =>This Inner Loop Header: Depth=1
	v_lshl_add_u64 v[0:1], s[12:13], 0, v[0:1]
	v_cmp_le_i64_e32 vcc, s[24:25], v[0:1]
	buffer_store_dword v3, v4, s[4:7], 0 offen
	s_or_b64 s[14:15], vcc, s[14:15]
	v_add_u32_e32 v4, s3, v4
	s_andn2_b64 exec, exec, s[14:15]
	s_cbranch_execnz .LBB414_3
.LBB414_4:
	s_or_b64 exec, exec, s[10:11]
	s_mov_b64 s[10:11], 0
.LBB414_5:
	s_andn2_b64 vcc, exec, s[10:11]
	s_cbranch_vccnz .LBB414_13
; %bb.6:
	v_cmp_gt_i32_e32 vcc, s24, v2
	s_and_saveexec_b64 s[10:11], vcc
	s_cbranch_execz .LBB414_13
; %bb.7:
	s_load_dwordx2 s[14:15], s[0:1], 0x8
	s_load_dwordx2 s[12:13], s[0:1], 0x18
	s_mul_hi_i32 s9, s24, s8
	s_mul_i32 s8, s24, s8
	s_lshl_b32 s10, s24, 2
	s_lshl_b64 s[8:9], s[8:9], 3
	s_waitcnt lgkmcnt(0)
	s_add_u32 s12, s12, s8
	s_addc_u32 s3, s13, s9
	s_lshl_b64 s[8:9], s[24:25], 2
	s_add_u32 s16, s12, s8
	s_addc_u32 s17, s3, s9
	s_and_b32 s13, s3, 0xffff
	s_mul_i32 s3, s2, s25
	s_mul_hi_u32 s18, s2, s24
	s_add_i32 s3, s18, s3
	s_mul_i32 s2, s2, s24
	s_and_b32 s17, s17, 0xffff
	s_lshl_b64 s[2:3], s[2:3], 3
	s_add_u32 s20, s14, s2
	s_addc_u32 s2, s15, s3
	s_add_u32 s8, s20, s8
	s_addc_u32 s3, s2, s9
	s_and_b32 s21, s2, 0xffff
	s_and_b32 s9, s3, 0xffff
	s_mov_b32 s7, 0x20000
	s_add_u32 s0, s0, 48
	s_mov_b32 s11, s7
	v_mov_b32_e32 v3, 0
	s_addc_u32 s1, s1, 0
	s_mov_b64 s[2:3], 0
	s_mov_b32 s22, s10
	s_mov_b32 s23, s7
	;; [unrolled: 1-line block ×13, first 2 shown]
	v_mov_b32_e32 v12, 0x3ba10414
	v_mov_b32_e32 v13, 0xb9c68948
	;; [unrolled: 1-line block ×3, first 2 shown]
	s_brev_b32 s39, -2
                                        ; implicit-def: $vgpr0
                                        ; implicit-def: $vgpr0
                                        ; implicit-def: $vgpr0
                                        ; implicit-def: $vgpr0
	s_branch .LBB414_9
.LBB414_8:                              ;   in Loop: Header=BB414_9 Depth=1
	s_or_b64 exec, exec, s[14:15]
	v_fma_f32 v10, |v1|, s29, v13
	v_fma_f32 v10, |v1|, v10, s30
	;; [unrolled: 1-line block ×6, first 2 shown]
	v_fma_f32 v10, |v1|, v10, |v1|
	v_mul_f32_e32 v16, 0xbfb8aa3b, v10
	v_fma_f32 v17, v10, s36, -v16
	v_rndne_f32_e32 v18, v16
	v_fmac_f32_e32 v17, 0xb2a5705f, v10
	v_sub_f32_e32 v16, v16, v18
	v_add_f32_e32 v16, v16, v17
	v_exp_f32_e32 v16, v16
	v_cvt_i32_f32_e32 v17, v18
	s_waitcnt vmcnt(0)
	v_pk_add_f32 v[6:7], v[6:7], v[8:9]
	v_fmamk_f32 v9, v11, 0xba1345e1, v12
	v_fmaak_f32 v9, v11, v9, 0xbcdac9b8
	v_ldexp_f32 v8, v16, v17
	v_cmp_nlt_f32_e32 vcc, s37, v10
	v_fmaak_f32 v9, v11, v9, 0x3de703be
	v_fmaak_f32 v9, v11, v9, 0xbec09330
	v_cndmask_b32_e32 v8, 0, v8, vcc
	v_cmp_ngt_f32_e32 vcc, s38, v10
	v_fmaak_f32 v9, v11, v9, 0x3e0375d0
	v_fma_f32 v9, |v1|, v9, |v1|
	v_cndmask_b32_e32 v8, v14, v8, vcc
	v_sub_f32_e32 v8, 1.0, v8
	v_cmp_lt_f32_e64 vcc, |v1|, 1.0
	v_bfi_b32 v0, s39, v15, v0
	v_mul_f32_e32 v5, 0.5, v5
	v_cndmask_b32_e32 v8, v8, v9, vcc
	v_bfi_b32 v1, s39, v8, v1
	v_mul_f32_e32 v4, 0.5, v4
	v_pk_add_f32 v[0:1], v[0:1], 1.0 op_sel_hi:[1,0]
	s_nop 0
	v_pk_mul_f32 v[0:1], v[4:5], v[0:1]
	s_nop 0
	;;#ASMSTART
	v_pk_mul_f32 v[0:1], v[0:1], v[6:7]
	;;#ASMEND
	s_load_dword s14, s[0:1], 0xc
	v_cvt_f16_f32_e32 v0, v0
	v_cvt_f16_f32_e32 v1, v1
	s_waitcnt lgkmcnt(0)
	s_and_b32 s14, s14, 0xffff
	s_lshl_b32 s26, s14, 1
	v_pack_b32_f16 v0, v0, v1
	v_lshlrev_b32_e32 v1, 1, v2
	v_lshl_add_u64 v[2:3], s[26:27], 0, v[2:3]
	v_cmp_le_i64_e32 vcc, s[24:25], v[2:3]
	s_or_b64 s[2:3], vcc, s[2:3]
	buffer_store_dword v0, v1, s[4:7], 0 offen
	s_andn2_b64 exec, exec, s[2:3]
	s_cbranch_execz .LBB414_13
.LBB414_9:                              ; =>This Inner Loop Header: Depth=1
	v_lshlrev_b32_e32 v8, 2, v2
	s_mov_b32 s14, s10
	s_mov_b32 s15, s11
	buffer_load_dwordx2 v[0:1], v8, s[20:23], 0 offen
	buffer_load_dwordx2 v[6:7], v8, s[8:11], 0 offen
	;; [unrolled: 1-line block ×3, first 2 shown]
	s_mov_b32 s18, s10
	s_mov_b32 s19, s11
	buffer_load_dwordx2 v[8:9], v8, s[16:19], 0 offen
                                        ; implicit-def: $vgpr15
	s_waitcnt vmcnt(1)
	v_pk_add_f32 v[4:5], v[0:1], v[4:5]
	s_nop 0
	v_pk_mul_f32 v[0:1], v[4:5], s[28:29] op_sel_hi:[1,0]
	s_nop 0
	v_cmp_nlt_f32_e64 s[14:15], |v0|, 1.0
	s_and_saveexec_b64 s[18:19], s[14:15]
	s_xor_b64 s[14:15], exec, s[18:19]
	s_cbranch_execz .LBB414_11
; %bb.10:                               ;   in Loop: Header=BB414_9 Depth=1
	v_fma_f32 v10, |v0|, s29, v13
	v_fma_f32 v10, |v0|, v10, s30
	;; [unrolled: 1-line block ×6, first 2 shown]
	v_fma_f32 v10, |v0|, v10, |v0|
	v_mul_f32_e32 v11, 0xbfb8aa3b, v10
	v_fma_f32 v15, v10, s36, -v11
	v_rndne_f32_e32 v16, v11
	v_fmac_f32_e32 v15, 0xb2a5705f, v10
	v_sub_f32_e32 v11, v11, v16
	v_add_f32_e32 v11, v11, v15
	v_cvt_i32_f32_e32 v15, v16
	v_exp_f32_e32 v11, v11
	v_cmp_nlt_f32_e32 vcc, s37, v10
	v_ldexp_f32 v11, v11, v15
	s_nop 0
	v_cndmask_b32_e32 v11, 0, v11, vcc
	v_cmp_ngt_f32_e32 vcc, s38, v10
	s_nop 1
	v_cndmask_b32_e32 v10, v14, v11, vcc
	v_sub_f32_e32 v15, 1.0, v10
.LBB414_11:                             ;   in Loop: Header=BB414_9 Depth=1
	s_or_saveexec_b64 s[14:15], s[14:15]
	v_pk_mul_f32 v[10:11], v[0:1], v[0:1]
	s_xor_b64 exec, exec, s[14:15]
	s_cbranch_execz .LBB414_8
; %bb.12:                               ;   in Loop: Header=BB414_9 Depth=1
	v_fmamk_f32 v15, v10, 0xba1345e1, v12
	v_fmaak_f32 v15, v10, v15, 0xbcdac9b8
	v_fmaak_f32 v15, v10, v15, 0x3de703be
	;; [unrolled: 1-line block ×4, first 2 shown]
	v_fma_f32 v15, |v0|, v10, |v0|
	s_branch .LBB414_8
.LBB414_13:
	s_endpgm
	.section	.rodata,"a",@progbits
	.p2align	6, 0x0
	.amdhsa_kernel _ZN5aiter23act_and_mul_bias_kernelIfDF16_sfTnPFfRKT2_EXadL_ZNS_11gelu_kernelIfEEfRKT_EELi2EEEvPT0_PS8_PKT1_PS2_il
		.amdhsa_group_segment_fixed_size 0
		.amdhsa_private_segment_fixed_size 0
		.amdhsa_kernarg_size 304
		.amdhsa_user_sgpr_count 2
		.amdhsa_user_sgpr_dispatch_ptr 0
		.amdhsa_user_sgpr_queue_ptr 0
		.amdhsa_user_sgpr_kernarg_segment_ptr 1
		.amdhsa_user_sgpr_dispatch_id 0
		.amdhsa_user_sgpr_kernarg_preload_length 0
		.amdhsa_user_sgpr_kernarg_preload_offset 0
		.amdhsa_user_sgpr_private_segment_size 0
		.amdhsa_uses_dynamic_stack 0
		.amdhsa_enable_private_segment 0
		.amdhsa_system_sgpr_workgroup_id_x 1
		.amdhsa_system_sgpr_workgroup_id_y 0
		.amdhsa_system_sgpr_workgroup_id_z 0
		.amdhsa_system_sgpr_workgroup_info 0
		.amdhsa_system_vgpr_workitem_id 0
		.amdhsa_next_free_vgpr 19
		.amdhsa_next_free_sgpr 40
		.amdhsa_accum_offset 20
		.amdhsa_reserve_vcc 1
		.amdhsa_float_round_mode_32 0
		.amdhsa_float_round_mode_16_64 0
		.amdhsa_float_denorm_mode_32 3
		.amdhsa_float_denorm_mode_16_64 3
		.amdhsa_dx10_clamp 1
		.amdhsa_ieee_mode 1
		.amdhsa_fp16_overflow 0
		.amdhsa_tg_split 0
		.amdhsa_exception_fp_ieee_invalid_op 0
		.amdhsa_exception_fp_denorm_src 0
		.amdhsa_exception_fp_ieee_div_zero 0
		.amdhsa_exception_fp_ieee_overflow 0
		.amdhsa_exception_fp_ieee_underflow 0
		.amdhsa_exception_fp_ieee_inexact 0
		.amdhsa_exception_int_div_zero 0
	.end_amdhsa_kernel
	.section	.text._ZN5aiter23act_and_mul_bias_kernelIfDF16_sfTnPFfRKT2_EXadL_ZNS_11gelu_kernelIfEEfRKT_EELi2EEEvPT0_PS8_PKT1_PS2_il,"axG",@progbits,_ZN5aiter23act_and_mul_bias_kernelIfDF16_sfTnPFfRKT2_EXadL_ZNS_11gelu_kernelIfEEfRKT_EELi2EEEvPT0_PS8_PKT1_PS2_il,comdat
.Lfunc_end414:
	.size	_ZN5aiter23act_and_mul_bias_kernelIfDF16_sfTnPFfRKT2_EXadL_ZNS_11gelu_kernelIfEEfRKT_EELi2EEEvPT0_PS8_PKT1_PS2_il, .Lfunc_end414-_ZN5aiter23act_and_mul_bias_kernelIfDF16_sfTnPFfRKT2_EXadL_ZNS_11gelu_kernelIfEEfRKT_EELi2EEEvPT0_PS8_PKT1_PS2_il
                                        ; -- End function
	.section	.AMDGPU.csdata,"",@progbits
; Kernel info:
; codeLenInByte = 1236
; NumSgprs: 46
; NumVgprs: 19
; NumAgprs: 0
; TotalNumVgprs: 19
; ScratchSize: 0
; MemoryBound: 0
; FloatMode: 240
; IeeeMode: 1
; LDSByteSize: 0 bytes/workgroup (compile time only)
; SGPRBlocks: 5
; VGPRBlocks: 2
; NumSGPRsForWavesPerEU: 46
; NumVGPRsForWavesPerEU: 19
; AccumOffset: 20
; Occupancy: 8
; WaveLimiterHint : 0
; COMPUTE_PGM_RSRC2:SCRATCH_EN: 0
; COMPUTE_PGM_RSRC2:USER_SGPR: 2
; COMPUTE_PGM_RSRC2:TRAP_HANDLER: 0
; COMPUTE_PGM_RSRC2:TGID_X_EN: 1
; COMPUTE_PGM_RSRC2:TGID_Y_EN: 0
; COMPUTE_PGM_RSRC2:TGID_Z_EN: 0
; COMPUTE_PGM_RSRC2:TIDIG_COMP_CNT: 0
; COMPUTE_PGM_RSRC3_GFX90A:ACCUM_OFFSET: 4
; COMPUTE_PGM_RSRC3_GFX90A:TG_SPLIT: 0
	.section	.text._ZN5aiter23act_and_mul_bias_kernelIfDF16_sfTnPFfRKT2_EXadL_ZNS_11gelu_kernelIfEEfRKT_EELi1EEEvPT0_PS8_PKT1_PS2_il,"axG",@progbits,_ZN5aiter23act_and_mul_bias_kernelIfDF16_sfTnPFfRKT2_EXadL_ZNS_11gelu_kernelIfEEfRKT_EELi1EEEvPT0_PS8_PKT1_PS2_il,comdat
	.protected	_ZN5aiter23act_and_mul_bias_kernelIfDF16_sfTnPFfRKT2_EXadL_ZNS_11gelu_kernelIfEEfRKT_EELi1EEEvPT0_PS8_PKT1_PS2_il ; -- Begin function _ZN5aiter23act_and_mul_bias_kernelIfDF16_sfTnPFfRKT2_EXadL_ZNS_11gelu_kernelIfEEfRKT_EELi1EEEvPT0_PS8_PKT1_PS2_il
	.globl	_ZN5aiter23act_and_mul_bias_kernelIfDF16_sfTnPFfRKT2_EXadL_ZNS_11gelu_kernelIfEEfRKT_EELi1EEEvPT0_PS8_PKT1_PS2_il
	.p2align	8
	.type	_ZN5aiter23act_and_mul_bias_kernelIfDF16_sfTnPFfRKT2_EXadL_ZNS_11gelu_kernelIfEEfRKT_EELi1EEEvPT0_PS8_PKT1_PS2_il,@function
_ZN5aiter23act_and_mul_bias_kernelIfDF16_sfTnPFfRKT2_EXadL_ZNS_11gelu_kernelIfEEfRKT_EELi1EEEvPT0_PS8_PKT1_PS2_il: ; @_ZN5aiter23act_and_mul_bias_kernelIfDF16_sfTnPFfRKT2_EXadL_ZNS_11gelu_kernelIfEEfRKT_EELi1EEEvPT0_PS8_PKT1_PS2_il
; %bb.0:
	s_load_dwordx2 s[4:5], s[0:1], 0x10
	s_load_dword s20, s[0:1], 0x20
	s_load_dwordx2 s[8:9], s[0:1], 0x28
	s_mov_b32 s3, 0
	s_lshl_b64 s[6:7], s[2:3], 1
	s_waitcnt lgkmcnt(0)
	s_add_u32 s4, s4, s6
	s_addc_u32 s5, s5, s7
	v_mov_b32_e32 v1, 0
	global_load_ushort v1, v1, s[4:5]
	s_load_dwordx2 s[4:5], s[0:1], 0x0
	s_ashr_i32 s21, s20, 31
	s_mul_hi_u32 s3, s20, s2
	v_mov_b64_e32 v[2:3], s[8:9]
	s_mul_i32 s8, s21, s2
	s_add_i32 s11, s3, s8
	s_mul_i32 s10, s20, s2
	s_lshl_b64 s[8:9], s[10:11], 1
	s_mov_b64 s[6:7], -1
	s_waitcnt vmcnt(0)
	v_readfirstlane_b32 s3, v1
	s_sext_i32_i16 s12, s3
	s_ashr_i32 s13, s12, 31
	s_waitcnt lgkmcnt(0)
	s_add_u32 s8, s4, s8
	s_addc_u32 s3, s5, s9
	s_add_i32 s4, s20, 1
	s_lshr_b32 s5, s4, 31
	s_add_i32 s4, s4, s5
	s_and_b32 s9, s3, 0xffff
	s_lshl_b32 s3, s4, 1
	s_and_b32 s10, s3, -4
	s_cmp_gt_i32 s12, -1
	v_cmp_lt_i64_e32 vcc, s[12:13], v[2:3]
	s_cselect_b64 s[4:5], -1, 0
	s_and_b64 s[4:5], s[4:5], vcc
	s_and_b64 vcc, exec, s[4:5]
	v_cmp_gt_i32_e64 s[4:5], s20, v0
	s_cbranch_vccnz .LBB415_5
; %bb.1:
	s_and_saveexec_b64 s[6:7], s[4:5]
	s_cbranch_execz .LBB415_4
; %bb.2:
	s_load_dword s3, s[0:1], 0x3c
	v_mov_b32_e32 v1, 0
	s_mov_b32 s5, 0
	v_lshlrev_b32_e32 v4, 1, v0
	s_mov_b64 s[14:15], 0
	s_waitcnt lgkmcnt(0)
	s_and_b32 s4, s3, 0xffff
	s_lshl_b32 s3, s4, 1
	s_mov_b32 s11, 0x20000
	v_mov_b64_e32 v[2:3], v[0:1]
.LBB415_3:                              ; =>This Inner Loop Header: Depth=1
	v_lshl_add_u64 v[2:3], v[2:3], 0, s[4:5]
	v_cmp_le_i64_e32 vcc, s[20:21], v[2:3]
	buffer_store_short v1, v4, s[8:11], 0 offen
	s_or_b64 s[14:15], vcc, s[14:15]
	v_add_u32_e32 v4, s3, v4
	s_andn2_b64 exec, exec, s[14:15]
	s_cbranch_execnz .LBB415_3
.LBB415_4:
	s_or_b64 exec, exec, s[6:7]
	s_mov_b64 s[6:7], 0
.LBB415_5:
	s_andn2_b64 vcc, exec, s[6:7]
	s_cbranch_vccnz .LBB415_13
; %bb.6:
	v_cmp_gt_i32_e32 vcc, s20, v0
	s_and_saveexec_b64 s[4:5], vcc
	s_cbranch_execz .LBB415_13
; %bb.7:
	s_load_dwordx2 s[14:15], s[0:1], 0x8
	s_load_dwordx2 s[4:5], s[0:1], 0x18
	s_mul_hi_i32 s13, s20, s12
	s_mul_i32 s12, s20, s12
	s_lshl_b32 s6, s20, 2
	s_lshl_b64 s[12:13], s[12:13], 3
	s_waitcnt lgkmcnt(0)
	s_add_u32 s4, s4, s12
	s_load_dword s18, s[0:1], 0x3c
	s_addc_u32 s1, s5, s13
	s_lshl_b64 s[16:17], s[20:21], 2
	s_add_u32 s0, s4, s16
	s_addc_u32 s3, s1, s17
	s_and_b32 s5, s1, 0xffff
	s_and_b32 s1, s3, 0xffff
	s_mul_i32 s3, s2, s21
	s_mul_hi_u32 s12, s2, s20
	s_add_i32 s3, s12, s3
	s_mul_i32 s2, s2, s20
	s_lshl_b64 s[2:3], s[2:3], 3
	s_add_u32 s12, s14, s2
	s_addc_u32 s2, s15, s3
	s_add_u32 s16, s12, s16
	s_mov_b32 s11, 0x20000
	s_addc_u32 s3, s2, s17
	s_waitcnt lgkmcnt(0)
	s_and_b32 s22, s18, 0xffff
                                        ; implicit-def: $vgpr5
                                        ; implicit-def: $vgpr5
	;; [unrolled: 1-line block ×4, first 2 shown]
	s_mov_b32 s7, s11
	s_and_b32 s13, s2, 0xffff
	s_and_b32 s17, s3, 0xffff
	s_mov_b32 s23, 0
	v_mov_b32_e32 v1, 0
	v_lshlrev_b32_e32 v2, 1, v0
	s_lshl_b32 s26, s22, 1
	v_lshlrev_b32_e32 v3, 2, v0
	s_lshl_b32 s27, s22, 2
	s_mov_b64 s[24:25], 0
	s_mov_b32 s19, s11
	s_mov_b32 s18, s6
	;; [unrolled: 1-line block ×13, first 2 shown]
	v_mov_b32_e32 v4, 0x3ba10414
	s_brev_b32 s38, -2
	v_mov_b32_e32 v5, 0xb9c68948
	v_mov_b32_e32 v6, 0x7f800000
	s_branch .LBB415_9
.LBB415_8:                              ;   in Loop: Header=BB415_9 Depth=1
	s_or_b64 exec, exec, s[2:3]
	s_waitcnt vmcnt(0)
	v_add_f32_e32 v7, v7, v8
	v_mul_f32_e32 v8, 0.5, v9
	v_bfi_b32 v9, s38, v11, v10
	v_add_f32_e32 v9, 1.0, v9
	v_mul_f32_e32 v8, v8, v9
	v_lshl_add_u64 v[0:1], v[0:1], 0, s[22:23]
	v_fma_mixlo_f16 v7, v7, v8, 0
	v_cmp_le_i64_e32 vcc, s[20:21], v[0:1]
	buffer_store_short v7, v2, s[8:11], 0 offen
	v_add_u32_e32 v2, s26, v2
	s_or_b64 s[24:25], vcc, s[24:25]
	v_add_u32_e32 v3, s27, v3
	s_andn2_b64 exec, exec, s[24:25]
	s_cbranch_execz .LBB415_13
.LBB415_9:                              ; =>This Inner Loop Header: Depth=1
	buffer_load_dword v9, v3, s[12:15], 0 offen
	buffer_load_dword v7, v3, s[16:19], 0 offen
	;; [unrolled: 1-line block ×3, first 2 shown]
	s_mov_b32 s2, s6
	s_mov_b32 s3, s7
	buffer_load_dword v8, v3, s[0:3], 0 offen
                                        ; implicit-def: $vgpr11
	s_waitcnt vmcnt(1)
	v_add_f32_e32 v9, v9, v10
	v_mul_f32_e32 v10, 0x3f3504f3, v9
	v_cmp_nlt_f32_e64 s[2:3], |v10|, 1.0
	s_and_saveexec_b64 s[40:41], s[2:3]
	s_xor_b64 s[2:3], exec, s[40:41]
	s_cbranch_execz .LBB415_11
; %bb.10:                               ;   in Loop: Header=BB415_9 Depth=1
	v_fma_f32 v11, |v10|, s28, v5
	v_fma_f32 v11, |v10|, v11, s29
	v_fma_f32 v11, |v10|, v11, s30
	v_fma_f32 v11, |v10|, v11, s31
	v_fma_f32 v11, |v10|, v11, s33
	v_fma_f32 v11, |v10|, v11, s34
	v_fma_f32 v11, |v10|, v11, |v10|
	v_mul_f32_e32 v12, 0xbfb8aa3b, v11
	v_fma_f32 v13, v11, s35, -v12
	v_rndne_f32_e32 v14, v12
	v_fmac_f32_e32 v13, 0xb2a5705f, v11
	v_sub_f32_e32 v12, v12, v14
	v_add_f32_e32 v12, v12, v13
	v_cvt_i32_f32_e32 v13, v14
	v_exp_f32_e32 v12, v12
	v_cmp_nlt_f32_e32 vcc, s36, v11
	v_ldexp_f32 v12, v12, v13
	s_nop 0
	v_cndmask_b32_e32 v12, 0, v12, vcc
	v_cmp_ngt_f32_e32 vcc, s37, v11
	s_nop 1
	v_cndmask_b32_e32 v11, v6, v12, vcc
	v_sub_f32_e32 v11, 1.0, v11
.LBB415_11:                             ;   in Loop: Header=BB415_9 Depth=1
	s_andn2_saveexec_b64 s[2:3], s[2:3]
	s_cbranch_execz .LBB415_8
; %bb.12:                               ;   in Loop: Header=BB415_9 Depth=1
	v_mul_f32_e32 v11, v10, v10
	v_fmamk_f32 v12, v11, 0xba1345e1, v4
	v_fmaak_f32 v12, v11, v12, 0xbcdac9b8
	v_fmaak_f32 v12, v11, v12, 0x3de703be
	v_fmaak_f32 v12, v11, v12, 0xbec09330
	v_fmaak_f32 v11, v11, v12, 0x3e0375d0
	v_fma_f32 v11, |v10|, v11, |v10|
	s_branch .LBB415_8
.LBB415_13:
	s_endpgm
	.section	.rodata,"a",@progbits
	.p2align	6, 0x0
	.amdhsa_kernel _ZN5aiter23act_and_mul_bias_kernelIfDF16_sfTnPFfRKT2_EXadL_ZNS_11gelu_kernelIfEEfRKT_EELi1EEEvPT0_PS8_PKT1_PS2_il
		.amdhsa_group_segment_fixed_size 0
		.amdhsa_private_segment_fixed_size 0
		.amdhsa_kernarg_size 304
		.amdhsa_user_sgpr_count 2
		.amdhsa_user_sgpr_dispatch_ptr 0
		.amdhsa_user_sgpr_queue_ptr 0
		.amdhsa_user_sgpr_kernarg_segment_ptr 1
		.amdhsa_user_sgpr_dispatch_id 0
		.amdhsa_user_sgpr_kernarg_preload_length 0
		.amdhsa_user_sgpr_kernarg_preload_offset 0
		.amdhsa_user_sgpr_private_segment_size 0
		.amdhsa_uses_dynamic_stack 0
		.amdhsa_enable_private_segment 0
		.amdhsa_system_sgpr_workgroup_id_x 1
		.amdhsa_system_sgpr_workgroup_id_y 0
		.amdhsa_system_sgpr_workgroup_id_z 0
		.amdhsa_system_sgpr_workgroup_info 0
		.amdhsa_system_vgpr_workitem_id 0
		.amdhsa_next_free_vgpr 15
		.amdhsa_next_free_sgpr 42
		.amdhsa_accum_offset 16
		.amdhsa_reserve_vcc 1
		.amdhsa_float_round_mode_32 0
		.amdhsa_float_round_mode_16_64 0
		.amdhsa_float_denorm_mode_32 3
		.amdhsa_float_denorm_mode_16_64 3
		.amdhsa_dx10_clamp 1
		.amdhsa_ieee_mode 1
		.amdhsa_fp16_overflow 0
		.amdhsa_tg_split 0
		.amdhsa_exception_fp_ieee_invalid_op 0
		.amdhsa_exception_fp_denorm_src 0
		.amdhsa_exception_fp_ieee_div_zero 0
		.amdhsa_exception_fp_ieee_overflow 0
		.amdhsa_exception_fp_ieee_underflow 0
		.amdhsa_exception_fp_ieee_inexact 0
		.amdhsa_exception_int_div_zero 0
	.end_amdhsa_kernel
	.section	.text._ZN5aiter23act_and_mul_bias_kernelIfDF16_sfTnPFfRKT2_EXadL_ZNS_11gelu_kernelIfEEfRKT_EELi1EEEvPT0_PS8_PKT1_PS2_il,"axG",@progbits,_ZN5aiter23act_and_mul_bias_kernelIfDF16_sfTnPFfRKT2_EXadL_ZNS_11gelu_kernelIfEEfRKT_EELi1EEEvPT0_PS8_PKT1_PS2_il,comdat
.Lfunc_end415:
	.size	_ZN5aiter23act_and_mul_bias_kernelIfDF16_sfTnPFfRKT2_EXadL_ZNS_11gelu_kernelIfEEfRKT_EELi1EEEvPT0_PS8_PKT1_PS2_il, .Lfunc_end415-_ZN5aiter23act_and_mul_bias_kernelIfDF16_sfTnPFfRKT2_EXadL_ZNS_11gelu_kernelIfEEfRKT_EELi1EEEvPT0_PS8_PKT1_PS2_il
                                        ; -- End function
	.section	.AMDGPU.csdata,"",@progbits
; Kernel info:
; codeLenInByte = 972
; NumSgprs: 48
; NumVgprs: 15
; NumAgprs: 0
; TotalNumVgprs: 15
; ScratchSize: 0
; MemoryBound: 0
; FloatMode: 240
; IeeeMode: 1
; LDSByteSize: 0 bytes/workgroup (compile time only)
; SGPRBlocks: 5
; VGPRBlocks: 1
; NumSGPRsForWavesPerEU: 48
; NumVGPRsForWavesPerEU: 15
; AccumOffset: 16
; Occupancy: 8
; WaveLimiterHint : 0
; COMPUTE_PGM_RSRC2:SCRATCH_EN: 0
; COMPUTE_PGM_RSRC2:USER_SGPR: 2
; COMPUTE_PGM_RSRC2:TRAP_HANDLER: 0
; COMPUTE_PGM_RSRC2:TGID_X_EN: 1
; COMPUTE_PGM_RSRC2:TGID_Y_EN: 0
; COMPUTE_PGM_RSRC2:TGID_Z_EN: 0
; COMPUTE_PGM_RSRC2:TIDIG_COMP_CNT: 0
; COMPUTE_PGM_RSRC3_GFX90A:ACCUM_OFFSET: 3
; COMPUTE_PGM_RSRC3_GFX90A:TG_SPLIT: 0
	.section	.text._ZN5aiter23act_and_mul_bias_kernelIffsfTnPFfRKT2_EXadL_ZNS_11gelu_kernelIfEEfRKT_EELi16EEEvPT0_PS8_PKT1_PS2_il,"axG",@progbits,_ZN5aiter23act_and_mul_bias_kernelIffsfTnPFfRKT2_EXadL_ZNS_11gelu_kernelIfEEfRKT_EELi16EEEvPT0_PS8_PKT1_PS2_il,comdat
	.protected	_ZN5aiter23act_and_mul_bias_kernelIffsfTnPFfRKT2_EXadL_ZNS_11gelu_kernelIfEEfRKT_EELi16EEEvPT0_PS8_PKT1_PS2_il ; -- Begin function _ZN5aiter23act_and_mul_bias_kernelIffsfTnPFfRKT2_EXadL_ZNS_11gelu_kernelIfEEfRKT_EELi16EEEvPT0_PS8_PKT1_PS2_il
	.globl	_ZN5aiter23act_and_mul_bias_kernelIffsfTnPFfRKT2_EXadL_ZNS_11gelu_kernelIfEEfRKT_EELi16EEEvPT0_PS8_PKT1_PS2_il
	.p2align	8
	.type	_ZN5aiter23act_and_mul_bias_kernelIffsfTnPFfRKT2_EXadL_ZNS_11gelu_kernelIfEEfRKT_EELi16EEEvPT0_PS8_PKT1_PS2_il,@function
_ZN5aiter23act_and_mul_bias_kernelIffsfTnPFfRKT2_EXadL_ZNS_11gelu_kernelIfEEfRKT_EELi16EEEvPT0_PS8_PKT1_PS2_il: ; @_ZN5aiter23act_and_mul_bias_kernelIffsfTnPFfRKT2_EXadL_ZNS_11gelu_kernelIfEEfRKT_EELi16EEEvPT0_PS8_PKT1_PS2_il
; %bb.0:
	s_load_dword s24, s[0:1], 0x20
	s_load_dwordx2 s[4:5], s[0:1], 0x10
	s_load_dwordx2 s[6:7], s[0:1], 0x28
	s_mov_b32 s3, 0
	s_lshl_b64 s[8:9], s[2:3], 1
	s_waitcnt lgkmcnt(0)
	s_ashr_i32 s25, s24, 31
	s_add_u32 s4, s4, s8
	s_addc_u32 s5, s5, s9
	v_mov_b32_e32 v1, 0
	global_load_ushort v1, v1, s[4:5]
	s_load_dwordx2 s[4:5], s[0:1], 0x0
	s_mul_hi_u32 s3, s24, s2
	v_mov_b64_e32 v[2:3], s[6:7]
	s_mul_i32 s7, s25, s2
	s_mul_i32 s8, s24, s2
	s_add_i32 s9, s3, s7
	s_lshl_b64 s[12:13], s[8:9], 2
	s_lshl_b32 s6, s24, 2
	s_mov_b64 s[10:11], -1
	v_lshlrev_b32_e32 v64, 4, v0
	s_waitcnt vmcnt(0)
	v_readfirstlane_b32 s3, v1
	s_sext_i32_i16 s8, s3
	s_ashr_i32 s9, s8, 31
	s_waitcnt lgkmcnt(0)
	s_add_u32 s4, s4, s12
	s_addc_u32 s3, s5, s13
	s_and_b32 s5, s3, 0xffff
	s_cmp_gt_i32 s8, -1
	v_cmp_lt_i64_e32 vcc, s[8:9], v[2:3]
	s_cselect_b64 s[12:13], -1, 0
	s_and_b64 s[12:13], s[12:13], vcc
	s_and_b64 vcc, exec, s[12:13]
	s_cbranch_vccnz .LBB416_5
; %bb.1:
	v_cmp_gt_i32_e32 vcc, s24, v64
	s_and_saveexec_b64 s[10:11], vcc
	s_cbranch_execz .LBB416_4
; %bb.2:
	s_load_dword s3, s[0:1], 0x3c
	s_mov_b32 s13, 0
	s_mov_b32 s16, s13
	;; [unrolled: 1-line block ×3, first 2 shown]
	v_mov_b32_e32 v65, 0
	v_lshlrev_b32_e32 v6, 6, v0
	s_waitcnt lgkmcnt(0)
	s_and_b32 s3, s3, 0xffff
	s_mov_b32 s18, s13
	s_mov_b32 s19, s13
	v_mov_b64_e32 v[0:1], s[16:17]
	s_lshl_b32 s12, s3, 4
	s_lshl_b32 s3, s3, 6
	s_mov_b64 s[14:15], 0
	s_mov_b32 s7, 0x20000
	v_mov_b64_e32 v[2:3], s[18:19]
	v_mov_b64_e32 v[4:5], v[64:65]
.LBB416_3:                              ; =>This Inner Loop Header: Depth=1
	v_lshl_add_u64 v[4:5], s[12:13], 0, v[4:5]
	v_cmp_le_i64_e32 vcc, s[24:25], v[4:5]
	buffer_store_dwordx4 v[0:3], v6, s[4:7], 0 offen
	buffer_store_dwordx4 v[0:3], v6, s[4:7], 16 offen
	;; [unrolled: 1-line block ×4, first 2 shown]
	s_or_b64 s[14:15], vcc, s[14:15]
	v_add_u32_e32 v6, s3, v6
	s_andn2_b64 exec, exec, s[14:15]
	s_cbranch_execnz .LBB416_3
.LBB416_4:
	s_or_b64 exec, exec, s[10:11]
	s_mov_b64 s[10:11], 0
.LBB416_5:
	s_andn2_b64 vcc, exec, s[10:11]
	s_cbranch_vccnz .LBB416_73
; %bb.6:
	v_cmp_gt_i32_e32 vcc, s24, v64
	s_and_saveexec_b64 s[10:11], vcc
	s_cbranch_execz .LBB416_73
; %bb.7:
	s_load_dwordx2 s[10:11], s[0:1], 0x18
	s_load_dwordx2 s[14:15], s[0:1], 0x8
	s_mul_hi_i32 s9, s24, s8
	s_mul_i32 s8, s24, s8
	s_lshl_b64 s[8:9], s[8:9], 3
	s_waitcnt lgkmcnt(0)
	s_add_u32 s8, s10, s8
	s_addc_u32 s3, s11, s9
	s_lshl_b64 s[10:11], s[24:25], 2
	s_add_u32 s12, s8, s10
	s_addc_u32 s13, s3, s11
	s_and_b32 s9, s3, 0xffff
	s_mul_i32 s3, s2, s25
	s_mul_hi_u32 s16, s2, s24
	s_add_i32 s3, s16, s3
	s_mul_i32 s2, s2, s24
	s_and_b32 s13, s13, 0xffff
	s_lshl_b64 s[2:3], s[2:3], 3
	s_add_u32 s16, s14, s2
	s_addc_u32 s2, s15, s3
	s_add_u32 s20, s16, s10
	s_addc_u32 s3, s2, s11
	s_and_b32 s17, s2, 0xffff
	s_and_b32 s21, s3, 0xffff
	s_mov_b32 s7, 0x20000
	s_add_u32 s0, s0, 48
	v_mov_b32_e32 v65, 0
	s_addc_u32 s1, s1, 0
	s_mov_b64 s[2:3], 0
	s_mov_b32 s11, s7
	s_mov_b32 s10, s6
	;; [unrolled: 1-line block ×14, first 2 shown]
	v_mov_b32_e32 v66, 0x3ba10414
	s_brev_b32 s38, -2
	s_mov_b32 s22, s6
	s_mov_b32 s23, s7
	v_mov_b32_e32 v67, 0xb9c68948
	v_mov_b32_e32 v68, 0x7f800000
                                        ; implicit-def: $vgpr0
                                        ; implicit-def: $vgpr0
	;; [unrolled: 1-line block ×4, first 2 shown]
	s_branch .LBB416_9
.LBB416_8:                              ;   in Loop: Header=BB416_9 Depth=1
	s_or_b64 exec, exec, s[14:15]
	v_bfi_b32 v5, s38, v8, v5
	v_mul_f32_e32 v4, 0.5, v4
	v_add_f32_e32 v5, 1.0, v5
	v_add_f32_e32 v2, v2, v6
	v_bfi_b32 v6, s38, v11, v10
	v_mul_f32_e32 v4, v4, v5
	v_add_f32_e32 v3, v3, v7
	v_mul_f32_e32 v5, 0.5, v9
	v_add_f32_e32 v6, 1.0, v6
	v_mul_f32_e32 v5, v5, v6
	;;#ASMSTART
	v_pk_mul_f32 v[2:3], v[4:5], v[2:3]
	;;#ASMEND
	s_load_dword s14, s[0:1], 0xc
	buffer_store_dwordx4 v[16:19], v69, s[4:7], 0 offen
	buffer_store_dwordx4 v[36:39], v69, s[4:7], 16 offen
	;; [unrolled: 1-line block ×4, first 2 shown]
	s_waitcnt lgkmcnt(0)
	s_and_b32 s14, s14, 0xffff
	s_lshl_b32 s26, s14, 4
	v_lshl_add_u64 v[64:65], s[26:27], 0, v[64:65]
	v_cmp_le_i64_e32 vcc, s[24:25], v[64:65]
	s_or_b64 s[2:3], vcc, s[2:3]
	s_andn2_b64 exec, exec, s[2:3]
	s_cbranch_execz .LBB416_73
.LBB416_9:                              ; =>This Inner Loop Header: Depth=1
	v_lshlrev_b32_e32 v69, 2, v64
	s_mov_b32 s14, s10
	s_mov_b32 s15, s11
	buffer_load_dwordx4 v[56:59], v69, s[16:19], 0 offen
	buffer_load_dwordx4 v[44:47], v69, s[16:19], 16 offen
	;; [unrolled: 1-line block ×16, first 2 shown]
                                        ; implicit-def: $vgpr70
	s_waitcnt vmcnt(7)
	v_add_f32_e32 v56, v56, v60
	v_mul_f32_e32 v60, 0x3f3504f3, v56
	v_cmp_nlt_f32_e64 s[14:15], |v60|, 1.0
	s_and_saveexec_b64 s[40:41], s[14:15]
	s_xor_b64 s[14:15], exec, s[40:41]
	s_cbranch_execz .LBB416_11
; %bb.10:                               ;   in Loop: Header=BB416_9 Depth=1
	v_fma_f32 v70, |v60|, s28, v67
	v_fma_f32 v70, |v60|, v70, s29
	;; [unrolled: 1-line block ×6, first 2 shown]
	v_fma_f32 v70, |v60|, v70, |v60|
	v_mul_f32_e32 v71, 0xbfb8aa3b, v70
	v_fma_f32 v72, v70, s35, -v71
	v_rndne_f32_e32 v73, v71
	v_fmac_f32_e32 v72, 0xb2a5705f, v70
	v_sub_f32_e32 v71, v71, v73
	v_add_f32_e32 v71, v71, v72
	v_cvt_i32_f32_e32 v72, v73
	v_exp_f32_e32 v71, v71
	v_cmp_nlt_f32_e32 vcc, s36, v70
	v_ldexp_f32 v71, v71, v72
	s_nop 0
	v_cndmask_b32_e32 v71, 0, v71, vcc
	v_cmp_ngt_f32_e32 vcc, s37, v70
	s_nop 1
	v_cndmask_b32_e32 v70, v68, v71, vcc
	v_sub_f32_e32 v70, 1.0, v70
.LBB416_11:                             ;   in Loop: Header=BB416_9 Depth=1
	s_andn2_saveexec_b64 s[14:15], s[14:15]
; %bb.12:                               ;   in Loop: Header=BB416_9 Depth=1
	v_mul_f32_e32 v70, v60, v60
	v_fmamk_f32 v71, v70, 0xba1345e1, v66
	v_fmaak_f32 v71, v70, v71, 0xbcdac9b8
	v_fmaak_f32 v71, v70, v71, 0x3de703be
	;; [unrolled: 1-line block ×4, first 2 shown]
	v_fma_f32 v70, |v60|, v70, |v60|
; %bb.13:                               ;   in Loop: Header=BB416_9 Depth=1
	s_or_b64 exec, exec, s[14:15]
	v_add_f32_e32 v57, v57, v61
	v_mul_f32_e32 v61, 0x3f3504f3, v57
	v_cmp_nlt_f32_e64 s[14:15], |v61|, 1.0
                                        ; implicit-def: $vgpr71
	s_and_saveexec_b64 s[40:41], s[14:15]
	s_xor_b64 s[14:15], exec, s[40:41]
	s_cbranch_execz .LBB416_15
; %bb.14:                               ;   in Loop: Header=BB416_9 Depth=1
	v_fma_f32 v71, |v61|, s28, v67
	v_fma_f32 v71, |v61|, v71, s29
	v_fma_f32 v71, |v61|, v71, s30
	v_fma_f32 v71, |v61|, v71, s31
	v_fma_f32 v71, |v61|, v71, s33
	v_fma_f32 v71, |v61|, v71, s34
	v_fma_f32 v71, |v61|, v71, |v61|
	v_mul_f32_e32 v72, 0xbfb8aa3b, v71
	v_fma_f32 v73, v71, s35, -v72
	v_rndne_f32_e32 v74, v72
	v_fmac_f32_e32 v73, 0xb2a5705f, v71
	v_sub_f32_e32 v72, v72, v74
	v_add_f32_e32 v72, v72, v73
	v_cvt_i32_f32_e32 v73, v74
	v_exp_f32_e32 v72, v72
	v_cmp_nlt_f32_e32 vcc, s36, v71
	v_ldexp_f32 v72, v72, v73
	s_nop 0
	v_cndmask_b32_e32 v72, 0, v72, vcc
	v_cmp_ngt_f32_e32 vcc, s37, v71
	s_nop 1
	v_cndmask_b32_e32 v71, v68, v72, vcc
	v_sub_f32_e32 v71, 1.0, v71
.LBB416_15:                             ;   in Loop: Header=BB416_9 Depth=1
	s_andn2_saveexec_b64 s[14:15], s[14:15]
; %bb.16:                               ;   in Loop: Header=BB416_9 Depth=1
	v_mul_f32_e32 v71, v61, v61
	v_fmamk_f32 v72, v71, 0xba1345e1, v66
	v_fmaak_f32 v72, v71, v72, 0xbcdac9b8
	v_fmaak_f32 v72, v71, v72, 0x3de703be
	;; [unrolled: 1-line block ×4, first 2 shown]
	v_fma_f32 v71, |v61|, v71, |v61|
; %bb.17:                               ;   in Loop: Header=BB416_9 Depth=1
	s_or_b64 exec, exec, s[14:15]
	s_waitcnt vmcnt(3)
	v_add_f32_e32 v17, v17, v53
	v_bfi_b32 v53, s38, v71, v61
	v_add_f32_e32 v16, v16, v52
	v_mul_f32_e32 v52, 0.5, v57
	v_add_f32_e32 v53, 1.0, v53
	v_bfi_b32 v60, s38, v70, v60
	v_mul_f32_e32 v57, v52, v53
	v_add_f32_e32 v52, v58, v62
	v_mul_f32_e32 v56, 0.5, v56
	v_add_f32_e32 v60, 1.0, v60
	v_mul_f32_e32 v53, 0x3f3504f3, v52
	v_mul_f32_e32 v56, v56, v60
	v_cmp_nlt_f32_e64 s[14:15], |v53|, 1.0
	;;#ASMSTART
	v_pk_mul_f32 v[16:17], v[56:57], v[16:17]
	;;#ASMEND
                                        ; implicit-def: $vgpr56
	s_and_saveexec_b64 s[40:41], s[14:15]
	s_xor_b64 s[14:15], exec, s[40:41]
	s_cbranch_execz .LBB416_19
; %bb.18:                               ;   in Loop: Header=BB416_9 Depth=1
	v_fma_f32 v56, |v53|, s28, v67
	v_fma_f32 v56, |v53|, v56, s29
	;; [unrolled: 1-line block ×6, first 2 shown]
	v_fma_f32 v56, |v53|, v56, |v53|
	v_mul_f32_e32 v57, 0xbfb8aa3b, v56
	v_fma_f32 v58, v56, s35, -v57
	v_rndne_f32_e32 v60, v57
	v_fmac_f32_e32 v58, 0xb2a5705f, v56
	v_sub_f32_e32 v57, v57, v60
	v_add_f32_e32 v57, v57, v58
	v_cvt_i32_f32_e32 v58, v60
	v_exp_f32_e32 v57, v57
	v_cmp_nlt_f32_e32 vcc, s36, v56
	v_ldexp_f32 v57, v57, v58
	s_nop 0
	v_cndmask_b32_e32 v57, 0, v57, vcc
	v_cmp_ngt_f32_e32 vcc, s37, v56
	s_nop 1
	v_cndmask_b32_e32 v56, v68, v57, vcc
	v_sub_f32_e32 v56, 1.0, v56
.LBB416_19:                             ;   in Loop: Header=BB416_9 Depth=1
	s_andn2_saveexec_b64 s[14:15], s[14:15]
; %bb.20:                               ;   in Loop: Header=BB416_9 Depth=1
	v_mul_f32_e32 v56, v53, v53
	v_fmamk_f32 v57, v56, 0xba1345e1, v66
	v_fmaak_f32 v57, v56, v57, 0xbcdac9b8
	v_fmaak_f32 v57, v56, v57, 0x3de703be
	;; [unrolled: 1-line block ×4, first 2 shown]
	v_fma_f32 v56, |v53|, v56, |v53|
; %bb.21:                               ;   in Loop: Header=BB416_9 Depth=1
	s_or_b64 exec, exec, s[14:15]
	v_add_f32_e32 v57, v59, v63
	v_mul_f32_e32 v58, 0x3f3504f3, v57
	v_cmp_nlt_f32_e64 s[14:15], |v58|, 1.0
                                        ; implicit-def: $vgpr59
	s_and_saveexec_b64 s[40:41], s[14:15]
	s_xor_b64 s[14:15], exec, s[40:41]
	s_cbranch_execz .LBB416_23
; %bb.22:                               ;   in Loop: Header=BB416_9 Depth=1
	v_fma_f32 v59, |v58|, s28, v67
	v_fma_f32 v59, |v58|, v59, s29
	;; [unrolled: 1-line block ×6, first 2 shown]
	v_fma_f32 v59, |v58|, v59, |v58|
	v_mul_f32_e32 v60, 0xbfb8aa3b, v59
	v_fma_f32 v61, v59, s35, -v60
	v_rndne_f32_e32 v62, v60
	v_fmac_f32_e32 v61, 0xb2a5705f, v59
	v_sub_f32_e32 v60, v60, v62
	v_add_f32_e32 v60, v60, v61
	v_cvt_i32_f32_e32 v61, v62
	v_exp_f32_e32 v60, v60
	v_cmp_nlt_f32_e32 vcc, s36, v59
	v_ldexp_f32 v60, v60, v61
	s_nop 0
	v_cndmask_b32_e32 v60, 0, v60, vcc
	v_cmp_ngt_f32_e32 vcc, s37, v59
	s_nop 1
	v_cndmask_b32_e32 v59, v68, v60, vcc
	v_sub_f32_e32 v59, 1.0, v59
.LBB416_23:                             ;   in Loop: Header=BB416_9 Depth=1
	s_andn2_saveexec_b64 s[14:15], s[14:15]
; %bb.24:                               ;   in Loop: Header=BB416_9 Depth=1
	v_mul_f32_e32 v59, v58, v58
	v_fmamk_f32 v60, v59, 0xba1345e1, v66
	v_fmaak_f32 v60, v59, v60, 0xbcdac9b8
	v_fmaak_f32 v60, v59, v60, 0x3de703be
	;; [unrolled: 1-line block ×4, first 2 shown]
	v_fma_f32 v59, |v58|, v59, |v58|
; %bb.25:                               ;   in Loop: Header=BB416_9 Depth=1
	s_or_b64 exec, exec, s[14:15]
	v_bfi_b32 v53, s38, v56, v53
	v_add_f32_e32 v44, v44, v48
	v_mul_f32_e32 v52, 0.5, v52
	v_add_f32_e32 v53, 1.0, v53
	v_add_f32_e32 v18, v18, v54
	v_bfi_b32 v54, s38, v59, v58
	v_mul_f32_e32 v48, 0x3f3504f3, v44
	v_mul_f32_e32 v52, v52, v53
	v_add_f32_e32 v19, v19, v55
	v_mul_f32_e32 v53, 0.5, v57
	v_add_f32_e32 v54, 1.0, v54
	v_cmp_nlt_f32_e64 s[14:15], |v48|, 1.0
	v_mul_f32_e32 v53, v53, v54
	;;#ASMSTART
	v_pk_mul_f32 v[18:19], v[52:53], v[18:19]
	;;#ASMEND
                                        ; implicit-def: $vgpr52
	s_and_saveexec_b64 s[40:41], s[14:15]
	s_xor_b64 s[14:15], exec, s[40:41]
	s_cbranch_execz .LBB416_27
; %bb.26:                               ;   in Loop: Header=BB416_9 Depth=1
	v_fma_f32 v52, |v48|, s28, v67
	v_fma_f32 v52, |v48|, v52, s29
	;; [unrolled: 1-line block ×6, first 2 shown]
	v_fma_f32 v52, |v48|, v52, |v48|
	v_mul_f32_e32 v53, 0xbfb8aa3b, v52
	v_fma_f32 v54, v52, s35, -v53
	v_rndne_f32_e32 v55, v53
	v_fmac_f32_e32 v54, 0xb2a5705f, v52
	v_sub_f32_e32 v53, v53, v55
	v_add_f32_e32 v53, v53, v54
	v_cvt_i32_f32_e32 v54, v55
	v_exp_f32_e32 v53, v53
	v_cmp_nlt_f32_e32 vcc, s36, v52
	v_ldexp_f32 v53, v53, v54
	s_nop 0
	v_cndmask_b32_e32 v53, 0, v53, vcc
	v_cmp_ngt_f32_e32 vcc, s37, v52
	s_nop 1
	v_cndmask_b32_e32 v52, v68, v53, vcc
	v_sub_f32_e32 v52, 1.0, v52
.LBB416_27:                             ;   in Loop: Header=BB416_9 Depth=1
	s_andn2_saveexec_b64 s[14:15], s[14:15]
; %bb.28:                               ;   in Loop: Header=BB416_9 Depth=1
	v_mul_f32_e32 v52, v48, v48
	v_fmamk_f32 v53, v52, 0xba1345e1, v66
	v_fmaak_f32 v53, v52, v53, 0xbcdac9b8
	v_fmaak_f32 v53, v52, v53, 0x3de703be
	;; [unrolled: 1-line block ×4, first 2 shown]
	v_fma_f32 v52, |v48|, v52, |v48|
; %bb.29:                               ;   in Loop: Header=BB416_9 Depth=1
	s_or_b64 exec, exec, s[14:15]
	v_add_f32_e32 v45, v45, v49
	v_mul_f32_e32 v49, 0x3f3504f3, v45
	v_cmp_nlt_f32_e64 s[14:15], |v49|, 1.0
                                        ; implicit-def: $vgpr53
	s_and_saveexec_b64 s[40:41], s[14:15]
	s_xor_b64 s[14:15], exec, s[40:41]
	s_cbranch_execz .LBB416_31
; %bb.30:                               ;   in Loop: Header=BB416_9 Depth=1
	v_fma_f32 v53, |v49|, s28, v67
	v_fma_f32 v53, |v49|, v53, s29
	;; [unrolled: 1-line block ×6, first 2 shown]
	v_fma_f32 v53, |v49|, v53, |v49|
	v_mul_f32_e32 v54, 0xbfb8aa3b, v53
	v_fma_f32 v55, v53, s35, -v54
	v_rndne_f32_e32 v56, v54
	v_fmac_f32_e32 v55, 0xb2a5705f, v53
	v_sub_f32_e32 v54, v54, v56
	v_add_f32_e32 v54, v54, v55
	v_cvt_i32_f32_e32 v55, v56
	v_exp_f32_e32 v54, v54
	v_cmp_nlt_f32_e32 vcc, s36, v53
	v_ldexp_f32 v54, v54, v55
	s_nop 0
	v_cndmask_b32_e32 v54, 0, v54, vcc
	v_cmp_ngt_f32_e32 vcc, s37, v53
	s_nop 1
	v_cndmask_b32_e32 v53, v68, v54, vcc
	v_sub_f32_e32 v53, 1.0, v53
.LBB416_31:                             ;   in Loop: Header=BB416_9 Depth=1
	s_andn2_saveexec_b64 s[14:15], s[14:15]
; %bb.32:                               ;   in Loop: Header=BB416_9 Depth=1
	v_mul_f32_e32 v53, v49, v49
	v_fmamk_f32 v54, v53, 0xba1345e1, v66
	v_fmaak_f32 v54, v53, v54, 0xbcdac9b8
	v_fmaak_f32 v54, v53, v54, 0x3de703be
	;; [unrolled: 1-line block ×4, first 2 shown]
	v_fma_f32 v53, |v49|, v53, |v49|
; %bb.33:                               ;   in Loop: Header=BB416_9 Depth=1
	s_or_b64 exec, exec, s[14:15]
	s_waitcnt vmcnt(2)
	v_add_f32_e32 v37, v37, v41
	v_bfi_b32 v41, s38, v53, v49
	v_add_f32_e32 v36, v36, v40
	v_mul_f32_e32 v40, 0.5, v45
	v_add_f32_e32 v41, 1.0, v41
	v_bfi_b32 v48, s38, v52, v48
	v_mul_f32_e32 v45, v40, v41
	v_add_f32_e32 v40, v46, v50
	v_mul_f32_e32 v44, 0.5, v44
	v_add_f32_e32 v48, 1.0, v48
	v_mul_f32_e32 v41, 0x3f3504f3, v40
	v_mul_f32_e32 v44, v44, v48
	v_cmp_nlt_f32_e64 s[14:15], |v41|, 1.0
	;;#ASMSTART
	v_pk_mul_f32 v[36:37], v[44:45], v[36:37]
	;;#ASMEND
                                        ; implicit-def: $vgpr44
	s_and_saveexec_b64 s[40:41], s[14:15]
	s_xor_b64 s[14:15], exec, s[40:41]
	s_cbranch_execz .LBB416_35
; %bb.34:                               ;   in Loop: Header=BB416_9 Depth=1
	v_fma_f32 v44, |v41|, s28, v67
	v_fma_f32 v44, |v41|, v44, s29
	;; [unrolled: 1-line block ×6, first 2 shown]
	v_fma_f32 v44, |v41|, v44, |v41|
	v_mul_f32_e32 v45, 0xbfb8aa3b, v44
	v_fma_f32 v46, v44, s35, -v45
	v_rndne_f32_e32 v48, v45
	v_fmac_f32_e32 v46, 0xb2a5705f, v44
	v_sub_f32_e32 v45, v45, v48
	v_add_f32_e32 v45, v45, v46
	v_cvt_i32_f32_e32 v46, v48
	v_exp_f32_e32 v45, v45
	v_cmp_nlt_f32_e32 vcc, s36, v44
	v_ldexp_f32 v45, v45, v46
	s_nop 0
	v_cndmask_b32_e32 v45, 0, v45, vcc
	v_cmp_ngt_f32_e32 vcc, s37, v44
	s_nop 1
	v_cndmask_b32_e32 v44, v68, v45, vcc
	v_sub_f32_e32 v44, 1.0, v44
.LBB416_35:                             ;   in Loop: Header=BB416_9 Depth=1
	s_andn2_saveexec_b64 s[14:15], s[14:15]
; %bb.36:                               ;   in Loop: Header=BB416_9 Depth=1
	v_mul_f32_e32 v44, v41, v41
	v_fmamk_f32 v45, v44, 0xba1345e1, v66
	v_fmaak_f32 v45, v44, v45, 0xbcdac9b8
	v_fmaak_f32 v45, v44, v45, 0x3de703be
	;; [unrolled: 1-line block ×4, first 2 shown]
	v_fma_f32 v44, |v41|, v44, |v41|
; %bb.37:                               ;   in Loop: Header=BB416_9 Depth=1
	s_or_b64 exec, exec, s[14:15]
	v_add_f32_e32 v45, v47, v51
	v_mul_f32_e32 v46, 0x3f3504f3, v45
	v_cmp_nlt_f32_e64 s[14:15], |v46|, 1.0
                                        ; implicit-def: $vgpr47
	s_and_saveexec_b64 s[40:41], s[14:15]
	s_xor_b64 s[14:15], exec, s[40:41]
	s_cbranch_execz .LBB416_39
; %bb.38:                               ;   in Loop: Header=BB416_9 Depth=1
	v_fma_f32 v47, |v46|, s28, v67
	v_fma_f32 v47, |v46|, v47, s29
	;; [unrolled: 1-line block ×6, first 2 shown]
	v_fma_f32 v47, |v46|, v47, |v46|
	v_mul_f32_e32 v48, 0xbfb8aa3b, v47
	v_fma_f32 v49, v47, s35, -v48
	v_rndne_f32_e32 v50, v48
	v_fmac_f32_e32 v49, 0xb2a5705f, v47
	v_sub_f32_e32 v48, v48, v50
	v_add_f32_e32 v48, v48, v49
	v_cvt_i32_f32_e32 v49, v50
	v_exp_f32_e32 v48, v48
	v_cmp_nlt_f32_e32 vcc, s36, v47
	v_ldexp_f32 v48, v48, v49
	s_nop 0
	v_cndmask_b32_e32 v48, 0, v48, vcc
	v_cmp_ngt_f32_e32 vcc, s37, v47
	s_nop 1
	v_cndmask_b32_e32 v47, v68, v48, vcc
	v_sub_f32_e32 v47, 1.0, v47
.LBB416_39:                             ;   in Loop: Header=BB416_9 Depth=1
	s_andn2_saveexec_b64 s[14:15], s[14:15]
; %bb.40:                               ;   in Loop: Header=BB416_9 Depth=1
	v_mul_f32_e32 v47, v46, v46
	v_fmamk_f32 v48, v47, 0xba1345e1, v66
	v_fmaak_f32 v48, v47, v48, 0xbcdac9b8
	v_fmaak_f32 v48, v47, v48, 0x3de703be
	;; [unrolled: 1-line block ×4, first 2 shown]
	v_fma_f32 v47, |v46|, v47, |v46|
; %bb.41:                               ;   in Loop: Header=BB416_9 Depth=1
	s_or_b64 exec, exec, s[14:15]
	v_bfi_b32 v41, s38, v44, v41
	v_add_f32_e32 v28, v28, v32
	v_mul_f32_e32 v40, 0.5, v40
	v_add_f32_e32 v41, 1.0, v41
	v_add_f32_e32 v38, v38, v42
	v_bfi_b32 v42, s38, v47, v46
	v_mul_f32_e32 v32, 0x3f3504f3, v28
	v_mul_f32_e32 v40, v40, v41
	v_add_f32_e32 v39, v39, v43
	v_mul_f32_e32 v41, 0.5, v45
	v_add_f32_e32 v42, 1.0, v42
	v_cmp_nlt_f32_e64 s[14:15], |v32|, 1.0
	v_mul_f32_e32 v41, v41, v42
	;;#ASMSTART
	v_pk_mul_f32 v[38:39], v[40:41], v[38:39]
	;;#ASMEND
                                        ; implicit-def: $vgpr40
	s_and_saveexec_b64 s[40:41], s[14:15]
	s_xor_b64 s[14:15], exec, s[40:41]
	s_cbranch_execz .LBB416_43
; %bb.42:                               ;   in Loop: Header=BB416_9 Depth=1
	v_fma_f32 v40, |v32|, s28, v67
	v_fma_f32 v40, |v32|, v40, s29
	;; [unrolled: 1-line block ×6, first 2 shown]
	v_fma_f32 v40, |v32|, v40, |v32|
	v_mul_f32_e32 v41, 0xbfb8aa3b, v40
	v_fma_f32 v42, v40, s35, -v41
	v_rndne_f32_e32 v43, v41
	v_fmac_f32_e32 v42, 0xb2a5705f, v40
	v_sub_f32_e32 v41, v41, v43
	v_add_f32_e32 v41, v41, v42
	v_cvt_i32_f32_e32 v42, v43
	v_exp_f32_e32 v41, v41
	v_cmp_nlt_f32_e32 vcc, s36, v40
	v_ldexp_f32 v41, v41, v42
	s_nop 0
	v_cndmask_b32_e32 v41, 0, v41, vcc
	v_cmp_ngt_f32_e32 vcc, s37, v40
	s_nop 1
	v_cndmask_b32_e32 v40, v68, v41, vcc
	v_sub_f32_e32 v40, 1.0, v40
.LBB416_43:                             ;   in Loop: Header=BB416_9 Depth=1
	s_andn2_saveexec_b64 s[14:15], s[14:15]
; %bb.44:                               ;   in Loop: Header=BB416_9 Depth=1
	v_mul_f32_e32 v40, v32, v32
	v_fmamk_f32 v41, v40, 0xba1345e1, v66
	v_fmaak_f32 v41, v40, v41, 0xbcdac9b8
	v_fmaak_f32 v41, v40, v41, 0x3de703be
	;; [unrolled: 1-line block ×4, first 2 shown]
	v_fma_f32 v40, |v32|, v40, |v32|
; %bb.45:                               ;   in Loop: Header=BB416_9 Depth=1
	s_or_b64 exec, exec, s[14:15]
	v_add_f32_e32 v29, v29, v33
	v_mul_f32_e32 v33, 0x3f3504f3, v29
	v_cmp_nlt_f32_e64 s[14:15], |v33|, 1.0
                                        ; implicit-def: $vgpr41
	s_and_saveexec_b64 s[40:41], s[14:15]
	s_xor_b64 s[14:15], exec, s[40:41]
	s_cbranch_execz .LBB416_47
; %bb.46:                               ;   in Loop: Header=BB416_9 Depth=1
	v_fma_f32 v41, |v33|, s28, v67
	v_fma_f32 v41, |v33|, v41, s29
	;; [unrolled: 1-line block ×6, first 2 shown]
	v_fma_f32 v41, |v33|, v41, |v33|
	v_mul_f32_e32 v42, 0xbfb8aa3b, v41
	v_fma_f32 v43, v41, s35, -v42
	v_rndne_f32_e32 v44, v42
	v_fmac_f32_e32 v43, 0xb2a5705f, v41
	v_sub_f32_e32 v42, v42, v44
	v_add_f32_e32 v42, v42, v43
	v_cvt_i32_f32_e32 v43, v44
	v_exp_f32_e32 v42, v42
	v_cmp_nlt_f32_e32 vcc, s36, v41
	v_ldexp_f32 v42, v42, v43
	s_nop 0
	v_cndmask_b32_e32 v42, 0, v42, vcc
	v_cmp_ngt_f32_e32 vcc, s37, v41
	s_nop 1
	v_cndmask_b32_e32 v41, v68, v42, vcc
	v_sub_f32_e32 v41, 1.0, v41
.LBB416_47:                             ;   in Loop: Header=BB416_9 Depth=1
	s_andn2_saveexec_b64 s[14:15], s[14:15]
; %bb.48:                               ;   in Loop: Header=BB416_9 Depth=1
	v_mul_f32_e32 v41, v33, v33
	v_fmamk_f32 v42, v41, 0xba1345e1, v66
	v_fmaak_f32 v42, v41, v42, 0xbcdac9b8
	v_fmaak_f32 v42, v41, v42, 0x3de703be
	;; [unrolled: 1-line block ×4, first 2 shown]
	v_fma_f32 v41, |v33|, v41, |v33|
; %bb.49:                               ;   in Loop: Header=BB416_9 Depth=1
	s_or_b64 exec, exec, s[14:15]
	s_waitcnt vmcnt(1)
	v_add_f32_e32 v21, v21, v25
	v_bfi_b32 v25, s38, v41, v33
	v_add_f32_e32 v20, v20, v24
	v_mul_f32_e32 v24, 0.5, v29
	v_add_f32_e32 v25, 1.0, v25
	v_bfi_b32 v32, s38, v40, v32
	v_mul_f32_e32 v29, v24, v25
	v_add_f32_e32 v24, v30, v34
	v_mul_f32_e32 v28, 0.5, v28
	v_add_f32_e32 v32, 1.0, v32
	v_mul_f32_e32 v25, 0x3f3504f3, v24
	v_mul_f32_e32 v28, v28, v32
	v_cmp_nlt_f32_e64 s[14:15], |v25|, 1.0
	;;#ASMSTART
	v_pk_mul_f32 v[20:21], v[28:29], v[20:21]
	;;#ASMEND
                                        ; implicit-def: $vgpr28
	s_and_saveexec_b64 s[40:41], s[14:15]
	s_xor_b64 s[14:15], exec, s[40:41]
	s_cbranch_execz .LBB416_51
; %bb.50:                               ;   in Loop: Header=BB416_9 Depth=1
	v_fma_f32 v28, |v25|, s28, v67
	v_fma_f32 v28, |v25|, v28, s29
	;; [unrolled: 1-line block ×6, first 2 shown]
	v_fma_f32 v28, |v25|, v28, |v25|
	v_mul_f32_e32 v29, 0xbfb8aa3b, v28
	v_fma_f32 v30, v28, s35, -v29
	v_rndne_f32_e32 v32, v29
	v_fmac_f32_e32 v30, 0xb2a5705f, v28
	v_sub_f32_e32 v29, v29, v32
	v_add_f32_e32 v29, v29, v30
	v_cvt_i32_f32_e32 v30, v32
	v_exp_f32_e32 v29, v29
	v_cmp_nlt_f32_e32 vcc, s36, v28
	v_ldexp_f32 v29, v29, v30
	s_nop 0
	v_cndmask_b32_e32 v29, 0, v29, vcc
	v_cmp_ngt_f32_e32 vcc, s37, v28
	s_nop 1
	v_cndmask_b32_e32 v28, v68, v29, vcc
	v_sub_f32_e32 v28, 1.0, v28
.LBB416_51:                             ;   in Loop: Header=BB416_9 Depth=1
	s_andn2_saveexec_b64 s[14:15], s[14:15]
; %bb.52:                               ;   in Loop: Header=BB416_9 Depth=1
	v_mul_f32_e32 v28, v25, v25
	v_fmamk_f32 v29, v28, 0xba1345e1, v66
	v_fmaak_f32 v29, v28, v29, 0xbcdac9b8
	v_fmaak_f32 v29, v28, v29, 0x3de703be
	v_fmaak_f32 v29, v28, v29, 0xbec09330
	v_fmaak_f32 v28, v28, v29, 0x3e0375d0
	v_fma_f32 v28, |v25|, v28, |v25|
; %bb.53:                               ;   in Loop: Header=BB416_9 Depth=1
	s_or_b64 exec, exec, s[14:15]
	v_add_f32_e32 v29, v31, v35
	v_mul_f32_e32 v30, 0x3f3504f3, v29
	v_cmp_nlt_f32_e64 s[14:15], |v30|, 1.0
                                        ; implicit-def: $vgpr31
	s_and_saveexec_b64 s[40:41], s[14:15]
	s_xor_b64 s[14:15], exec, s[40:41]
	s_cbranch_execz .LBB416_55
; %bb.54:                               ;   in Loop: Header=BB416_9 Depth=1
	v_fma_f32 v31, |v30|, s28, v67
	v_fma_f32 v31, |v30|, v31, s29
	;; [unrolled: 1-line block ×6, first 2 shown]
	v_fma_f32 v31, |v30|, v31, |v30|
	v_mul_f32_e32 v32, 0xbfb8aa3b, v31
	v_fma_f32 v33, v31, s35, -v32
	v_rndne_f32_e32 v34, v32
	v_fmac_f32_e32 v33, 0xb2a5705f, v31
	v_sub_f32_e32 v32, v32, v34
	v_add_f32_e32 v32, v32, v33
	v_cvt_i32_f32_e32 v33, v34
	v_exp_f32_e32 v32, v32
	v_cmp_nlt_f32_e32 vcc, s36, v31
	v_ldexp_f32 v32, v32, v33
	s_nop 0
	v_cndmask_b32_e32 v32, 0, v32, vcc
	v_cmp_ngt_f32_e32 vcc, s37, v31
	s_nop 1
	v_cndmask_b32_e32 v31, v68, v32, vcc
	v_sub_f32_e32 v31, 1.0, v31
.LBB416_55:                             ;   in Loop: Header=BB416_9 Depth=1
	s_andn2_saveexec_b64 s[14:15], s[14:15]
; %bb.56:                               ;   in Loop: Header=BB416_9 Depth=1
	v_mul_f32_e32 v31, v30, v30
	v_fmamk_f32 v32, v31, 0xba1345e1, v66
	v_fmaak_f32 v32, v31, v32, 0xbcdac9b8
	v_fmaak_f32 v32, v31, v32, 0x3de703be
	;; [unrolled: 1-line block ×4, first 2 shown]
	v_fma_f32 v31, |v30|, v31, |v30|
; %bb.57:                               ;   in Loop: Header=BB416_9 Depth=1
	s_or_b64 exec, exec, s[14:15]
	v_bfi_b32 v25, s38, v28, v25
	v_add_f32_e32 v8, v8, v12
	v_mul_f32_e32 v24, 0.5, v24
	v_add_f32_e32 v25, 1.0, v25
	v_add_f32_e32 v22, v22, v26
	v_bfi_b32 v26, s38, v31, v30
	v_mul_f32_e32 v12, 0x3f3504f3, v8
	v_mul_f32_e32 v24, v24, v25
	v_add_f32_e32 v23, v23, v27
	v_mul_f32_e32 v25, 0.5, v29
	v_add_f32_e32 v26, 1.0, v26
	v_cmp_nlt_f32_e64 s[14:15], |v12|, 1.0
	v_mul_f32_e32 v25, v25, v26
	;;#ASMSTART
	v_pk_mul_f32 v[22:23], v[24:25], v[22:23]
	;;#ASMEND
                                        ; implicit-def: $vgpr24
	s_and_saveexec_b64 s[40:41], s[14:15]
	s_xor_b64 s[14:15], exec, s[40:41]
	s_cbranch_execz .LBB416_59
; %bb.58:                               ;   in Loop: Header=BB416_9 Depth=1
	v_fma_f32 v24, |v12|, s28, v67
	v_fma_f32 v24, |v12|, v24, s29
	;; [unrolled: 1-line block ×6, first 2 shown]
	v_fma_f32 v24, |v12|, v24, |v12|
	v_mul_f32_e32 v25, 0xbfb8aa3b, v24
	v_fma_f32 v26, v24, s35, -v25
	v_rndne_f32_e32 v27, v25
	v_fmac_f32_e32 v26, 0xb2a5705f, v24
	v_sub_f32_e32 v25, v25, v27
	v_add_f32_e32 v25, v25, v26
	v_cvt_i32_f32_e32 v26, v27
	v_exp_f32_e32 v25, v25
	v_cmp_nlt_f32_e32 vcc, s36, v24
	v_ldexp_f32 v25, v25, v26
	s_nop 0
	v_cndmask_b32_e32 v25, 0, v25, vcc
	v_cmp_ngt_f32_e32 vcc, s37, v24
	s_nop 1
	v_cndmask_b32_e32 v24, v68, v25, vcc
	v_sub_f32_e32 v24, 1.0, v24
.LBB416_59:                             ;   in Loop: Header=BB416_9 Depth=1
	s_andn2_saveexec_b64 s[14:15], s[14:15]
; %bb.60:                               ;   in Loop: Header=BB416_9 Depth=1
	v_mul_f32_e32 v24, v12, v12
	v_fmamk_f32 v25, v24, 0xba1345e1, v66
	v_fmaak_f32 v25, v24, v25, 0xbcdac9b8
	v_fmaak_f32 v25, v24, v25, 0x3de703be
	;; [unrolled: 1-line block ×4, first 2 shown]
	v_fma_f32 v24, |v12|, v24, |v12|
; %bb.61:                               ;   in Loop: Header=BB416_9 Depth=1
	s_or_b64 exec, exec, s[14:15]
	v_add_f32_e32 v9, v9, v13
	v_mul_f32_e32 v13, 0x3f3504f3, v9
	v_cmp_nlt_f32_e64 s[14:15], |v13|, 1.0
                                        ; implicit-def: $vgpr25
	s_and_saveexec_b64 s[40:41], s[14:15]
	s_xor_b64 s[14:15], exec, s[40:41]
	s_cbranch_execz .LBB416_63
; %bb.62:                               ;   in Loop: Header=BB416_9 Depth=1
	v_fma_f32 v25, |v13|, s28, v67
	v_fma_f32 v25, |v13|, v25, s29
	;; [unrolled: 1-line block ×6, first 2 shown]
	v_fma_f32 v25, |v13|, v25, |v13|
	v_mul_f32_e32 v26, 0xbfb8aa3b, v25
	v_fma_f32 v27, v25, s35, -v26
	v_rndne_f32_e32 v28, v26
	v_fmac_f32_e32 v27, 0xb2a5705f, v25
	v_sub_f32_e32 v26, v26, v28
	v_add_f32_e32 v26, v26, v27
	v_cvt_i32_f32_e32 v27, v28
	v_exp_f32_e32 v26, v26
	v_cmp_nlt_f32_e32 vcc, s36, v25
	v_ldexp_f32 v26, v26, v27
	s_nop 0
	v_cndmask_b32_e32 v26, 0, v26, vcc
	v_cmp_ngt_f32_e32 vcc, s37, v25
	s_nop 1
	v_cndmask_b32_e32 v25, v68, v26, vcc
	v_sub_f32_e32 v25, 1.0, v25
.LBB416_63:                             ;   in Loop: Header=BB416_9 Depth=1
	s_andn2_saveexec_b64 s[14:15], s[14:15]
; %bb.64:                               ;   in Loop: Header=BB416_9 Depth=1
	v_mul_f32_e32 v25, v13, v13
	v_fmamk_f32 v26, v25, 0xba1345e1, v66
	v_fmaak_f32 v26, v25, v26, 0xbcdac9b8
	v_fmaak_f32 v26, v25, v26, 0x3de703be
	;; [unrolled: 1-line block ×4, first 2 shown]
	v_fma_f32 v25, |v13|, v25, |v13|
; %bb.65:                               ;   in Loop: Header=BB416_9 Depth=1
	s_or_b64 exec, exec, s[14:15]
	s_waitcnt vmcnt(0)
	v_add_f32_e32 v1, v1, v5
	v_bfi_b32 v5, s38, v25, v13
	v_add_f32_e32 v0, v0, v4
	v_mul_f32_e32 v4, 0.5, v9
	v_add_f32_e32 v5, 1.0, v5
	v_bfi_b32 v12, s38, v24, v12
	v_mul_f32_e32 v9, v4, v5
	v_add_f32_e32 v4, v10, v14
	v_mul_f32_e32 v8, 0.5, v8
	v_add_f32_e32 v12, 1.0, v12
	v_mul_f32_e32 v5, 0x3f3504f3, v4
	v_mul_f32_e32 v8, v8, v12
	v_cmp_nlt_f32_e64 s[14:15], |v5|, 1.0
	;;#ASMSTART
	v_pk_mul_f32 v[0:1], v[8:9], v[0:1]
	;;#ASMEND
                                        ; implicit-def: $vgpr8
	s_and_saveexec_b64 s[40:41], s[14:15]
	s_xor_b64 s[14:15], exec, s[40:41]
	s_cbranch_execz .LBB416_67
; %bb.66:                               ;   in Loop: Header=BB416_9 Depth=1
	v_fma_f32 v8, |v5|, s28, v67
	v_fma_f32 v8, |v5|, v8, s29
	;; [unrolled: 1-line block ×6, first 2 shown]
	v_fma_f32 v8, |v5|, v8, |v5|
	v_mul_f32_e32 v9, 0xbfb8aa3b, v8
	v_fma_f32 v10, v8, s35, -v9
	v_rndne_f32_e32 v12, v9
	v_fmac_f32_e32 v10, 0xb2a5705f, v8
	v_sub_f32_e32 v9, v9, v12
	v_add_f32_e32 v9, v9, v10
	v_cvt_i32_f32_e32 v10, v12
	v_exp_f32_e32 v9, v9
	v_cmp_nlt_f32_e32 vcc, s36, v8
	v_ldexp_f32 v9, v9, v10
	s_nop 0
	v_cndmask_b32_e32 v9, 0, v9, vcc
	v_cmp_ngt_f32_e32 vcc, s37, v8
	s_nop 1
	v_cndmask_b32_e32 v8, v68, v9, vcc
	v_sub_f32_e32 v8, 1.0, v8
.LBB416_67:                             ;   in Loop: Header=BB416_9 Depth=1
	s_andn2_saveexec_b64 s[14:15], s[14:15]
; %bb.68:                               ;   in Loop: Header=BB416_9 Depth=1
	v_mul_f32_e32 v8, v5, v5
	v_fmamk_f32 v9, v8, 0xba1345e1, v66
	v_fmaak_f32 v9, v8, v9, 0xbcdac9b8
	v_fmaak_f32 v9, v8, v9, 0x3de703be
	;; [unrolled: 1-line block ×4, first 2 shown]
	v_fma_f32 v8, |v5|, v8, |v5|
; %bb.69:                               ;   in Loop: Header=BB416_9 Depth=1
	s_or_b64 exec, exec, s[14:15]
	v_add_f32_e32 v9, v11, v15
	v_mul_f32_e32 v10, 0x3f3504f3, v9
	v_cmp_nlt_f32_e64 s[14:15], |v10|, 1.0
                                        ; implicit-def: $vgpr11
	s_and_saveexec_b64 s[40:41], s[14:15]
	s_xor_b64 s[14:15], exec, s[40:41]
	s_cbranch_execz .LBB416_71
; %bb.70:                               ;   in Loop: Header=BB416_9 Depth=1
	v_fma_f32 v11, |v10|, s28, v67
	v_fma_f32 v11, |v10|, v11, s29
	;; [unrolled: 1-line block ×6, first 2 shown]
	v_fma_f32 v11, |v10|, v11, |v10|
	v_mul_f32_e32 v12, 0xbfb8aa3b, v11
	v_fma_f32 v13, v11, s35, -v12
	v_rndne_f32_e32 v14, v12
	v_fmac_f32_e32 v13, 0xb2a5705f, v11
	v_sub_f32_e32 v12, v12, v14
	v_add_f32_e32 v12, v12, v13
	v_cvt_i32_f32_e32 v13, v14
	v_exp_f32_e32 v12, v12
	v_cmp_nlt_f32_e32 vcc, s36, v11
	v_ldexp_f32 v12, v12, v13
	s_nop 0
	v_cndmask_b32_e32 v12, 0, v12, vcc
	v_cmp_ngt_f32_e32 vcc, s37, v11
	s_nop 1
	v_cndmask_b32_e32 v11, v68, v12, vcc
	v_sub_f32_e32 v11, 1.0, v11
.LBB416_71:                             ;   in Loop: Header=BB416_9 Depth=1
	s_andn2_saveexec_b64 s[14:15], s[14:15]
	s_cbranch_execz .LBB416_8
; %bb.72:                               ;   in Loop: Header=BB416_9 Depth=1
	v_mul_f32_e32 v11, v10, v10
	v_fmamk_f32 v12, v11, 0xba1345e1, v66
	v_fmaak_f32 v12, v11, v12, 0xbcdac9b8
	v_fmaak_f32 v12, v11, v12, 0x3de703be
	;; [unrolled: 1-line block ×4, first 2 shown]
	v_fma_f32 v11, |v10|, v11, |v10|
	s_branch .LBB416_8
.LBB416_73:
	s_endpgm
	.section	.rodata,"a",@progbits
	.p2align	6, 0x0
	.amdhsa_kernel _ZN5aiter23act_and_mul_bias_kernelIffsfTnPFfRKT2_EXadL_ZNS_11gelu_kernelIfEEfRKT_EELi16EEEvPT0_PS8_PKT1_PS2_il
		.amdhsa_group_segment_fixed_size 0
		.amdhsa_private_segment_fixed_size 0
		.amdhsa_kernarg_size 304
		.amdhsa_user_sgpr_count 2
		.amdhsa_user_sgpr_dispatch_ptr 0
		.amdhsa_user_sgpr_queue_ptr 0
		.amdhsa_user_sgpr_kernarg_segment_ptr 1
		.amdhsa_user_sgpr_dispatch_id 0
		.amdhsa_user_sgpr_kernarg_preload_length 0
		.amdhsa_user_sgpr_kernarg_preload_offset 0
		.amdhsa_user_sgpr_private_segment_size 0
		.amdhsa_uses_dynamic_stack 0
		.amdhsa_enable_private_segment 0
		.amdhsa_system_sgpr_workgroup_id_x 1
		.amdhsa_system_sgpr_workgroup_id_y 0
		.amdhsa_system_sgpr_workgroup_id_z 0
		.amdhsa_system_sgpr_workgroup_info 0
		.amdhsa_system_vgpr_workitem_id 0
		.amdhsa_next_free_vgpr 75
		.amdhsa_next_free_sgpr 42
		.amdhsa_accum_offset 76
		.amdhsa_reserve_vcc 1
		.amdhsa_float_round_mode_32 0
		.amdhsa_float_round_mode_16_64 0
		.amdhsa_float_denorm_mode_32 3
		.amdhsa_float_denorm_mode_16_64 3
		.amdhsa_dx10_clamp 1
		.amdhsa_ieee_mode 1
		.amdhsa_fp16_overflow 0
		.amdhsa_tg_split 0
		.amdhsa_exception_fp_ieee_invalid_op 0
		.amdhsa_exception_fp_denorm_src 0
		.amdhsa_exception_fp_ieee_div_zero 0
		.amdhsa_exception_fp_ieee_overflow 0
		.amdhsa_exception_fp_ieee_underflow 0
		.amdhsa_exception_fp_ieee_inexact 0
		.amdhsa_exception_int_div_zero 0
	.end_amdhsa_kernel
	.section	.text._ZN5aiter23act_and_mul_bias_kernelIffsfTnPFfRKT2_EXadL_ZNS_11gelu_kernelIfEEfRKT_EELi16EEEvPT0_PS8_PKT1_PS2_il,"axG",@progbits,_ZN5aiter23act_and_mul_bias_kernelIffsfTnPFfRKT2_EXadL_ZNS_11gelu_kernelIfEEfRKT_EELi16EEEvPT0_PS8_PKT1_PS2_il,comdat
.Lfunc_end416:
	.size	_ZN5aiter23act_and_mul_bias_kernelIffsfTnPFfRKT2_EXadL_ZNS_11gelu_kernelIfEEfRKT_EELi16EEEvPT0_PS8_PKT1_PS2_il, .Lfunc_end416-_ZN5aiter23act_and_mul_bias_kernelIffsfTnPFfRKT2_EXadL_ZNS_11gelu_kernelIfEEfRKT_EELi16EEEvPT0_PS8_PKT1_PS2_il
                                        ; -- End function
	.section	.AMDGPU.csdata,"",@progbits
; Kernel info:
; codeLenInByte = 4968
; NumSgprs: 48
; NumVgprs: 75
; NumAgprs: 0
; TotalNumVgprs: 75
; ScratchSize: 0
; MemoryBound: 0
; FloatMode: 240
; IeeeMode: 1
; LDSByteSize: 0 bytes/workgroup (compile time only)
; SGPRBlocks: 5
; VGPRBlocks: 9
; NumSGPRsForWavesPerEU: 48
; NumVGPRsForWavesPerEU: 75
; AccumOffset: 76
; Occupancy: 6
; WaveLimiterHint : 0
; COMPUTE_PGM_RSRC2:SCRATCH_EN: 0
; COMPUTE_PGM_RSRC2:USER_SGPR: 2
; COMPUTE_PGM_RSRC2:TRAP_HANDLER: 0
; COMPUTE_PGM_RSRC2:TGID_X_EN: 1
; COMPUTE_PGM_RSRC2:TGID_Y_EN: 0
; COMPUTE_PGM_RSRC2:TGID_Z_EN: 0
; COMPUTE_PGM_RSRC2:TIDIG_COMP_CNT: 0
; COMPUTE_PGM_RSRC3_GFX90A:ACCUM_OFFSET: 18
; COMPUTE_PGM_RSRC3_GFX90A:TG_SPLIT: 0
	.section	.text._ZN5aiter23act_and_mul_bias_kernelIffsfTnPFfRKT2_EXadL_ZNS_11gelu_kernelIfEEfRKT_EELi8EEEvPT0_PS8_PKT1_PS2_il,"axG",@progbits,_ZN5aiter23act_and_mul_bias_kernelIffsfTnPFfRKT2_EXadL_ZNS_11gelu_kernelIfEEfRKT_EELi8EEEvPT0_PS8_PKT1_PS2_il,comdat
	.protected	_ZN5aiter23act_and_mul_bias_kernelIffsfTnPFfRKT2_EXadL_ZNS_11gelu_kernelIfEEfRKT_EELi8EEEvPT0_PS8_PKT1_PS2_il ; -- Begin function _ZN5aiter23act_and_mul_bias_kernelIffsfTnPFfRKT2_EXadL_ZNS_11gelu_kernelIfEEfRKT_EELi8EEEvPT0_PS8_PKT1_PS2_il
	.globl	_ZN5aiter23act_and_mul_bias_kernelIffsfTnPFfRKT2_EXadL_ZNS_11gelu_kernelIfEEfRKT_EELi8EEEvPT0_PS8_PKT1_PS2_il
	.p2align	8
	.type	_ZN5aiter23act_and_mul_bias_kernelIffsfTnPFfRKT2_EXadL_ZNS_11gelu_kernelIfEEfRKT_EELi8EEEvPT0_PS8_PKT1_PS2_il,@function
_ZN5aiter23act_and_mul_bias_kernelIffsfTnPFfRKT2_EXadL_ZNS_11gelu_kernelIfEEfRKT_EELi8EEEvPT0_PS8_PKT1_PS2_il: ; @_ZN5aiter23act_and_mul_bias_kernelIffsfTnPFfRKT2_EXadL_ZNS_11gelu_kernelIfEEfRKT_EELi8EEEvPT0_PS8_PKT1_PS2_il
; %bb.0:
	s_load_dword s24, s[0:1], 0x20
	s_load_dwordx2 s[4:5], s[0:1], 0x10
	s_load_dwordx2 s[6:7], s[0:1], 0x28
	s_mov_b32 s3, 0
	s_lshl_b64 s[8:9], s[2:3], 1
	s_waitcnt lgkmcnt(0)
	s_ashr_i32 s25, s24, 31
	s_add_u32 s4, s4, s8
	s_addc_u32 s5, s5, s9
	v_mov_b32_e32 v1, 0
	global_load_ushort v1, v1, s[4:5]
	s_load_dwordx2 s[4:5], s[0:1], 0x0
	s_mul_hi_u32 s3, s24, s2
	v_mov_b64_e32 v[2:3], s[6:7]
	s_mul_i32 s7, s25, s2
	s_mul_i32 s8, s24, s2
	s_add_i32 s9, s3, s7
	s_lshl_b64 s[12:13], s[8:9], 2
	s_lshl_b32 s6, s24, 2
	s_mov_b64 s[10:11], -1
	v_lshlrev_b32_e32 v32, 3, v0
	s_waitcnt vmcnt(0)
	v_readfirstlane_b32 s3, v1
	s_sext_i32_i16 s8, s3
	s_ashr_i32 s9, s8, 31
	s_waitcnt lgkmcnt(0)
	s_add_u32 s4, s4, s12
	s_addc_u32 s3, s5, s13
	s_and_b32 s5, s3, 0xffff
	s_cmp_gt_i32 s8, -1
	v_cmp_lt_i64_e32 vcc, s[8:9], v[2:3]
	s_cselect_b64 s[12:13], -1, 0
	s_and_b64 s[12:13], s[12:13], vcc
	s_and_b64 vcc, exec, s[12:13]
	s_cbranch_vccnz .LBB417_5
; %bb.1:
	v_cmp_gt_i32_e32 vcc, s24, v32
	s_and_saveexec_b64 s[10:11], vcc
	s_cbranch_execz .LBB417_4
; %bb.2:
	s_load_dword s3, s[0:1], 0x3c
	s_mov_b32 s13, 0
	s_mov_b32 s16, s13
	;; [unrolled: 1-line block ×3, first 2 shown]
	v_mov_b32_e32 v33, 0
	v_lshlrev_b32_e32 v6, 5, v0
	s_waitcnt lgkmcnt(0)
	s_and_b32 s3, s3, 0xffff
	s_mov_b32 s18, s13
	s_mov_b32 s19, s13
	v_mov_b64_e32 v[0:1], s[16:17]
	s_lshl_b32 s12, s3, 3
	s_lshl_b32 s3, s3, 5
	s_mov_b64 s[14:15], 0
	s_mov_b32 s7, 0x20000
	v_mov_b64_e32 v[2:3], s[18:19]
	v_mov_b64_e32 v[4:5], v[32:33]
.LBB417_3:                              ; =>This Inner Loop Header: Depth=1
	v_lshl_add_u64 v[4:5], s[12:13], 0, v[4:5]
	v_cmp_le_i64_e32 vcc, s[24:25], v[4:5]
	buffer_store_dwordx4 v[0:3], v6, s[4:7], 0 offen
	buffer_store_dwordx4 v[0:3], v6, s[4:7], 16 offen
	s_or_b64 s[14:15], vcc, s[14:15]
	v_add_u32_e32 v6, s3, v6
	s_andn2_b64 exec, exec, s[14:15]
	s_cbranch_execnz .LBB417_3
.LBB417_4:
	s_or_b64 exec, exec, s[10:11]
	s_mov_b64 s[10:11], 0
.LBB417_5:
	s_andn2_b64 vcc, exec, s[10:11]
	s_cbranch_vccnz .LBB417_41
; %bb.6:
	v_cmp_gt_i32_e32 vcc, s24, v32
	s_and_saveexec_b64 s[10:11], vcc
	s_cbranch_execz .LBB417_41
; %bb.7:
	s_load_dwordx2 s[10:11], s[0:1], 0x18
	s_load_dwordx2 s[14:15], s[0:1], 0x8
	s_mul_hi_i32 s9, s24, s8
	s_mul_i32 s8, s24, s8
	s_lshl_b64 s[8:9], s[8:9], 3
	s_waitcnt lgkmcnt(0)
	s_add_u32 s8, s10, s8
	s_addc_u32 s3, s11, s9
	s_lshl_b64 s[18:19], s[24:25], 2
	s_add_u32 s12, s8, s18
	s_addc_u32 s13, s3, s19
	s_and_b32 s9, s3, 0xffff
	s_mul_i32 s3, s2, s25
	s_mul_hi_u32 s16, s2, s24
	s_add_i32 s3, s16, s3
	s_mul_i32 s2, s2, s24
	s_and_b32 s13, s13, 0xffff
	s_lshl_b64 s[2:3], s[2:3], 3
	s_add_u32 s16, s14, s2
	s_addc_u32 s2, s15, s3
	s_add_u32 s20, s16, s18
	s_addc_u32 s3, s2, s19
	s_and_b32 s17, s2, 0xffff
	s_and_b32 s21, s3, 0xffff
	s_mov_b32 s7, 0x20000
	s_add_u32 s0, s0, 48
	s_mov_b64 s[10:11], s[6:7]
	v_mov_b32_e32 v33, 0
	s_addc_u32 s1, s1, 0
	s_mov_b64 s[2:3], 0
	s_mov_b32 s18, s6
	s_mov_b32 s19, s7
	;; [unrolled: 1-line block ×12, first 2 shown]
	v_mov_b32_e32 v34, 0x3ba10414
	s_brev_b32 s38, -2
	s_mov_b32 s22, s6
	s_mov_b32 s23, s7
	v_mov_b32_e32 v35, 0xb9c68948
	v_mov_b32_e32 v36, 0x7f800000
                                        ; implicit-def: $vgpr0
                                        ; implicit-def: $vgpr0
	;; [unrolled: 1-line block ×4, first 2 shown]
	s_branch .LBB417_9
.LBB417_8:                              ;   in Loop: Header=BB417_9 Depth=1
	s_or_b64 exec, exec, s[14:15]
	v_bfi_b32 v5, s38, v8, v5
	v_mul_f32_e32 v4, 0.5, v4
	v_add_f32_e32 v5, 1.0, v5
	v_add_f32_e32 v2, v2, v6
	v_bfi_b32 v6, s38, v11, v10
	v_mul_f32_e32 v4, v4, v5
	v_add_f32_e32 v3, v3, v7
	v_mul_f32_e32 v5, 0.5, v9
	v_add_f32_e32 v6, 1.0, v6
	v_mul_f32_e32 v5, v5, v6
	;;#ASMSTART
	v_pk_mul_f32 v[2:3], v[4:5], v[2:3]
	;;#ASMEND
	s_load_dword s14, s[0:1], 0xc
	buffer_store_dwordx4 v[16:19], v37, s[4:7], 0 offen
	buffer_store_dwordx4 v[0:3], v37, s[4:7], 16 offen
	s_waitcnt lgkmcnt(0)
	s_and_b32 s14, s14, 0xffff
	s_lshl_b32 s26, s14, 3
	v_lshl_add_u64 v[32:33], s[26:27], 0, v[32:33]
	v_cmp_le_i64_e32 vcc, s[24:25], v[32:33]
	s_or_b64 s[2:3], vcc, s[2:3]
	s_andn2_b64 exec, exec, s[2:3]
	s_cbranch_execz .LBB417_41
.LBB417_9:                              ; =>This Inner Loop Header: Depth=1
	v_lshlrev_b32_e32 v37, 2, v32
	buffer_load_dwordx4 v[24:27], v37, s[16:19], 0 offen
	buffer_load_dwordx4 v[8:11], v37, s[16:19], 16 offen
	;; [unrolled: 1-line block ×6, first 2 shown]
	s_mov_b32 s14, s10
	s_mov_b32 s15, s11
	buffer_load_dwordx4 v[20:23], v37, s[12:15], 0 offen
	buffer_load_dwordx4 v[4:7], v37, s[12:15], 16 offen
                                        ; implicit-def: $vgpr38
	s_waitcnt vmcnt(3)
	v_add_f32_e32 v24, v24, v28
	v_mul_f32_e32 v28, 0x3f3504f3, v24
	v_cmp_nlt_f32_e64 s[14:15], |v28|, 1.0
	s_and_saveexec_b64 s[40:41], s[14:15]
	s_xor_b64 s[14:15], exec, s[40:41]
	s_cbranch_execz .LBB417_11
; %bb.10:                               ;   in Loop: Header=BB417_9 Depth=1
	v_fma_f32 v38, |v28|, s28, v35
	v_fma_f32 v38, |v28|, v38, s29
	;; [unrolled: 1-line block ×6, first 2 shown]
	v_fma_f32 v38, |v28|, v38, |v28|
	v_mul_f32_e32 v39, 0xbfb8aa3b, v38
	v_fma_f32 v40, v38, s35, -v39
	v_rndne_f32_e32 v41, v39
	v_fmac_f32_e32 v40, 0xb2a5705f, v38
	v_sub_f32_e32 v39, v39, v41
	v_add_f32_e32 v39, v39, v40
	v_cvt_i32_f32_e32 v40, v41
	v_exp_f32_e32 v39, v39
	v_cmp_nlt_f32_e32 vcc, s36, v38
	v_ldexp_f32 v39, v39, v40
	s_nop 0
	v_cndmask_b32_e32 v39, 0, v39, vcc
	v_cmp_ngt_f32_e32 vcc, s37, v38
	s_nop 1
	v_cndmask_b32_e32 v38, v36, v39, vcc
	v_sub_f32_e32 v38, 1.0, v38
.LBB417_11:                             ;   in Loop: Header=BB417_9 Depth=1
	s_andn2_saveexec_b64 s[14:15], s[14:15]
; %bb.12:                               ;   in Loop: Header=BB417_9 Depth=1
	v_mul_f32_e32 v38, v28, v28
	v_fmamk_f32 v39, v38, 0xba1345e1, v34
	v_fmaak_f32 v39, v38, v39, 0xbcdac9b8
	v_fmaak_f32 v39, v38, v39, 0x3de703be
	;; [unrolled: 1-line block ×4, first 2 shown]
	v_fma_f32 v38, |v28|, v38, |v28|
; %bb.13:                               ;   in Loop: Header=BB417_9 Depth=1
	s_or_b64 exec, exec, s[14:15]
	v_add_f32_e32 v25, v25, v29
	v_mul_f32_e32 v29, 0x3f3504f3, v25
	v_cmp_nlt_f32_e64 s[14:15], |v29|, 1.0
                                        ; implicit-def: $vgpr39
	s_and_saveexec_b64 s[40:41], s[14:15]
	s_xor_b64 s[14:15], exec, s[40:41]
	s_cbranch_execz .LBB417_15
; %bb.14:                               ;   in Loop: Header=BB417_9 Depth=1
	v_fma_f32 v39, |v29|, s28, v35
	v_fma_f32 v39, |v29|, v39, s29
	;; [unrolled: 1-line block ×6, first 2 shown]
	v_fma_f32 v39, |v29|, v39, |v29|
	v_mul_f32_e32 v40, 0xbfb8aa3b, v39
	v_fma_f32 v41, v39, s35, -v40
	v_rndne_f32_e32 v42, v40
	v_fmac_f32_e32 v41, 0xb2a5705f, v39
	v_sub_f32_e32 v40, v40, v42
	v_add_f32_e32 v40, v40, v41
	v_cvt_i32_f32_e32 v41, v42
	v_exp_f32_e32 v40, v40
	v_cmp_nlt_f32_e32 vcc, s36, v39
	v_ldexp_f32 v40, v40, v41
	s_nop 0
	v_cndmask_b32_e32 v40, 0, v40, vcc
	v_cmp_ngt_f32_e32 vcc, s37, v39
	s_nop 1
	v_cndmask_b32_e32 v39, v36, v40, vcc
	v_sub_f32_e32 v39, 1.0, v39
.LBB417_15:                             ;   in Loop: Header=BB417_9 Depth=1
	s_andn2_saveexec_b64 s[14:15], s[14:15]
; %bb.16:                               ;   in Loop: Header=BB417_9 Depth=1
	v_mul_f32_e32 v39, v29, v29
	v_fmamk_f32 v40, v39, 0xba1345e1, v34
	v_fmaak_f32 v40, v39, v40, 0xbcdac9b8
	v_fmaak_f32 v40, v39, v40, 0x3de703be
	;; [unrolled: 1-line block ×4, first 2 shown]
	v_fma_f32 v39, |v29|, v39, |v29|
; %bb.17:                               ;   in Loop: Header=BB417_9 Depth=1
	s_or_b64 exec, exec, s[14:15]
	s_waitcnt vmcnt(1)
	v_add_f32_e32 v17, v17, v21
	v_bfi_b32 v21, s38, v39, v29
	v_add_f32_e32 v16, v16, v20
	v_mul_f32_e32 v20, 0.5, v25
	v_add_f32_e32 v21, 1.0, v21
	v_bfi_b32 v28, s38, v38, v28
	v_mul_f32_e32 v25, v20, v21
	v_add_f32_e32 v20, v26, v30
	v_mul_f32_e32 v24, 0.5, v24
	v_add_f32_e32 v28, 1.0, v28
	v_mul_f32_e32 v21, 0x3f3504f3, v20
	v_mul_f32_e32 v24, v24, v28
	v_cmp_nlt_f32_e64 s[14:15], |v21|, 1.0
	;;#ASMSTART
	v_pk_mul_f32 v[16:17], v[24:25], v[16:17]
	;;#ASMEND
                                        ; implicit-def: $vgpr24
	s_and_saveexec_b64 s[40:41], s[14:15]
	s_xor_b64 s[14:15], exec, s[40:41]
	s_cbranch_execz .LBB417_19
; %bb.18:                               ;   in Loop: Header=BB417_9 Depth=1
	v_fma_f32 v24, |v21|, s28, v35
	v_fma_f32 v24, |v21|, v24, s29
	;; [unrolled: 1-line block ×6, first 2 shown]
	v_fma_f32 v24, |v21|, v24, |v21|
	v_mul_f32_e32 v25, 0xbfb8aa3b, v24
	v_fma_f32 v26, v24, s35, -v25
	v_rndne_f32_e32 v28, v25
	v_fmac_f32_e32 v26, 0xb2a5705f, v24
	v_sub_f32_e32 v25, v25, v28
	v_add_f32_e32 v25, v25, v26
	v_cvt_i32_f32_e32 v26, v28
	v_exp_f32_e32 v25, v25
	v_cmp_nlt_f32_e32 vcc, s36, v24
	v_ldexp_f32 v25, v25, v26
	s_nop 0
	v_cndmask_b32_e32 v25, 0, v25, vcc
	v_cmp_ngt_f32_e32 vcc, s37, v24
	s_nop 1
	v_cndmask_b32_e32 v24, v36, v25, vcc
	v_sub_f32_e32 v24, 1.0, v24
.LBB417_19:                             ;   in Loop: Header=BB417_9 Depth=1
	s_andn2_saveexec_b64 s[14:15], s[14:15]
; %bb.20:                               ;   in Loop: Header=BB417_9 Depth=1
	v_mul_f32_e32 v24, v21, v21
	v_fmamk_f32 v25, v24, 0xba1345e1, v34
	v_fmaak_f32 v25, v24, v25, 0xbcdac9b8
	v_fmaak_f32 v25, v24, v25, 0x3de703be
	;; [unrolled: 1-line block ×4, first 2 shown]
	v_fma_f32 v24, |v21|, v24, |v21|
; %bb.21:                               ;   in Loop: Header=BB417_9 Depth=1
	s_or_b64 exec, exec, s[14:15]
	v_add_f32_e32 v25, v27, v31
	v_mul_f32_e32 v26, 0x3f3504f3, v25
	v_cmp_nlt_f32_e64 s[14:15], |v26|, 1.0
                                        ; implicit-def: $vgpr27
	s_and_saveexec_b64 s[40:41], s[14:15]
	s_xor_b64 s[14:15], exec, s[40:41]
	s_cbranch_execz .LBB417_23
; %bb.22:                               ;   in Loop: Header=BB417_9 Depth=1
	v_fma_f32 v27, |v26|, s28, v35
	v_fma_f32 v27, |v26|, v27, s29
	;; [unrolled: 1-line block ×6, first 2 shown]
	v_fma_f32 v27, |v26|, v27, |v26|
	v_mul_f32_e32 v28, 0xbfb8aa3b, v27
	v_fma_f32 v29, v27, s35, -v28
	v_rndne_f32_e32 v30, v28
	v_fmac_f32_e32 v29, 0xb2a5705f, v27
	v_sub_f32_e32 v28, v28, v30
	v_add_f32_e32 v28, v28, v29
	v_cvt_i32_f32_e32 v29, v30
	v_exp_f32_e32 v28, v28
	v_cmp_nlt_f32_e32 vcc, s36, v27
	v_ldexp_f32 v28, v28, v29
	s_nop 0
	v_cndmask_b32_e32 v28, 0, v28, vcc
	v_cmp_ngt_f32_e32 vcc, s37, v27
	s_nop 1
	v_cndmask_b32_e32 v27, v36, v28, vcc
	v_sub_f32_e32 v27, 1.0, v27
.LBB417_23:                             ;   in Loop: Header=BB417_9 Depth=1
	s_andn2_saveexec_b64 s[14:15], s[14:15]
; %bb.24:                               ;   in Loop: Header=BB417_9 Depth=1
	v_mul_f32_e32 v27, v26, v26
	v_fmamk_f32 v28, v27, 0xba1345e1, v34
	v_fmaak_f32 v28, v27, v28, 0xbcdac9b8
	v_fmaak_f32 v28, v27, v28, 0x3de703be
	;; [unrolled: 1-line block ×4, first 2 shown]
	v_fma_f32 v27, |v26|, v27, |v26|
; %bb.25:                               ;   in Loop: Header=BB417_9 Depth=1
	s_or_b64 exec, exec, s[14:15]
	v_bfi_b32 v21, s38, v24, v21
	v_add_f32_e32 v8, v8, v12
	v_mul_f32_e32 v20, 0.5, v20
	v_add_f32_e32 v21, 1.0, v21
	v_add_f32_e32 v18, v18, v22
	v_bfi_b32 v22, s38, v27, v26
	v_mul_f32_e32 v12, 0x3f3504f3, v8
	v_mul_f32_e32 v20, v20, v21
	v_add_f32_e32 v19, v19, v23
	v_mul_f32_e32 v21, 0.5, v25
	v_add_f32_e32 v22, 1.0, v22
	v_cmp_nlt_f32_e64 s[14:15], |v12|, 1.0
	v_mul_f32_e32 v21, v21, v22
	;;#ASMSTART
	v_pk_mul_f32 v[18:19], v[20:21], v[18:19]
	;;#ASMEND
                                        ; implicit-def: $vgpr20
	s_and_saveexec_b64 s[40:41], s[14:15]
	s_xor_b64 s[14:15], exec, s[40:41]
	s_cbranch_execz .LBB417_27
; %bb.26:                               ;   in Loop: Header=BB417_9 Depth=1
	v_fma_f32 v20, |v12|, s28, v35
	v_fma_f32 v20, |v12|, v20, s29
	;; [unrolled: 1-line block ×6, first 2 shown]
	v_fma_f32 v20, |v12|, v20, |v12|
	v_mul_f32_e32 v21, 0xbfb8aa3b, v20
	v_fma_f32 v22, v20, s35, -v21
	v_rndne_f32_e32 v23, v21
	v_fmac_f32_e32 v22, 0xb2a5705f, v20
	v_sub_f32_e32 v21, v21, v23
	v_add_f32_e32 v21, v21, v22
	v_cvt_i32_f32_e32 v22, v23
	v_exp_f32_e32 v21, v21
	v_cmp_nlt_f32_e32 vcc, s36, v20
	v_ldexp_f32 v21, v21, v22
	s_nop 0
	v_cndmask_b32_e32 v21, 0, v21, vcc
	v_cmp_ngt_f32_e32 vcc, s37, v20
	s_nop 1
	v_cndmask_b32_e32 v20, v36, v21, vcc
	v_sub_f32_e32 v20, 1.0, v20
.LBB417_27:                             ;   in Loop: Header=BB417_9 Depth=1
	s_andn2_saveexec_b64 s[14:15], s[14:15]
; %bb.28:                               ;   in Loop: Header=BB417_9 Depth=1
	v_mul_f32_e32 v20, v12, v12
	v_fmamk_f32 v21, v20, 0xba1345e1, v34
	v_fmaak_f32 v21, v20, v21, 0xbcdac9b8
	v_fmaak_f32 v21, v20, v21, 0x3de703be
	;; [unrolled: 1-line block ×4, first 2 shown]
	v_fma_f32 v20, |v12|, v20, |v12|
; %bb.29:                               ;   in Loop: Header=BB417_9 Depth=1
	s_or_b64 exec, exec, s[14:15]
	v_add_f32_e32 v9, v9, v13
	v_mul_f32_e32 v13, 0x3f3504f3, v9
	v_cmp_nlt_f32_e64 s[14:15], |v13|, 1.0
                                        ; implicit-def: $vgpr21
	s_and_saveexec_b64 s[40:41], s[14:15]
	s_xor_b64 s[14:15], exec, s[40:41]
	s_cbranch_execz .LBB417_31
; %bb.30:                               ;   in Loop: Header=BB417_9 Depth=1
	v_fma_f32 v21, |v13|, s28, v35
	v_fma_f32 v21, |v13|, v21, s29
	;; [unrolled: 1-line block ×6, first 2 shown]
	v_fma_f32 v21, |v13|, v21, |v13|
	v_mul_f32_e32 v22, 0xbfb8aa3b, v21
	v_fma_f32 v23, v21, s35, -v22
	v_rndne_f32_e32 v24, v22
	v_fmac_f32_e32 v23, 0xb2a5705f, v21
	v_sub_f32_e32 v22, v22, v24
	v_add_f32_e32 v22, v22, v23
	v_cvt_i32_f32_e32 v23, v24
	v_exp_f32_e32 v22, v22
	v_cmp_nlt_f32_e32 vcc, s36, v21
	v_ldexp_f32 v22, v22, v23
	s_nop 0
	v_cndmask_b32_e32 v22, 0, v22, vcc
	v_cmp_ngt_f32_e32 vcc, s37, v21
	s_nop 1
	v_cndmask_b32_e32 v21, v36, v22, vcc
	v_sub_f32_e32 v21, 1.0, v21
.LBB417_31:                             ;   in Loop: Header=BB417_9 Depth=1
	s_andn2_saveexec_b64 s[14:15], s[14:15]
; %bb.32:                               ;   in Loop: Header=BB417_9 Depth=1
	v_mul_f32_e32 v21, v13, v13
	v_fmamk_f32 v22, v21, 0xba1345e1, v34
	v_fmaak_f32 v22, v21, v22, 0xbcdac9b8
	v_fmaak_f32 v22, v21, v22, 0x3de703be
	;; [unrolled: 1-line block ×4, first 2 shown]
	v_fma_f32 v21, |v13|, v21, |v13|
; %bb.33:                               ;   in Loop: Header=BB417_9 Depth=1
	s_or_b64 exec, exec, s[14:15]
	s_waitcnt vmcnt(0)
	v_add_f32_e32 v1, v1, v5
	v_bfi_b32 v5, s38, v21, v13
	v_add_f32_e32 v0, v0, v4
	v_mul_f32_e32 v4, 0.5, v9
	v_add_f32_e32 v5, 1.0, v5
	v_bfi_b32 v12, s38, v20, v12
	v_mul_f32_e32 v9, v4, v5
	v_add_f32_e32 v4, v10, v14
	v_mul_f32_e32 v8, 0.5, v8
	v_add_f32_e32 v12, 1.0, v12
	v_mul_f32_e32 v5, 0x3f3504f3, v4
	v_mul_f32_e32 v8, v8, v12
	v_cmp_nlt_f32_e64 s[14:15], |v5|, 1.0
	;;#ASMSTART
	v_pk_mul_f32 v[0:1], v[8:9], v[0:1]
	;;#ASMEND
                                        ; implicit-def: $vgpr8
	s_and_saveexec_b64 s[40:41], s[14:15]
	s_xor_b64 s[14:15], exec, s[40:41]
	s_cbranch_execz .LBB417_35
; %bb.34:                               ;   in Loop: Header=BB417_9 Depth=1
	v_fma_f32 v8, |v5|, s28, v35
	v_fma_f32 v8, |v5|, v8, s29
	;; [unrolled: 1-line block ×6, first 2 shown]
	v_fma_f32 v8, |v5|, v8, |v5|
	v_mul_f32_e32 v9, 0xbfb8aa3b, v8
	v_fma_f32 v10, v8, s35, -v9
	v_rndne_f32_e32 v12, v9
	v_fmac_f32_e32 v10, 0xb2a5705f, v8
	v_sub_f32_e32 v9, v9, v12
	v_add_f32_e32 v9, v9, v10
	v_cvt_i32_f32_e32 v10, v12
	v_exp_f32_e32 v9, v9
	v_cmp_nlt_f32_e32 vcc, s36, v8
	v_ldexp_f32 v9, v9, v10
	s_nop 0
	v_cndmask_b32_e32 v9, 0, v9, vcc
	v_cmp_ngt_f32_e32 vcc, s37, v8
	s_nop 1
	v_cndmask_b32_e32 v8, v36, v9, vcc
	v_sub_f32_e32 v8, 1.0, v8
.LBB417_35:                             ;   in Loop: Header=BB417_9 Depth=1
	s_andn2_saveexec_b64 s[14:15], s[14:15]
; %bb.36:                               ;   in Loop: Header=BB417_9 Depth=1
	v_mul_f32_e32 v8, v5, v5
	v_fmamk_f32 v9, v8, 0xba1345e1, v34
	v_fmaak_f32 v9, v8, v9, 0xbcdac9b8
	v_fmaak_f32 v9, v8, v9, 0x3de703be
	;; [unrolled: 1-line block ×4, first 2 shown]
	v_fma_f32 v8, |v5|, v8, |v5|
; %bb.37:                               ;   in Loop: Header=BB417_9 Depth=1
	s_or_b64 exec, exec, s[14:15]
	v_add_f32_e32 v9, v11, v15
	v_mul_f32_e32 v10, 0x3f3504f3, v9
	v_cmp_nlt_f32_e64 s[14:15], |v10|, 1.0
                                        ; implicit-def: $vgpr11
	s_and_saveexec_b64 s[40:41], s[14:15]
	s_xor_b64 s[14:15], exec, s[40:41]
	s_cbranch_execz .LBB417_39
; %bb.38:                               ;   in Loop: Header=BB417_9 Depth=1
	v_fma_f32 v11, |v10|, s28, v35
	v_fma_f32 v11, |v10|, v11, s29
	;; [unrolled: 1-line block ×6, first 2 shown]
	v_fma_f32 v11, |v10|, v11, |v10|
	v_mul_f32_e32 v12, 0xbfb8aa3b, v11
	v_fma_f32 v13, v11, s35, -v12
	v_rndne_f32_e32 v14, v12
	v_fmac_f32_e32 v13, 0xb2a5705f, v11
	v_sub_f32_e32 v12, v12, v14
	v_add_f32_e32 v12, v12, v13
	v_cvt_i32_f32_e32 v13, v14
	v_exp_f32_e32 v12, v12
	v_cmp_nlt_f32_e32 vcc, s36, v11
	v_ldexp_f32 v12, v12, v13
	s_nop 0
	v_cndmask_b32_e32 v12, 0, v12, vcc
	v_cmp_ngt_f32_e32 vcc, s37, v11
	s_nop 1
	v_cndmask_b32_e32 v11, v36, v12, vcc
	v_sub_f32_e32 v11, 1.0, v11
.LBB417_39:                             ;   in Loop: Header=BB417_9 Depth=1
	s_andn2_saveexec_b64 s[14:15], s[14:15]
	s_cbranch_execz .LBB417_8
; %bb.40:                               ;   in Loop: Header=BB417_9 Depth=1
	v_mul_f32_e32 v11, v10, v10
	v_fmamk_f32 v12, v11, 0xba1345e1, v34
	v_fmaak_f32 v12, v11, v12, 0xbcdac9b8
	v_fmaak_f32 v12, v11, v12, 0x3de703be
	;; [unrolled: 1-line block ×4, first 2 shown]
	v_fma_f32 v11, |v10|, v11, |v10|
	s_branch .LBB417_8
.LBB417_41:
	s_endpgm
	.section	.rodata,"a",@progbits
	.p2align	6, 0x0
	.amdhsa_kernel _ZN5aiter23act_and_mul_bias_kernelIffsfTnPFfRKT2_EXadL_ZNS_11gelu_kernelIfEEfRKT_EELi8EEEvPT0_PS8_PKT1_PS2_il
		.amdhsa_group_segment_fixed_size 0
		.amdhsa_private_segment_fixed_size 0
		.amdhsa_kernarg_size 304
		.amdhsa_user_sgpr_count 2
		.amdhsa_user_sgpr_dispatch_ptr 0
		.amdhsa_user_sgpr_queue_ptr 0
		.amdhsa_user_sgpr_kernarg_segment_ptr 1
		.amdhsa_user_sgpr_dispatch_id 0
		.amdhsa_user_sgpr_kernarg_preload_length 0
		.amdhsa_user_sgpr_kernarg_preload_offset 0
		.amdhsa_user_sgpr_private_segment_size 0
		.amdhsa_uses_dynamic_stack 0
		.amdhsa_enable_private_segment 0
		.amdhsa_system_sgpr_workgroup_id_x 1
		.amdhsa_system_sgpr_workgroup_id_y 0
		.amdhsa_system_sgpr_workgroup_id_z 0
		.amdhsa_system_sgpr_workgroup_info 0
		.amdhsa_system_vgpr_workitem_id 0
		.amdhsa_next_free_vgpr 43
		.amdhsa_next_free_sgpr 42
		.amdhsa_accum_offset 44
		.amdhsa_reserve_vcc 1
		.amdhsa_float_round_mode_32 0
		.amdhsa_float_round_mode_16_64 0
		.amdhsa_float_denorm_mode_32 3
		.amdhsa_float_denorm_mode_16_64 3
		.amdhsa_dx10_clamp 1
		.amdhsa_ieee_mode 1
		.amdhsa_fp16_overflow 0
		.amdhsa_tg_split 0
		.amdhsa_exception_fp_ieee_invalid_op 0
		.amdhsa_exception_fp_denorm_src 0
		.amdhsa_exception_fp_ieee_div_zero 0
		.amdhsa_exception_fp_ieee_overflow 0
		.amdhsa_exception_fp_ieee_underflow 0
		.amdhsa_exception_fp_ieee_inexact 0
		.amdhsa_exception_int_div_zero 0
	.end_amdhsa_kernel
	.section	.text._ZN5aiter23act_and_mul_bias_kernelIffsfTnPFfRKT2_EXadL_ZNS_11gelu_kernelIfEEfRKT_EELi8EEEvPT0_PS8_PKT1_PS2_il,"axG",@progbits,_ZN5aiter23act_and_mul_bias_kernelIffsfTnPFfRKT2_EXadL_ZNS_11gelu_kernelIfEEfRKT_EELi8EEEvPT0_PS8_PKT1_PS2_il,comdat
.Lfunc_end417:
	.size	_ZN5aiter23act_and_mul_bias_kernelIffsfTnPFfRKT2_EXadL_ZNS_11gelu_kernelIfEEfRKT_EELi8EEEvPT0_PS8_PKT1_PS2_il, .Lfunc_end417-_ZN5aiter23act_and_mul_bias_kernelIffsfTnPFfRKT2_EXadL_ZNS_11gelu_kernelIfEEfRKT_EELi8EEEvPT0_PS8_PKT1_PS2_il
                                        ; -- End function
	.section	.AMDGPU.csdata,"",@progbits
; Kernel info:
; codeLenInByte = 2812
; NumSgprs: 48
; NumVgprs: 43
; NumAgprs: 0
; TotalNumVgprs: 43
; ScratchSize: 0
; MemoryBound: 0
; FloatMode: 240
; IeeeMode: 1
; LDSByteSize: 0 bytes/workgroup (compile time only)
; SGPRBlocks: 5
; VGPRBlocks: 5
; NumSGPRsForWavesPerEU: 48
; NumVGPRsForWavesPerEU: 43
; AccumOffset: 44
; Occupancy: 8
; WaveLimiterHint : 0
; COMPUTE_PGM_RSRC2:SCRATCH_EN: 0
; COMPUTE_PGM_RSRC2:USER_SGPR: 2
; COMPUTE_PGM_RSRC2:TRAP_HANDLER: 0
; COMPUTE_PGM_RSRC2:TGID_X_EN: 1
; COMPUTE_PGM_RSRC2:TGID_Y_EN: 0
; COMPUTE_PGM_RSRC2:TGID_Z_EN: 0
; COMPUTE_PGM_RSRC2:TIDIG_COMP_CNT: 0
; COMPUTE_PGM_RSRC3_GFX90A:ACCUM_OFFSET: 10
; COMPUTE_PGM_RSRC3_GFX90A:TG_SPLIT: 0
	.section	.text._ZN5aiter23act_and_mul_bias_kernelIffsfTnPFfRKT2_EXadL_ZNS_11gelu_kernelIfEEfRKT_EELi4EEEvPT0_PS8_PKT1_PS2_il,"axG",@progbits,_ZN5aiter23act_and_mul_bias_kernelIffsfTnPFfRKT2_EXadL_ZNS_11gelu_kernelIfEEfRKT_EELi4EEEvPT0_PS8_PKT1_PS2_il,comdat
	.protected	_ZN5aiter23act_and_mul_bias_kernelIffsfTnPFfRKT2_EXadL_ZNS_11gelu_kernelIfEEfRKT_EELi4EEEvPT0_PS8_PKT1_PS2_il ; -- Begin function _ZN5aiter23act_and_mul_bias_kernelIffsfTnPFfRKT2_EXadL_ZNS_11gelu_kernelIfEEfRKT_EELi4EEEvPT0_PS8_PKT1_PS2_il
	.globl	_ZN5aiter23act_and_mul_bias_kernelIffsfTnPFfRKT2_EXadL_ZNS_11gelu_kernelIfEEfRKT_EELi4EEEvPT0_PS8_PKT1_PS2_il
	.p2align	8
	.type	_ZN5aiter23act_and_mul_bias_kernelIffsfTnPFfRKT2_EXadL_ZNS_11gelu_kernelIfEEfRKT_EELi4EEEvPT0_PS8_PKT1_PS2_il,@function
_ZN5aiter23act_and_mul_bias_kernelIffsfTnPFfRKT2_EXadL_ZNS_11gelu_kernelIfEEfRKT_EELi4EEEvPT0_PS8_PKT1_PS2_il: ; @_ZN5aiter23act_and_mul_bias_kernelIffsfTnPFfRKT2_EXadL_ZNS_11gelu_kernelIfEEfRKT_EELi4EEEvPT0_PS8_PKT1_PS2_il
; %bb.0:
	s_load_dword s24, s[0:1], 0x20
	s_load_dwordx2 s[4:5], s[0:1], 0x10
	s_load_dwordx2 s[6:7], s[0:1], 0x28
	s_mov_b32 s3, 0
	s_lshl_b64 s[8:9], s[2:3], 1
	s_waitcnt lgkmcnt(0)
	s_ashr_i32 s25, s24, 31
	s_add_u32 s4, s4, s8
	s_addc_u32 s5, s5, s9
	v_mov_b32_e32 v1, 0
	global_load_ushort v1, v1, s[4:5]
	s_load_dwordx2 s[4:5], s[0:1], 0x0
	s_mul_hi_u32 s3, s24, s2
	v_mov_b64_e32 v[2:3], s[6:7]
	s_mul_i32 s7, s25, s2
	s_mul_i32 s8, s24, s2
	s_add_i32 s9, s3, s7
	s_lshl_b64 s[12:13], s[8:9], 2
	s_lshl_b32 s6, s24, 2
	s_mov_b64 s[10:11], -1
	v_lshlrev_b32_e32 v16, 2, v0
	s_waitcnt vmcnt(0)
	v_readfirstlane_b32 s3, v1
	s_sext_i32_i16 s8, s3
	s_ashr_i32 s9, s8, 31
	s_waitcnt lgkmcnt(0)
	s_add_u32 s4, s4, s12
	s_addc_u32 s3, s5, s13
	s_and_b32 s5, s3, 0xffff
	s_cmp_gt_i32 s8, -1
	v_cmp_lt_i64_e32 vcc, s[8:9], v[2:3]
	s_cselect_b64 s[12:13], -1, 0
	s_and_b64 s[12:13], s[12:13], vcc
	s_and_b64 vcc, exec, s[12:13]
	s_cbranch_vccnz .LBB418_5
; %bb.1:
	v_cmp_gt_i32_e32 vcc, s24, v16
	s_and_saveexec_b64 s[10:11], vcc
	s_cbranch_execz .LBB418_4
; %bb.2:
	s_load_dword s3, s[0:1], 0x3c
	v_mov_b32_e32 v17, 0
	s_mov_b32 s13, 0
	v_lshlrev_b32_e32 v6, 4, v0
	s_mov_b64 s[14:15], 0
	s_waitcnt lgkmcnt(0)
	s_and_b32 s3, s3, 0xffff
	s_lshl_b32 s12, s3, 2
	s_lshl_b32 s3, s3, 4
	s_mov_b32 s7, 0x20000
	v_mov_b32_e32 v0, v17
	v_mov_b32_e32 v1, v17
	;; [unrolled: 1-line block ×4, first 2 shown]
	v_mov_b64_e32 v[4:5], v[16:17]
.LBB418_3:                              ; =>This Inner Loop Header: Depth=1
	v_lshl_add_u64 v[4:5], s[12:13], 0, v[4:5]
	v_cmp_le_i64_e32 vcc, s[24:25], v[4:5]
	buffer_store_dwordx4 v[0:3], v6, s[4:7], 0 offen
	s_or_b64 s[14:15], vcc, s[14:15]
	v_add_u32_e32 v6, s3, v6
	s_andn2_b64 exec, exec, s[14:15]
	s_cbranch_execnz .LBB418_3
.LBB418_4:
	s_or_b64 exec, exec, s[10:11]
	s_mov_b64 s[10:11], 0
.LBB418_5:
	s_andn2_b64 vcc, exec, s[10:11]
	s_cbranch_vccnz .LBB418_25
; %bb.6:
	v_cmp_gt_i32_e32 vcc, s24, v16
	s_and_saveexec_b64 s[10:11], vcc
	s_cbranch_execz .LBB418_25
; %bb.7:
	s_load_dwordx2 s[10:11], s[0:1], 0x18
	s_load_dwordx2 s[14:15], s[0:1], 0x8
	s_mul_hi_i32 s9, s24, s8
	s_mul_i32 s8, s24, s8
	s_lshl_b64 s[8:9], s[8:9], 3
	s_waitcnt lgkmcnt(0)
	s_add_u32 s8, s10, s8
	s_addc_u32 s3, s11, s9
	s_lshl_b64 s[10:11], s[24:25], 2
	s_add_u32 s12, s8, s10
	s_addc_u32 s13, s3, s11
	s_and_b32 s9, s3, 0xffff
	s_mul_i32 s3, s2, s25
	s_mul_hi_u32 s16, s2, s24
	s_add_i32 s3, s16, s3
	s_mul_i32 s2, s2, s24
	s_and_b32 s13, s13, 0xffff
	s_lshl_b64 s[2:3], s[2:3], 3
	s_add_u32 s16, s14, s2
	s_addc_u32 s2, s15, s3
	s_add_u32 s20, s16, s10
	s_addc_u32 s3, s2, s11
	s_and_b32 s17, s2, 0xffff
	s_and_b32 s21, s3, 0xffff
	s_mov_b32 s7, 0x20000
	s_add_u32 s0, s0, 48
	v_mov_b32_e32 v17, 0
	s_addc_u32 s1, s1, 0
	s_mov_b64 s[2:3], 0
	s_mov_b32 s23, s7
	s_mov_b32 s22, s6
	;; [unrolled: 1-line block ×14, first 2 shown]
	v_mov_b32_e32 v18, 0x3ba10414
	s_brev_b32 s38, -2
	v_mov_b32_e32 v19, 0xb9c68948
	v_mov_b32_e32 v20, 0x7f800000
                                        ; implicit-def: $vgpr0
                                        ; implicit-def: $vgpr0
	;; [unrolled: 1-line block ×4, first 2 shown]
	s_branch .LBB418_9
.LBB418_8:                              ;   in Loop: Header=BB418_9 Depth=1
	s_or_b64 exec, exec, s[10:11]
	v_bfi_b32 v5, s38, v8, v5
	v_mul_f32_e32 v4, 0.5, v4
	v_add_f32_e32 v5, 1.0, v5
	v_add_f32_e32 v2, v2, v6
	v_bfi_b32 v6, s38, v11, v10
	v_mul_f32_e32 v4, v4, v5
	v_add_f32_e32 v3, v3, v7
	v_mul_f32_e32 v5, 0.5, v9
	v_add_f32_e32 v6, 1.0, v6
	v_mul_f32_e32 v5, v5, v6
	;;#ASMSTART
	v_pk_mul_f32 v[2:3], v[4:5], v[2:3]
	;;#ASMEND
	s_load_dword s10, s[0:1], 0xc
	buffer_store_dwordx4 v[0:3], v21, s[4:7], 0 offen
	s_waitcnt lgkmcnt(0)
	s_and_b32 s10, s10, 0xffff
	s_lshl_b32 s26, s10, 2
	v_lshl_add_u64 v[16:17], s[26:27], 0, v[16:17]
	v_cmp_le_i64_e32 vcc, s[24:25], v[16:17]
	s_or_b64 s[2:3], vcc, s[2:3]
	s_andn2_b64 exec, exec, s[2:3]
	s_cbranch_execz .LBB418_25
.LBB418_9:                              ; =>This Inner Loop Header: Depth=1
	v_lshlrev_b32_e32 v21, 2, v16
	s_mov_b32 s10, s22
	s_mov_b32 s11, s23
	buffer_load_dwordx4 v[8:11], v21, s[16:19], 0 offen
	buffer_load_dwordx4 v[0:3], v21, s[20:23], 0 offen
	;; [unrolled: 1-line block ×3, first 2 shown]
	s_mov_b32 s14, s22
	s_mov_b32 s15, s23
	buffer_load_dwordx4 v[4:7], v21, s[12:15], 0 offen
                                        ; implicit-def: $vgpr22
	s_waitcnt vmcnt(1)
	v_add_f32_e32 v8, v8, v12
	v_mul_f32_e32 v12, 0x3f3504f3, v8
	v_cmp_nlt_f32_e64 s[10:11], |v12|, 1.0
	s_and_saveexec_b64 s[14:15], s[10:11]
	s_xor_b64 s[10:11], exec, s[14:15]
	s_cbranch_execz .LBB418_11
; %bb.10:                               ;   in Loop: Header=BB418_9 Depth=1
	v_fma_f32 v22, |v12|, s28, v19
	v_fma_f32 v22, |v12|, v22, s29
	;; [unrolled: 1-line block ×6, first 2 shown]
	v_fma_f32 v22, |v12|, v22, |v12|
	v_mul_f32_e32 v23, 0xbfb8aa3b, v22
	v_fma_f32 v24, v22, s35, -v23
	v_rndne_f32_e32 v25, v23
	v_fmac_f32_e32 v24, 0xb2a5705f, v22
	v_sub_f32_e32 v23, v23, v25
	v_add_f32_e32 v23, v23, v24
	v_cvt_i32_f32_e32 v24, v25
	v_exp_f32_e32 v23, v23
	v_cmp_nlt_f32_e32 vcc, s36, v22
	v_ldexp_f32 v23, v23, v24
	s_nop 0
	v_cndmask_b32_e32 v23, 0, v23, vcc
	v_cmp_ngt_f32_e32 vcc, s37, v22
	s_nop 1
	v_cndmask_b32_e32 v22, v20, v23, vcc
	v_sub_f32_e32 v22, 1.0, v22
.LBB418_11:                             ;   in Loop: Header=BB418_9 Depth=1
	s_andn2_saveexec_b64 s[10:11], s[10:11]
; %bb.12:                               ;   in Loop: Header=BB418_9 Depth=1
	v_mul_f32_e32 v22, v12, v12
	v_fmamk_f32 v23, v22, 0xba1345e1, v18
	v_fmaak_f32 v23, v22, v23, 0xbcdac9b8
	v_fmaak_f32 v23, v22, v23, 0x3de703be
	;; [unrolled: 1-line block ×4, first 2 shown]
	v_fma_f32 v22, |v12|, v22, |v12|
; %bb.13:                               ;   in Loop: Header=BB418_9 Depth=1
	s_or_b64 exec, exec, s[10:11]
	v_add_f32_e32 v9, v9, v13
	v_mul_f32_e32 v13, 0x3f3504f3, v9
	v_cmp_nlt_f32_e64 s[10:11], |v13|, 1.0
                                        ; implicit-def: $vgpr23
	s_and_saveexec_b64 s[14:15], s[10:11]
	s_xor_b64 s[10:11], exec, s[14:15]
	s_cbranch_execz .LBB418_15
; %bb.14:                               ;   in Loop: Header=BB418_9 Depth=1
	v_fma_f32 v23, |v13|, s28, v19
	v_fma_f32 v23, |v13|, v23, s29
	;; [unrolled: 1-line block ×6, first 2 shown]
	v_fma_f32 v23, |v13|, v23, |v13|
	v_mul_f32_e32 v24, 0xbfb8aa3b, v23
	v_fma_f32 v25, v23, s35, -v24
	v_rndne_f32_e32 v26, v24
	v_fmac_f32_e32 v25, 0xb2a5705f, v23
	v_sub_f32_e32 v24, v24, v26
	v_add_f32_e32 v24, v24, v25
	v_cvt_i32_f32_e32 v25, v26
	v_exp_f32_e32 v24, v24
	v_cmp_nlt_f32_e32 vcc, s36, v23
	v_ldexp_f32 v24, v24, v25
	s_nop 0
	v_cndmask_b32_e32 v24, 0, v24, vcc
	v_cmp_ngt_f32_e32 vcc, s37, v23
	s_nop 1
	v_cndmask_b32_e32 v23, v20, v24, vcc
	v_sub_f32_e32 v23, 1.0, v23
.LBB418_15:                             ;   in Loop: Header=BB418_9 Depth=1
	s_andn2_saveexec_b64 s[10:11], s[10:11]
; %bb.16:                               ;   in Loop: Header=BB418_9 Depth=1
	v_mul_f32_e32 v23, v13, v13
	v_fmamk_f32 v24, v23, 0xba1345e1, v18
	v_fmaak_f32 v24, v23, v24, 0xbcdac9b8
	v_fmaak_f32 v24, v23, v24, 0x3de703be
	;; [unrolled: 1-line block ×4, first 2 shown]
	v_fma_f32 v23, |v13|, v23, |v13|
; %bb.17:                               ;   in Loop: Header=BB418_9 Depth=1
	s_or_b64 exec, exec, s[10:11]
	s_waitcnt vmcnt(0)
	v_add_f32_e32 v1, v1, v5
	v_bfi_b32 v5, s38, v23, v13
	v_add_f32_e32 v0, v0, v4
	v_mul_f32_e32 v4, 0.5, v9
	v_add_f32_e32 v5, 1.0, v5
	v_bfi_b32 v12, s38, v22, v12
	v_mul_f32_e32 v9, v4, v5
	v_add_f32_e32 v4, v10, v14
	v_mul_f32_e32 v8, 0.5, v8
	v_add_f32_e32 v12, 1.0, v12
	v_mul_f32_e32 v5, 0x3f3504f3, v4
	v_mul_f32_e32 v8, v8, v12
	v_cmp_nlt_f32_e64 s[10:11], |v5|, 1.0
	;;#ASMSTART
	v_pk_mul_f32 v[0:1], v[8:9], v[0:1]
	;;#ASMEND
                                        ; implicit-def: $vgpr8
	s_and_saveexec_b64 s[14:15], s[10:11]
	s_xor_b64 s[10:11], exec, s[14:15]
	s_cbranch_execz .LBB418_19
; %bb.18:                               ;   in Loop: Header=BB418_9 Depth=1
	v_fma_f32 v8, |v5|, s28, v19
	v_fma_f32 v8, |v5|, v8, s29
	;; [unrolled: 1-line block ×6, first 2 shown]
	v_fma_f32 v8, |v5|, v8, |v5|
	v_mul_f32_e32 v9, 0xbfb8aa3b, v8
	v_fma_f32 v10, v8, s35, -v9
	v_rndne_f32_e32 v12, v9
	v_fmac_f32_e32 v10, 0xb2a5705f, v8
	v_sub_f32_e32 v9, v9, v12
	v_add_f32_e32 v9, v9, v10
	v_cvt_i32_f32_e32 v10, v12
	v_exp_f32_e32 v9, v9
	v_cmp_nlt_f32_e32 vcc, s36, v8
	v_ldexp_f32 v9, v9, v10
	s_nop 0
	v_cndmask_b32_e32 v9, 0, v9, vcc
	v_cmp_ngt_f32_e32 vcc, s37, v8
	s_nop 1
	v_cndmask_b32_e32 v8, v20, v9, vcc
	v_sub_f32_e32 v8, 1.0, v8
.LBB418_19:                             ;   in Loop: Header=BB418_9 Depth=1
	s_andn2_saveexec_b64 s[10:11], s[10:11]
; %bb.20:                               ;   in Loop: Header=BB418_9 Depth=1
	v_mul_f32_e32 v8, v5, v5
	v_fmamk_f32 v9, v8, 0xba1345e1, v18
	v_fmaak_f32 v9, v8, v9, 0xbcdac9b8
	v_fmaak_f32 v9, v8, v9, 0x3de703be
	;; [unrolled: 1-line block ×4, first 2 shown]
	v_fma_f32 v8, |v5|, v8, |v5|
; %bb.21:                               ;   in Loop: Header=BB418_9 Depth=1
	s_or_b64 exec, exec, s[10:11]
	v_add_f32_e32 v9, v11, v15
	v_mul_f32_e32 v10, 0x3f3504f3, v9
	v_cmp_nlt_f32_e64 s[10:11], |v10|, 1.0
                                        ; implicit-def: $vgpr11
	s_and_saveexec_b64 s[14:15], s[10:11]
	s_xor_b64 s[10:11], exec, s[14:15]
	s_cbranch_execz .LBB418_23
; %bb.22:                               ;   in Loop: Header=BB418_9 Depth=1
	v_fma_f32 v11, |v10|, s28, v19
	v_fma_f32 v11, |v10|, v11, s29
	;; [unrolled: 1-line block ×6, first 2 shown]
	v_fma_f32 v11, |v10|, v11, |v10|
	v_mul_f32_e32 v12, 0xbfb8aa3b, v11
	v_fma_f32 v13, v11, s35, -v12
	v_rndne_f32_e32 v14, v12
	v_fmac_f32_e32 v13, 0xb2a5705f, v11
	v_sub_f32_e32 v12, v12, v14
	v_add_f32_e32 v12, v12, v13
	v_cvt_i32_f32_e32 v13, v14
	v_exp_f32_e32 v12, v12
	v_cmp_nlt_f32_e32 vcc, s36, v11
	v_ldexp_f32 v12, v12, v13
	s_nop 0
	v_cndmask_b32_e32 v12, 0, v12, vcc
	v_cmp_ngt_f32_e32 vcc, s37, v11
	s_nop 1
	v_cndmask_b32_e32 v11, v20, v12, vcc
	v_sub_f32_e32 v11, 1.0, v11
.LBB418_23:                             ;   in Loop: Header=BB418_9 Depth=1
	s_andn2_saveexec_b64 s[10:11], s[10:11]
	s_cbranch_execz .LBB418_8
; %bb.24:                               ;   in Loop: Header=BB418_9 Depth=1
	v_mul_f32_e32 v11, v10, v10
	v_fmamk_f32 v12, v11, 0xba1345e1, v18
	v_fmaak_f32 v12, v11, v12, 0xbcdac9b8
	v_fmaak_f32 v12, v11, v12, 0x3de703be
	;; [unrolled: 1-line block ×4, first 2 shown]
	v_fma_f32 v11, |v10|, v11, |v10|
	s_branch .LBB418_8
.LBB418_25:
	s_endpgm
	.section	.rodata,"a",@progbits
	.p2align	6, 0x0
	.amdhsa_kernel _ZN5aiter23act_and_mul_bias_kernelIffsfTnPFfRKT2_EXadL_ZNS_11gelu_kernelIfEEfRKT_EELi4EEEvPT0_PS8_PKT1_PS2_il
		.amdhsa_group_segment_fixed_size 0
		.amdhsa_private_segment_fixed_size 0
		.amdhsa_kernarg_size 304
		.amdhsa_user_sgpr_count 2
		.amdhsa_user_sgpr_dispatch_ptr 0
		.amdhsa_user_sgpr_queue_ptr 0
		.amdhsa_user_sgpr_kernarg_segment_ptr 1
		.amdhsa_user_sgpr_dispatch_id 0
		.amdhsa_user_sgpr_kernarg_preload_length 0
		.amdhsa_user_sgpr_kernarg_preload_offset 0
		.amdhsa_user_sgpr_private_segment_size 0
		.amdhsa_uses_dynamic_stack 0
		.amdhsa_enable_private_segment 0
		.amdhsa_system_sgpr_workgroup_id_x 1
		.amdhsa_system_sgpr_workgroup_id_y 0
		.amdhsa_system_sgpr_workgroup_id_z 0
		.amdhsa_system_sgpr_workgroup_info 0
		.amdhsa_system_vgpr_workitem_id 0
		.amdhsa_next_free_vgpr 27
		.amdhsa_next_free_sgpr 39
		.amdhsa_accum_offset 28
		.amdhsa_reserve_vcc 1
		.amdhsa_float_round_mode_32 0
		.amdhsa_float_round_mode_16_64 0
		.amdhsa_float_denorm_mode_32 3
		.amdhsa_float_denorm_mode_16_64 3
		.amdhsa_dx10_clamp 1
		.amdhsa_ieee_mode 1
		.amdhsa_fp16_overflow 0
		.amdhsa_tg_split 0
		.amdhsa_exception_fp_ieee_invalid_op 0
		.amdhsa_exception_fp_denorm_src 0
		.amdhsa_exception_fp_ieee_div_zero 0
		.amdhsa_exception_fp_ieee_overflow 0
		.amdhsa_exception_fp_ieee_underflow 0
		.amdhsa_exception_fp_ieee_inexact 0
		.amdhsa_exception_int_div_zero 0
	.end_amdhsa_kernel
	.section	.text._ZN5aiter23act_and_mul_bias_kernelIffsfTnPFfRKT2_EXadL_ZNS_11gelu_kernelIfEEfRKT_EELi4EEEvPT0_PS8_PKT1_PS2_il,"axG",@progbits,_ZN5aiter23act_and_mul_bias_kernelIffsfTnPFfRKT2_EXadL_ZNS_11gelu_kernelIfEEfRKT_EELi4EEEvPT0_PS8_PKT1_PS2_il,comdat
.Lfunc_end418:
	.size	_ZN5aiter23act_and_mul_bias_kernelIffsfTnPFfRKT2_EXadL_ZNS_11gelu_kernelIfEEfRKT_EELi4EEEvPT0_PS8_PKT1_PS2_il, .Lfunc_end418-_ZN5aiter23act_and_mul_bias_kernelIffsfTnPFfRKT2_EXadL_ZNS_11gelu_kernelIfEEfRKT_EELi4EEEvPT0_PS8_PKT1_PS2_il
                                        ; -- End function
	.section	.AMDGPU.csdata,"",@progbits
; Kernel info:
; codeLenInByte = 1732
; NumSgprs: 45
; NumVgprs: 27
; NumAgprs: 0
; TotalNumVgprs: 27
; ScratchSize: 0
; MemoryBound: 0
; FloatMode: 240
; IeeeMode: 1
; LDSByteSize: 0 bytes/workgroup (compile time only)
; SGPRBlocks: 5
; VGPRBlocks: 3
; NumSGPRsForWavesPerEU: 45
; NumVGPRsForWavesPerEU: 27
; AccumOffset: 28
; Occupancy: 8
; WaveLimiterHint : 0
; COMPUTE_PGM_RSRC2:SCRATCH_EN: 0
; COMPUTE_PGM_RSRC2:USER_SGPR: 2
; COMPUTE_PGM_RSRC2:TRAP_HANDLER: 0
; COMPUTE_PGM_RSRC2:TGID_X_EN: 1
; COMPUTE_PGM_RSRC2:TGID_Y_EN: 0
; COMPUTE_PGM_RSRC2:TGID_Z_EN: 0
; COMPUTE_PGM_RSRC2:TIDIG_COMP_CNT: 0
; COMPUTE_PGM_RSRC3_GFX90A:ACCUM_OFFSET: 6
; COMPUTE_PGM_RSRC3_GFX90A:TG_SPLIT: 0
	.section	.text._ZN5aiter23act_and_mul_bias_kernelIffsfTnPFfRKT2_EXadL_ZNS_11gelu_kernelIfEEfRKT_EELi2EEEvPT0_PS8_PKT1_PS2_il,"axG",@progbits,_ZN5aiter23act_and_mul_bias_kernelIffsfTnPFfRKT2_EXadL_ZNS_11gelu_kernelIfEEfRKT_EELi2EEEvPT0_PS8_PKT1_PS2_il,comdat
	.protected	_ZN5aiter23act_and_mul_bias_kernelIffsfTnPFfRKT2_EXadL_ZNS_11gelu_kernelIfEEfRKT_EELi2EEEvPT0_PS8_PKT1_PS2_il ; -- Begin function _ZN5aiter23act_and_mul_bias_kernelIffsfTnPFfRKT2_EXadL_ZNS_11gelu_kernelIfEEfRKT_EELi2EEEvPT0_PS8_PKT1_PS2_il
	.globl	_ZN5aiter23act_and_mul_bias_kernelIffsfTnPFfRKT2_EXadL_ZNS_11gelu_kernelIfEEfRKT_EELi2EEEvPT0_PS8_PKT1_PS2_il
	.p2align	8
	.type	_ZN5aiter23act_and_mul_bias_kernelIffsfTnPFfRKT2_EXadL_ZNS_11gelu_kernelIfEEfRKT_EELi2EEEvPT0_PS8_PKT1_PS2_il,@function
_ZN5aiter23act_and_mul_bias_kernelIffsfTnPFfRKT2_EXadL_ZNS_11gelu_kernelIfEEfRKT_EELi2EEEvPT0_PS8_PKT1_PS2_il: ; @_ZN5aiter23act_and_mul_bias_kernelIffsfTnPFfRKT2_EXadL_ZNS_11gelu_kernelIfEEfRKT_EELi2EEEvPT0_PS8_PKT1_PS2_il
; %bb.0:
	s_load_dword s24, s[0:1], 0x20
	s_load_dwordx2 s[4:5], s[0:1], 0x10
	s_load_dwordx2 s[6:7], s[0:1], 0x28
	s_mov_b32 s3, 0
	s_lshl_b64 s[8:9], s[2:3], 1
	s_waitcnt lgkmcnt(0)
	s_ashr_i32 s25, s24, 31
	s_add_u32 s4, s4, s8
	s_addc_u32 s5, s5, s9
	v_mov_b32_e32 v1, 0
	global_load_ushort v1, v1, s[4:5]
	s_load_dwordx2 s[4:5], s[0:1], 0x0
	s_mul_hi_u32 s3, s24, s2
	v_mov_b64_e32 v[2:3], s[6:7]
	s_mul_i32 s7, s25, s2
	s_mul_i32 s8, s24, s2
	s_add_i32 s9, s3, s7
	s_lshl_b64 s[12:13], s[8:9], 2
	s_lshl_b32 s6, s24, 2
	s_mov_b64 s[10:11], -1
	s_waitcnt vmcnt(0)
	v_readfirstlane_b32 s3, v1
	s_sext_i32_i16 s8, s3
	s_ashr_i32 s9, s8, 31
	s_waitcnt lgkmcnt(0)
	s_add_u32 s4, s4, s12
	s_addc_u32 s3, s5, s13
	s_and_b32 s5, s3, 0xffff
	s_cmp_gt_i32 s8, -1
	v_cmp_lt_i64_e32 vcc, s[8:9], v[2:3]
	s_cselect_b64 s[12:13], -1, 0
	s_and_b64 s[12:13], s[12:13], vcc
	s_and_b64 vcc, exec, s[12:13]
	v_lshlrev_b32_e32 v2, 1, v0
	s_cbranch_vccnz .LBB419_5
; %bb.1:
	v_cmp_gt_i32_e32 vcc, s24, v2
	s_and_saveexec_b64 s[10:11], vcc
	s_cbranch_execz .LBB419_4
; %bb.2:
	s_load_dword s3, s[0:1], 0x3c
	v_mov_b32_e32 v3, 0
	s_mov_b32 s13, 0
	v_lshlrev_b32_e32 v6, 3, v0
	s_mov_b64 s[14:15], 0
	s_waitcnt lgkmcnt(0)
	s_and_b32 s3, s3, 0xffff
	s_lshl_b32 s12, s3, 1
	s_lshl_b32 s3, s3, 3
	s_mov_b32 s7, 0x20000
	v_mov_b32_e32 v0, v3
	v_mov_b32_e32 v1, v3
	v_mov_b64_e32 v[4:5], v[2:3]
.LBB419_3:                              ; =>This Inner Loop Header: Depth=1
	v_lshl_add_u64 v[4:5], s[12:13], 0, v[4:5]
	v_cmp_le_i64_e32 vcc, s[24:25], v[4:5]
	buffer_store_dwordx2 v[0:1], v6, s[4:7], 0 offen
	s_or_b64 s[14:15], vcc, s[14:15]
	v_add_u32_e32 v6, s3, v6
	s_andn2_b64 exec, exec, s[14:15]
	s_cbranch_execnz .LBB419_3
.LBB419_4:
	s_or_b64 exec, exec, s[10:11]
	s_mov_b64 s[10:11], 0
.LBB419_5:
	s_andn2_b64 vcc, exec, s[10:11]
	s_cbranch_vccnz .LBB419_13
; %bb.6:
	v_cmp_gt_i32_e32 vcc, s24, v2
	s_and_saveexec_b64 s[10:11], vcc
	s_cbranch_execz .LBB419_13
; %bb.7:
	s_load_dwordx2 s[10:11], s[0:1], 0x18
	s_load_dwordx2 s[14:15], s[0:1], 0x8
	s_mul_hi_i32 s9, s24, s8
	s_mul_i32 s8, s24, s8
	s_lshl_b64 s[8:9], s[8:9], 3
	s_waitcnt lgkmcnt(0)
	s_add_u32 s8, s10, s8
	s_addc_u32 s3, s11, s9
	s_lshl_b64 s[10:11], s[24:25], 2
	s_add_u32 s12, s8, s10
	s_addc_u32 s13, s3, s11
	s_and_b32 s9, s3, 0xffff
	s_mul_i32 s3, s2, s25
	s_mul_hi_u32 s16, s2, s24
	s_add_i32 s3, s16, s3
	s_mul_i32 s2, s2, s24
	s_and_b32 s13, s13, 0xffff
	s_lshl_b64 s[2:3], s[2:3], 3
	s_add_u32 s16, s14, s2
	s_addc_u32 s2, s15, s3
	s_add_u32 s20, s16, s10
	s_addc_u32 s3, s2, s11
	s_and_b32 s17, s2, 0xffff
	s_and_b32 s21, s3, 0xffff
	s_mov_b32 s7, 0x20000
	s_add_u32 s0, s0, 48
	v_mov_b32_e32 v3, 0
	s_addc_u32 s1, s1, 0
	s_mov_b64 s[2:3], 0
	s_mov_b32 s23, s7
	s_mov_b32 s22, s6
	;; [unrolled: 1-line block ×15, first 2 shown]
	v_mov_b32_e32 v12, 0x3ba10414
	v_mov_b32_e32 v13, 0xb9c68948
	;; [unrolled: 1-line block ×3, first 2 shown]
	s_brev_b32 s39, -2
                                        ; implicit-def: $vgpr0
                                        ; implicit-def: $vgpr0
	;; [unrolled: 1-line block ×4, first 2 shown]
	s_branch .LBB419_9
.LBB419_8:                              ;   in Loop: Header=BB419_9 Depth=1
	s_or_b64 exec, exec, s[10:11]
	v_fma_f32 v10, |v1|, s29, v13
	v_fma_f32 v10, |v1|, v10, s30
	;; [unrolled: 1-line block ×6, first 2 shown]
	v_fma_f32 v10, |v1|, v10, |v1|
	v_mul_f32_e32 v17, 0xbfb8aa3b, v10
	v_fma_f32 v18, v10, s36, -v17
	v_rndne_f32_e32 v19, v17
	v_fmac_f32_e32 v18, 0xb2a5705f, v10
	v_sub_f32_e32 v17, v17, v19
	v_add_f32_e32 v17, v17, v18
	v_exp_f32_e32 v17, v17
	v_cvt_i32_f32_e32 v18, v19
	s_waitcnt vmcnt(0)
	v_pk_add_f32 v[6:7], v[6:7], v[8:9]
	v_fmamk_f32 v9, v11, 0xba1345e1, v12
	v_fmaak_f32 v9, v11, v9, 0xbcdac9b8
	v_ldexp_f32 v8, v17, v18
	v_cmp_nlt_f32_e32 vcc, s37, v10
	v_fmaak_f32 v9, v11, v9, 0x3de703be
	v_fmaak_f32 v9, v11, v9, 0xbec09330
	v_cndmask_b32_e32 v8, 0, v8, vcc
	v_cmp_ngt_f32_e32 vcc, s38, v10
	v_fmaak_f32 v9, v11, v9, 0x3e0375d0
	v_fma_f32 v9, |v1|, v9, |v1|
	v_cndmask_b32_e32 v8, v14, v8, vcc
	v_sub_f32_e32 v8, 1.0, v8
	v_cmp_lt_f32_e64 vcc, |v1|, 1.0
	v_bfi_b32 v0, s39, v16, v0
	v_mul_f32_e32 v5, 0.5, v5
	v_cndmask_b32_e32 v8, v8, v9, vcc
	v_bfi_b32 v1, s39, v8, v1
	v_mul_f32_e32 v4, 0.5, v4
	v_pk_add_f32 v[0:1], v[0:1], 1.0 op_sel_hi:[1,0]
	s_nop 0
	v_pk_mul_f32 v[0:1], v[4:5], v[0:1]
	s_nop 0
	;;#ASMSTART
	v_pk_mul_f32 v[0:1], v[0:1], v[6:7]
	;;#ASMEND
	s_load_dword s10, s[0:1], 0xc
	buffer_store_dwordx2 v[0:1], v15, s[4:7], 0 offen
	s_waitcnt lgkmcnt(0)
	s_and_b32 s10, s10, 0xffff
	s_lshl_b32 s26, s10, 1
	v_lshl_add_u64 v[2:3], s[26:27], 0, v[2:3]
	v_cmp_le_i64_e32 vcc, s[24:25], v[2:3]
	s_or_b64 s[2:3], vcc, s[2:3]
	s_andn2_b64 exec, exec, s[2:3]
	s_cbranch_execz .LBB419_13
.LBB419_9:                              ; =>This Inner Loop Header: Depth=1
	v_lshlrev_b32_e32 v15, 2, v2
	s_mov_b32 s10, s22
	s_mov_b32 s11, s23
	buffer_load_dwordx2 v[0:1], v15, s[16:19], 0 offen
	buffer_load_dwordx2 v[6:7], v15, s[20:23], 0 offen
	;; [unrolled: 1-line block ×3, first 2 shown]
	s_mov_b32 s14, s22
	s_mov_b32 s15, s23
	buffer_load_dwordx2 v[8:9], v15, s[12:15], 0 offen
                                        ; implicit-def: $vgpr16
	s_waitcnt vmcnt(1)
	v_pk_add_f32 v[4:5], v[0:1], v[4:5]
	s_nop 0
	v_pk_mul_f32 v[0:1], v[4:5], s[28:29] op_sel_hi:[1,0]
	s_nop 0
	v_cmp_nlt_f32_e64 s[10:11], |v0|, 1.0
	s_and_saveexec_b64 s[14:15], s[10:11]
	s_xor_b64 s[10:11], exec, s[14:15]
	s_cbranch_execz .LBB419_11
; %bb.10:                               ;   in Loop: Header=BB419_9 Depth=1
	v_fma_f32 v10, |v0|, s29, v13
	v_fma_f32 v10, |v0|, v10, s30
	;; [unrolled: 1-line block ×6, first 2 shown]
	v_fma_f32 v10, |v0|, v10, |v0|
	v_mul_f32_e32 v11, 0xbfb8aa3b, v10
	v_fma_f32 v16, v10, s36, -v11
	v_rndne_f32_e32 v17, v11
	v_fmac_f32_e32 v16, 0xb2a5705f, v10
	v_sub_f32_e32 v11, v11, v17
	v_add_f32_e32 v11, v11, v16
	v_cvt_i32_f32_e32 v16, v17
	v_exp_f32_e32 v11, v11
	v_cmp_nlt_f32_e32 vcc, s37, v10
	v_ldexp_f32 v11, v11, v16
	s_nop 0
	v_cndmask_b32_e32 v11, 0, v11, vcc
	v_cmp_ngt_f32_e32 vcc, s38, v10
	s_nop 1
	v_cndmask_b32_e32 v10, v14, v11, vcc
	v_sub_f32_e32 v16, 1.0, v10
.LBB419_11:                             ;   in Loop: Header=BB419_9 Depth=1
	s_or_saveexec_b64 s[10:11], s[10:11]
	v_pk_mul_f32 v[10:11], v[0:1], v[0:1]
	s_xor_b64 exec, exec, s[10:11]
	s_cbranch_execz .LBB419_8
; %bb.12:                               ;   in Loop: Header=BB419_9 Depth=1
	v_fmamk_f32 v16, v10, 0xba1345e1, v12
	v_fmaak_f32 v16, v10, v16, 0xbcdac9b8
	v_fmaak_f32 v16, v10, v16, 0x3de703be
	;; [unrolled: 1-line block ×4, first 2 shown]
	v_fma_f32 v16, |v0|, v10, |v0|
	s_branch .LBB419_8
.LBB419_13:
	s_endpgm
	.section	.rodata,"a",@progbits
	.p2align	6, 0x0
	.amdhsa_kernel _ZN5aiter23act_and_mul_bias_kernelIffsfTnPFfRKT2_EXadL_ZNS_11gelu_kernelIfEEfRKT_EELi2EEEvPT0_PS8_PKT1_PS2_il
		.amdhsa_group_segment_fixed_size 0
		.amdhsa_private_segment_fixed_size 0
		.amdhsa_kernarg_size 304
		.amdhsa_user_sgpr_count 2
		.amdhsa_user_sgpr_dispatch_ptr 0
		.amdhsa_user_sgpr_queue_ptr 0
		.amdhsa_user_sgpr_kernarg_segment_ptr 1
		.amdhsa_user_sgpr_dispatch_id 0
		.amdhsa_user_sgpr_kernarg_preload_length 0
		.amdhsa_user_sgpr_kernarg_preload_offset 0
		.amdhsa_user_sgpr_private_segment_size 0
		.amdhsa_uses_dynamic_stack 0
		.amdhsa_enable_private_segment 0
		.amdhsa_system_sgpr_workgroup_id_x 1
		.amdhsa_system_sgpr_workgroup_id_y 0
		.amdhsa_system_sgpr_workgroup_id_z 0
		.amdhsa_system_sgpr_workgroup_info 0
		.amdhsa_system_vgpr_workitem_id 0
		.amdhsa_next_free_vgpr 20
		.amdhsa_next_free_sgpr 40
		.amdhsa_accum_offset 20
		.amdhsa_reserve_vcc 1
		.amdhsa_float_round_mode_32 0
		.amdhsa_float_round_mode_16_64 0
		.amdhsa_float_denorm_mode_32 3
		.amdhsa_float_denorm_mode_16_64 3
		.amdhsa_dx10_clamp 1
		.amdhsa_ieee_mode 1
		.amdhsa_fp16_overflow 0
		.amdhsa_tg_split 0
		.amdhsa_exception_fp_ieee_invalid_op 0
		.amdhsa_exception_fp_denorm_src 0
		.amdhsa_exception_fp_ieee_div_zero 0
		.amdhsa_exception_fp_ieee_overflow 0
		.amdhsa_exception_fp_ieee_underflow 0
		.amdhsa_exception_fp_ieee_inexact 0
		.amdhsa_exception_int_div_zero 0
	.end_amdhsa_kernel
	.section	.text._ZN5aiter23act_and_mul_bias_kernelIffsfTnPFfRKT2_EXadL_ZNS_11gelu_kernelIfEEfRKT_EELi2EEEvPT0_PS8_PKT1_PS2_il,"axG",@progbits,_ZN5aiter23act_and_mul_bias_kernelIffsfTnPFfRKT2_EXadL_ZNS_11gelu_kernelIfEEfRKT_EELi2EEEvPT0_PS8_PKT1_PS2_il,comdat
.Lfunc_end419:
	.size	_ZN5aiter23act_and_mul_bias_kernelIffsfTnPFfRKT2_EXadL_ZNS_11gelu_kernelIfEEfRKT_EELi2EEEvPT0_PS8_PKT1_PS2_il, .Lfunc_end419-_ZN5aiter23act_and_mul_bias_kernelIffsfTnPFfRKT2_EXadL_ZNS_11gelu_kernelIfEEfRKT_EELi2EEEvPT0_PS8_PKT1_PS2_il
                                        ; -- End function
	.section	.AMDGPU.csdata,"",@progbits
; Kernel info:
; codeLenInByte = 1208
; NumSgprs: 46
; NumVgprs: 20
; NumAgprs: 0
; TotalNumVgprs: 20
; ScratchSize: 0
; MemoryBound: 0
; FloatMode: 240
; IeeeMode: 1
; LDSByteSize: 0 bytes/workgroup (compile time only)
; SGPRBlocks: 5
; VGPRBlocks: 2
; NumSGPRsForWavesPerEU: 46
; NumVGPRsForWavesPerEU: 20
; AccumOffset: 20
; Occupancy: 8
; WaveLimiterHint : 0
; COMPUTE_PGM_RSRC2:SCRATCH_EN: 0
; COMPUTE_PGM_RSRC2:USER_SGPR: 2
; COMPUTE_PGM_RSRC2:TRAP_HANDLER: 0
; COMPUTE_PGM_RSRC2:TGID_X_EN: 1
; COMPUTE_PGM_RSRC2:TGID_Y_EN: 0
; COMPUTE_PGM_RSRC2:TGID_Z_EN: 0
; COMPUTE_PGM_RSRC2:TIDIG_COMP_CNT: 0
; COMPUTE_PGM_RSRC3_GFX90A:ACCUM_OFFSET: 4
; COMPUTE_PGM_RSRC3_GFX90A:TG_SPLIT: 0
	.section	.text._ZN5aiter23act_and_mul_bias_kernelIffsfTnPFfRKT2_EXadL_ZNS_11gelu_kernelIfEEfRKT_EELi1EEEvPT0_PS8_PKT1_PS2_il,"axG",@progbits,_ZN5aiter23act_and_mul_bias_kernelIffsfTnPFfRKT2_EXadL_ZNS_11gelu_kernelIfEEfRKT_EELi1EEEvPT0_PS8_PKT1_PS2_il,comdat
	.protected	_ZN5aiter23act_and_mul_bias_kernelIffsfTnPFfRKT2_EXadL_ZNS_11gelu_kernelIfEEfRKT_EELi1EEEvPT0_PS8_PKT1_PS2_il ; -- Begin function _ZN5aiter23act_and_mul_bias_kernelIffsfTnPFfRKT2_EXadL_ZNS_11gelu_kernelIfEEfRKT_EELi1EEEvPT0_PS8_PKT1_PS2_il
	.globl	_ZN5aiter23act_and_mul_bias_kernelIffsfTnPFfRKT2_EXadL_ZNS_11gelu_kernelIfEEfRKT_EELi1EEEvPT0_PS8_PKT1_PS2_il
	.p2align	8
	.type	_ZN5aiter23act_and_mul_bias_kernelIffsfTnPFfRKT2_EXadL_ZNS_11gelu_kernelIfEEfRKT_EELi1EEEvPT0_PS8_PKT1_PS2_il,@function
_ZN5aiter23act_and_mul_bias_kernelIffsfTnPFfRKT2_EXadL_ZNS_11gelu_kernelIfEEfRKT_EELi1EEEvPT0_PS8_PKT1_PS2_il: ; @_ZN5aiter23act_and_mul_bias_kernelIffsfTnPFfRKT2_EXadL_ZNS_11gelu_kernelIfEEfRKT_EELi1EEEvPT0_PS8_PKT1_PS2_il
; %bb.0:
	s_load_dword s20, s[0:1], 0x20
	s_load_dwordx2 s[4:5], s[0:1], 0x10
	s_load_dwordx2 s[6:7], s[0:1], 0x28
	s_mov_b32 s3, 0
	s_lshl_b64 s[8:9], s[2:3], 1
	s_waitcnt lgkmcnt(0)
	s_ashr_i32 s21, s20, 31
	s_add_u32 s4, s4, s8
	s_addc_u32 s5, s5, s9
	v_mov_b32_e32 v1, 0
	global_load_ushort v1, v1, s[4:5]
	s_load_dwordx2 s[4:5], s[0:1], 0x0
	s_mul_hi_u32 s3, s20, s2
	v_mov_b64_e32 v[2:3], s[6:7]
	s_mul_i32 s6, s21, s2
	s_add_i32 s9, s3, s6
	s_mul_i32 s8, s20, s2
	s_lshl_b32 s10, s20, 2
	s_lshl_b64 s[8:9], s[8:9], 2
	s_mov_b64 s[12:13], -1
	s_waitcnt vmcnt(0)
	v_readfirstlane_b32 s3, v1
	s_sext_i32_i16 s6, s3
	s_ashr_i32 s7, s6, 31
	s_waitcnt lgkmcnt(0)
	s_add_u32 s8, s4, s8
	s_addc_u32 s3, s5, s9
	s_and_b32 s9, s3, 0xffff
	s_cmp_gt_i32 s6, -1
	v_cmp_lt_i64_e32 vcc, s[6:7], v[2:3]
	s_cselect_b64 s[4:5], -1, 0
	s_and_b64 s[4:5], s[4:5], vcc
	s_and_b64 vcc, exec, s[4:5]
	v_cmp_gt_i32_e64 s[4:5], s20, v0
	s_cbranch_vccnz .LBB420_5
; %bb.1:
	s_and_saveexec_b64 s[12:13], s[4:5]
	s_cbranch_execz .LBB420_4
; %bb.2:
	s_load_dword s3, s[0:1], 0x3c
	v_mov_b32_e32 v1, 0
	s_mov_b32 s5, 0
	v_lshlrev_b32_e32 v4, 2, v0
	s_mov_b64 s[14:15], 0
	s_waitcnt lgkmcnt(0)
	s_and_b32 s4, s3, 0xffff
	s_lshl_b32 s3, s4, 2
	s_mov_b32 s11, 0x20000
	v_mov_b64_e32 v[2:3], v[0:1]
.LBB420_3:                              ; =>This Inner Loop Header: Depth=1
	v_lshl_add_u64 v[2:3], v[2:3], 0, s[4:5]
	v_cmp_le_i64_e32 vcc, s[20:21], v[2:3]
	buffer_store_dword v1, v4, s[8:11], 0 offen
	s_or_b64 s[14:15], vcc, s[14:15]
	v_add_u32_e32 v4, s3, v4
	s_andn2_b64 exec, exec, s[14:15]
	s_cbranch_execnz .LBB420_3
.LBB420_4:
	s_or_b64 exec, exec, s[12:13]
	s_mov_b64 s[12:13], 0
.LBB420_5:
	s_andn2_b64 vcc, exec, s[12:13]
	s_cbranch_vccnz .LBB420_13
; %bb.6:
	v_cmp_gt_i32_e32 vcc, s20, v0
	s_and_saveexec_b64 s[4:5], vcc
	s_cbranch_execz .LBB420_13
; %bb.7:
	s_load_dwordx2 s[12:13], s[0:1], 0x8
	s_load_dwordx2 s[4:5], s[0:1], 0x18
	s_mul_hi_i32 s7, s20, s6
	s_mul_i32 s6, s20, s6
	s_lshl_b64 s[6:7], s[6:7], 3
	s_load_dword s18, s[0:1], 0x3c
	s_waitcnt lgkmcnt(0)
	s_add_u32 s4, s4, s6
	s_addc_u32 s1, s5, s7
	s_lshl_b64 s[14:15], s[20:21], 2
	s_add_u32 s0, s4, s14
	s_addc_u32 s3, s1, s15
	s_and_b32 s5, s1, 0xffff
	s_and_b32 s1, s3, 0xffff
	s_mul_i32 s3, s2, s21
	s_mul_hi_u32 s16, s2, s20
	s_add_i32 s3, s16, s3
	s_mul_i32 s2, s2, s20
	s_lshl_b64 s[2:3], s[2:3], 3
	s_add_u32 s12, s12, s2
	s_addc_u32 s2, s13, s3
	s_add_u32 s16, s12, s14
	s_mov_b32 s11, 0x20000
	s_addc_u32 s3, s2, s15
	s_and_b32 s22, s18, 0xffff
                                        ; implicit-def: $vgpr4
                                        ; implicit-def: $vgpr4
	;; [unrolled: 1-line block ×4, first 2 shown]
	s_mov_b64 s[6:7], s[10:11]
	s_and_b32 s13, s2, 0xffff
	s_and_b32 s17, s3, 0xffff
	s_mov_b32 s23, 0
	v_mov_b32_e32 v1, 0
	v_lshlrev_b32_e32 v2, 2, v0
	s_lshl_b32 s26, s22, 2
	s_mov_b64 s[24:25], 0
	s_mov_b32 s19, s11
	s_mov_b32 s18, s10
	;; [unrolled: 1-line block ×13, first 2 shown]
	v_mov_b32_e32 v3, 0x3ba10414
	s_brev_b32 s37, -2
	v_mov_b32_e32 v4, 0xb9c68948
	v_mov_b32_e32 v5, 0x7f800000
	s_branch .LBB420_9
.LBB420_8:                              ;   in Loop: Header=BB420_9 Depth=1
	s_or_b64 exec, exec, s[2:3]
	s_waitcnt vmcnt(0)
	v_add_f32_e32 v6, v6, v7
	v_mul_f32_e32 v7, 0.5, v8
	v_bfi_b32 v8, s37, v10, v9
	v_add_f32_e32 v8, 1.0, v8
	v_mul_f32_e32 v7, v7, v8
	v_lshl_add_u64 v[0:1], v[0:1], 0, s[22:23]
	v_mul_f32_e32 v6, v6, v7
	v_cmp_le_i64_e32 vcc, s[20:21], v[0:1]
	buffer_store_dword v6, v2, s[8:11], 0 offen
	s_or_b64 s[24:25], vcc, s[24:25]
	v_add_u32_e32 v2, s26, v2
	s_andn2_b64 exec, exec, s[24:25]
	s_cbranch_execz .LBB420_13
.LBB420_9:                              ; =>This Inner Loop Header: Depth=1
	buffer_load_dword v8, v2, s[12:15], 0 offen
	buffer_load_dword v6, v2, s[16:19], 0 offen
	;; [unrolled: 1-line block ×3, first 2 shown]
	s_mov_b32 s2, s6
	s_mov_b32 s3, s7
	buffer_load_dword v7, v2, s[0:3], 0 offen
                                        ; implicit-def: $vgpr10
	s_waitcnt vmcnt(1)
	v_add_f32_e32 v8, v8, v9
	v_mul_f32_e32 v9, 0x3f3504f3, v8
	v_cmp_nlt_f32_e64 s[2:3], |v9|, 1.0
	s_and_saveexec_b64 s[38:39], s[2:3]
	s_xor_b64 s[2:3], exec, s[38:39]
	s_cbranch_execz .LBB420_11
; %bb.10:                               ;   in Loop: Header=BB420_9 Depth=1
	v_fma_f32 v10, |v9|, s27, v4
	v_fma_f32 v10, |v9|, v10, s28
	;; [unrolled: 1-line block ×6, first 2 shown]
	v_fma_f32 v10, |v9|, v10, |v9|
	v_mul_f32_e32 v11, 0xbfb8aa3b, v10
	v_fma_f32 v12, v10, s34, -v11
	v_rndne_f32_e32 v13, v11
	v_fmac_f32_e32 v12, 0xb2a5705f, v10
	v_sub_f32_e32 v11, v11, v13
	v_add_f32_e32 v11, v11, v12
	v_cvt_i32_f32_e32 v12, v13
	v_exp_f32_e32 v11, v11
	v_cmp_nlt_f32_e32 vcc, s35, v10
	v_ldexp_f32 v11, v11, v12
	s_nop 0
	v_cndmask_b32_e32 v11, 0, v11, vcc
	v_cmp_ngt_f32_e32 vcc, s36, v10
	s_nop 1
	v_cndmask_b32_e32 v10, v5, v11, vcc
	v_sub_f32_e32 v10, 1.0, v10
.LBB420_11:                             ;   in Loop: Header=BB420_9 Depth=1
	s_andn2_saveexec_b64 s[2:3], s[2:3]
	s_cbranch_execz .LBB420_8
; %bb.12:                               ;   in Loop: Header=BB420_9 Depth=1
	v_mul_f32_e32 v10, v9, v9
	v_fmamk_f32 v11, v10, 0xba1345e1, v3
	v_fmaak_f32 v11, v10, v11, 0xbcdac9b8
	v_fmaak_f32 v11, v10, v11, 0x3de703be
	;; [unrolled: 1-line block ×4, first 2 shown]
	v_fma_f32 v10, |v9|, v10, |v9|
	s_branch .LBB420_8
.LBB420_13:
	s_endpgm
	.section	.rodata,"a",@progbits
	.p2align	6, 0x0
	.amdhsa_kernel _ZN5aiter23act_and_mul_bias_kernelIffsfTnPFfRKT2_EXadL_ZNS_11gelu_kernelIfEEfRKT_EELi1EEEvPT0_PS8_PKT1_PS2_il
		.amdhsa_group_segment_fixed_size 0
		.amdhsa_private_segment_fixed_size 0
		.amdhsa_kernarg_size 304
		.amdhsa_user_sgpr_count 2
		.amdhsa_user_sgpr_dispatch_ptr 0
		.amdhsa_user_sgpr_queue_ptr 0
		.amdhsa_user_sgpr_kernarg_segment_ptr 1
		.amdhsa_user_sgpr_dispatch_id 0
		.amdhsa_user_sgpr_kernarg_preload_length 0
		.amdhsa_user_sgpr_kernarg_preload_offset 0
		.amdhsa_user_sgpr_private_segment_size 0
		.amdhsa_uses_dynamic_stack 0
		.amdhsa_enable_private_segment 0
		.amdhsa_system_sgpr_workgroup_id_x 1
		.amdhsa_system_sgpr_workgroup_id_y 0
		.amdhsa_system_sgpr_workgroup_id_z 0
		.amdhsa_system_sgpr_workgroup_info 0
		.amdhsa_system_vgpr_workitem_id 0
		.amdhsa_next_free_vgpr 14
		.amdhsa_next_free_sgpr 40
		.amdhsa_accum_offset 16
		.amdhsa_reserve_vcc 1
		.amdhsa_float_round_mode_32 0
		.amdhsa_float_round_mode_16_64 0
		.amdhsa_float_denorm_mode_32 3
		.amdhsa_float_denorm_mode_16_64 3
		.amdhsa_dx10_clamp 1
		.amdhsa_ieee_mode 1
		.amdhsa_fp16_overflow 0
		.amdhsa_tg_split 0
		.amdhsa_exception_fp_ieee_invalid_op 0
		.amdhsa_exception_fp_denorm_src 0
		.amdhsa_exception_fp_ieee_div_zero 0
		.amdhsa_exception_fp_ieee_overflow 0
		.amdhsa_exception_fp_ieee_underflow 0
		.amdhsa_exception_fp_ieee_inexact 0
		.amdhsa_exception_int_div_zero 0
	.end_amdhsa_kernel
	.section	.text._ZN5aiter23act_and_mul_bias_kernelIffsfTnPFfRKT2_EXadL_ZNS_11gelu_kernelIfEEfRKT_EELi1EEEvPT0_PS8_PKT1_PS2_il,"axG",@progbits,_ZN5aiter23act_and_mul_bias_kernelIffsfTnPFfRKT2_EXadL_ZNS_11gelu_kernelIfEEfRKT_EELi1EEEvPT0_PS8_PKT1_PS2_il,comdat
.Lfunc_end420:
	.size	_ZN5aiter23act_and_mul_bias_kernelIffsfTnPFfRKT2_EXadL_ZNS_11gelu_kernelIfEEfRKT_EELi1EEEvPT0_PS8_PKT1_PS2_il, .Lfunc_end420-_ZN5aiter23act_and_mul_bias_kernelIffsfTnPFfRKT2_EXadL_ZNS_11gelu_kernelIfEEfRKT_EELi1EEEvPT0_PS8_PKT1_PS2_il
                                        ; -- End function
	.section	.AMDGPU.csdata,"",@progbits
; Kernel info:
; codeLenInByte = 932
; NumSgprs: 46
; NumVgprs: 14
; NumAgprs: 0
; TotalNumVgprs: 14
; ScratchSize: 0
; MemoryBound: 0
; FloatMode: 240
; IeeeMode: 1
; LDSByteSize: 0 bytes/workgroup (compile time only)
; SGPRBlocks: 5
; VGPRBlocks: 1
; NumSGPRsForWavesPerEU: 46
; NumVGPRsForWavesPerEU: 14
; AccumOffset: 16
; Occupancy: 8
; WaveLimiterHint : 0
; COMPUTE_PGM_RSRC2:SCRATCH_EN: 0
; COMPUTE_PGM_RSRC2:USER_SGPR: 2
; COMPUTE_PGM_RSRC2:TRAP_HANDLER: 0
; COMPUTE_PGM_RSRC2:TGID_X_EN: 1
; COMPUTE_PGM_RSRC2:TGID_Y_EN: 0
; COMPUTE_PGM_RSRC2:TGID_Z_EN: 0
; COMPUTE_PGM_RSRC2:TIDIG_COMP_CNT: 0
; COMPUTE_PGM_RSRC3_GFX90A:ACCUM_OFFSET: 3
; COMPUTE_PGM_RSRC3_GFX90A:TG_SPLIT: 0
	.section	.text._ZN5aiter23act_and_mul_bias_kernelIDF16_DF16_sfTnPFfRKT2_EXadL_ZNS_11gelu_kernelIfEEfRKT_EELi32EEEvPT0_PS8_PKT1_PS2_il,"axG",@progbits,_ZN5aiter23act_and_mul_bias_kernelIDF16_DF16_sfTnPFfRKT2_EXadL_ZNS_11gelu_kernelIfEEfRKT_EELi32EEEvPT0_PS8_PKT1_PS2_il,comdat
	.protected	_ZN5aiter23act_and_mul_bias_kernelIDF16_DF16_sfTnPFfRKT2_EXadL_ZNS_11gelu_kernelIfEEfRKT_EELi32EEEvPT0_PS8_PKT1_PS2_il ; -- Begin function _ZN5aiter23act_and_mul_bias_kernelIDF16_DF16_sfTnPFfRKT2_EXadL_ZNS_11gelu_kernelIfEEfRKT_EELi32EEEvPT0_PS8_PKT1_PS2_il
	.globl	_ZN5aiter23act_and_mul_bias_kernelIDF16_DF16_sfTnPFfRKT2_EXadL_ZNS_11gelu_kernelIfEEfRKT_EELi32EEEvPT0_PS8_PKT1_PS2_il
	.p2align	8
	.type	_ZN5aiter23act_and_mul_bias_kernelIDF16_DF16_sfTnPFfRKT2_EXadL_ZNS_11gelu_kernelIfEEfRKT_EELi32EEEvPT0_PS8_PKT1_PS2_il,@function
_ZN5aiter23act_and_mul_bias_kernelIDF16_DF16_sfTnPFfRKT2_EXadL_ZNS_11gelu_kernelIfEEfRKT_EELi32EEEvPT0_PS8_PKT1_PS2_il: ; @_ZN5aiter23act_and_mul_bias_kernelIDF16_DF16_sfTnPFfRKT2_EXadL_ZNS_11gelu_kernelIfEEfRKT_EELi32EEEvPT0_PS8_PKT1_PS2_il
; %bb.0:
	s_load_dword s24, s[0:1], 0x20
	s_load_dwordx2 s[4:5], s[0:1], 0x10
	s_load_dwordx2 s[6:7], s[0:1], 0x28
	s_mov_b32 s3, 0
	s_lshl_b64 s[8:9], s[2:3], 1
	s_waitcnt lgkmcnt(0)
	s_ashr_i32 s25, s24, 31
	s_add_u32 s4, s4, s8
	s_addc_u32 s5, s5, s9
	v_mov_b32_e32 v1, 0
	global_load_ushort v1, v1, s[4:5]
	s_mul_hi_u32 s3, s24, s2
	v_mov_b64_e32 v[2:3], s[6:7]
	s_mul_i32 s6, s25, s2
	s_add_i32 s7, s24, 1
	s_add_i32 s9, s3, s6
	s_lshr_b32 s3, s7, 31
	s_load_dwordx2 s[4:5], s[0:1], 0x0
	s_add_i32 s7, s7, s3
	s_lshl_b32 s3, s7, 1
	s_mul_i32 s8, s24, s2
	s_and_b32 s6, s3, -4
	s_lshl_b64 s[12:13], s[8:9], 1
	s_mov_b64 s[10:11], -1
	v_lshlrev_b32_e32 v96, 5, v0
	s_waitcnt vmcnt(0)
	v_readfirstlane_b32 s3, v1
	s_sext_i32_i16 s8, s3
	s_ashr_i32 s9, s8, 31
	s_waitcnt lgkmcnt(0)
	s_add_u32 s4, s4, s12
	s_addc_u32 s3, s5, s13
	s_and_b32 s5, s3, 0xffff
	s_cmp_gt_i32 s8, -1
	v_cmp_lt_i64_e32 vcc, s[8:9], v[2:3]
	s_cselect_b64 s[12:13], -1, 0
	s_and_b64 s[12:13], s[12:13], vcc
	s_and_b64 vcc, exec, s[12:13]
	s_cbranch_vccnz .LBB421_5
; %bb.1:
	v_cmp_gt_i32_e32 vcc, s24, v96
	s_and_saveexec_b64 s[10:11], vcc
	s_cbranch_execz .LBB421_4
; %bb.2:
	s_load_dword s3, s[0:1], 0x3c
	s_mov_b32 s13, 0
	s_mov_b32 s16, s13
	;; [unrolled: 1-line block ×3, first 2 shown]
	v_mov_b32_e32 v97, 0
	v_lshlrev_b32_e32 v6, 6, v0
	s_waitcnt lgkmcnt(0)
	s_and_b32 s3, s3, 0xffff
	s_mov_b32 s18, s13
	s_mov_b32 s19, s13
	v_mov_b64_e32 v[0:1], s[16:17]
	s_lshl_b32 s12, s3, 5
	s_lshl_b32 s3, s3, 6
	s_mov_b64 s[14:15], 0
	s_mov_b32 s7, 0x20000
	v_mov_b64_e32 v[2:3], s[18:19]
	v_mov_b64_e32 v[4:5], v[96:97]
.LBB421_3:                              ; =>This Inner Loop Header: Depth=1
	v_lshl_add_u64 v[4:5], s[12:13], 0, v[4:5]
	v_cmp_le_i64_e32 vcc, s[24:25], v[4:5]
	buffer_store_dwordx4 v[0:3], v6, s[4:7], 0 offen
	buffer_store_dwordx4 v[0:3], v6, s[4:7], 16 offen
	;; [unrolled: 1-line block ×4, first 2 shown]
	s_or_b64 s[14:15], vcc, s[14:15]
	v_add_u32_e32 v6, s3, v6
	s_andn2_b64 exec, exec, s[14:15]
	s_cbranch_execnz .LBB421_3
.LBB421_4:
	s_or_b64 exec, exec, s[10:11]
	s_mov_b64 s[10:11], 0
.LBB421_5:
	s_andn2_b64 vcc, exec, s[10:11]
	s_cbranch_vccnz .LBB421_137
; %bb.6:
	v_cmp_gt_i32_e32 vcc, s24, v96
	s_and_saveexec_b64 s[10:11], vcc
	s_cbranch_execz .LBB421_137
; %bb.7:
	s_load_dwordx2 s[10:11], s[0:1], 0x18
	s_load_dwordx2 s[14:15], s[0:1], 0x8
	s_mul_hi_i32 s9, s24, s8
	s_mul_i32 s8, s24, s8
	s_lshl_b64 s[8:9], s[8:9], 3
	s_waitcnt lgkmcnt(0)
	s_add_u32 s8, s10, s8
	s_addc_u32 s3, s11, s9
	s_lshl_b64 s[10:11], s[24:25], 2
	s_add_u32 s12, s8, s10
	s_addc_u32 s13, s3, s11
	s_and_b32 s9, s3, 0xffff
	s_mul_i32 s3, s2, s25
	s_mul_hi_u32 s16, s2, s24
	s_add_i32 s3, s16, s3
	s_mul_i32 s2, s2, s24
	s_lshl_b32 s10, s24, 2
	s_and_b32 s13, s13, 0xffff
	s_lshl_b64 s[2:3], s[2:3], 2
	s_add_u32 s16, s14, s2
	s_addc_u32 s14, s15, s3
	s_lshl_b64 s[2:3], s[24:25], 1
	s_add_u32 s20, s16, s2
	s_addc_u32 s2, s14, s3
	s_and_b32 s17, s14, 0xffff
	s_and_b32 s21, s2, 0xffff
	s_mov_b32 s7, 0x20000
	s_add_u32 s0, s0, 48
	s_mov_b32 s11, s7
	s_mov_b64 s[22:23], s[6:7]
	v_mov_b32_e32 v97, 0
	s_addc_u32 s1, s1, 0
	s_mov_b64 s[2:3], 0
	s_mov_b32 s18, s6
	s_mov_b32 s19, s7
	;; [unrolled: 1-line block ×3, first 2 shown]
	s_movk_i32 s28, 0x50
	s_movk_i32 s29, 0x60
	;; [unrolled: 1-line block ×3, first 2 shown]
	s_mov_b32 s31, 0x378e98ab
	s_mov_b32 s33, 0x3b7cd369
	;; [unrolled: 1-line block ×9, first 2 shown]
	v_mov_b32_e32 v98, 0x3ba10414
	s_brev_b32 s41, -2
	v_mov_b32_e32 v99, 0xb9c68948
	v_mov_b32_e32 v100, 0x7f800000
                                        ; implicit-def: $vgpr0
                                        ; implicit-def: $vgpr0
	;; [unrolled: 1-line block ×4, first 2 shown]
	s_branch .LBB421_9
.LBB421_8:                              ;   in Loop: Header=BB421_9 Depth=1
	s_or_b64 exec, exec, s[14:15]
	v_cvt_f32_f16_sdwa v13, v3 dst_sel:DWORD dst_unused:UNUSED_PAD src0_sel:WORD_1
	v_bfi_b32 v2, s41, v12, v2
	v_cvt_f16_f32_e32 v14, v1
	v_bfi_b32 v1, s41, v11, v10
	v_add_f32_e32 v7, v7, v13
	v_cvt_f16_f32_e32 v13, v0
	v_cvt_f32_f16_e32 v0, v3
	v_mul_f32_e32 v8, 0.5, v8
	v_add_f32_e32 v2, 1.0, v2
	v_add_f32_e32 v1, 1.0, v1
	v_add_f32_e32 v6, v6, v0
	v_mul_f32_e32 v0, 0.5, v9
	v_mul_f32_e32 v2, v8, v2
	v_mul_f32_e32 v3, v0, v1
	;;#ASMSTART
	v_pk_mul_f32 v[0:1], v[2:3], v[6:7]
	;;#ASMEND
	s_load_dword s14, s[0:1], 0xc
	v_cvt_f16_f32_e32 v31, v88
	v_cvt_f16_f32_e32 v32, v89
	v_cvt_f16_f32_e32 v33, v72
	v_cvt_f16_f32_e32 v34, v73
	v_cvt_f16_f32_e32 v35, v76
	v_cvt_f16_f32_e32 v36, v77
	v_cvt_f16_f32_e32 v37, v74
	v_cvt_f16_f32_e32 v38, v75
	v_cvt_f16_f32_e32 v12, v17
	v_cvt_f16_f32_e32 v17, v24
	v_cvt_f16_f32_e32 v18, v25
	v_cvt_f16_f32_e32 v19, v28
	v_cvt_f16_f32_e32 v20, v29
	v_cvt_f16_f32_e32 v21, v26
	v_cvt_f16_f32_e32 v22, v27
	v_cvt_f16_f32_e32 v23, v64
	v_cvt_f16_f32_e32 v24, v65
	v_cvt_f16_f32_e32 v25, v48
	v_cvt_f16_f32_e32 v26, v49
	v_cvt_f16_f32_e32 v27, v52
	v_cvt_f16_f32_e32 v28, v53
	v_cvt_f16_f32_e32 v29, v50
	v_cvt_f16_f32_e32 v30, v51
	v_cvt_f16_f32_e32 v8, v16
	v_cvt_f16_f32_e32 v15, v40
	v_cvt_f16_f32_e32 v16, v41
	v_cvt_f16_f32_e32 v4, v4
	v_cvt_f16_f32_e32 v5, v5
	v_cvt_f16_f32_e32 v6, v0
	v_cvt_f16_f32_e32 v7, v1
	s_waitcnt lgkmcnt(0)
	s_and_b32 s14, s14, 0xffff
	v_pack_b32_f16 v3, v37, v38
	v_pack_b32_f16 v2, v35, v36
	;; [unrolled: 1-line block ×4, first 2 shown]
	s_lshl_b32 s26, s14, 5
	buffer_store_dwordx4 v[0:3], v101, s[4:7], 0 offen
	v_lshl_add_u64 v[96:97], s[26:27], 0, v[96:97]
	v_cmp_le_i64_e32 vcc, s[24:25], v[96:97]
	v_pack_b32_f16 v3, v29, v30
	v_pack_b32_f16 v2, v27, v28
	;; [unrolled: 1-line block ×4, first 2 shown]
	buffer_store_dwordx4 v[0:3], v101, s[4:7], 16 offen
	s_or_b64 s[2:3], vcc, s[2:3]
	s_nop 0
	v_pack_b32_f16 v3, v21, v22
	v_pack_b32_f16 v2, v19, v20
	;; [unrolled: 1-line block ×4, first 2 shown]
	buffer_store_dwordx4 v[0:3], v101, s[4:7], 32 offen
	s_nop 1
	v_pack_b32_f16 v3, v6, v7
	v_pack_b32_f16 v2, v4, v5
	;; [unrolled: 1-line block ×4, first 2 shown]
	buffer_store_dwordx4 v[0:3], v101, s[4:7], 48 offen
	s_andn2_b64 exec, exec, s[2:3]
	s_cbranch_execz .LBB421_137
.LBB421_9:                              ; =>This Inner Loop Header: Depth=1
	v_lshlrev_b32_e32 v101, 1, v96
	v_lshlrev_b32_e32 v4, 2, v96
	s_mov_b32 s14, s10
	s_mov_b32 s15, s11
	buffer_load_dwordx4 v[80:83], v101, s[16:19], 0 offen
	buffer_load_dwordx4 v[56:59], v101, s[16:19], 16 offen
	;; [unrolled: 1-line block ×23, first 2 shown]
	s_nop 0
	buffer_load_dwordx4 v[4:7], v4, s[12:15], s30 offen
                                        ; implicit-def: $vgpr103
	s_waitcnt vmcnt(23)
	v_cvt_f32_f16_e32 v102, v80
	s_waitcnt vmcnt(15)
	v_add_f32_e32 v92, v92, v102
	v_mul_f32_e32 v102, 0x3f3504f3, v92
	v_cmp_nlt_f32_e64 s[14:15], |v102|, 1.0
	s_and_saveexec_b64 s[42:43], s[14:15]
	s_xor_b64 s[14:15], exec, s[42:43]
	s_cbranch_execz .LBB421_11
; %bb.10:                               ;   in Loop: Header=BB421_9 Depth=1
	v_fma_f32 v103, |v102|, s31, v99
	v_fma_f32 v103, |v102|, v103, s33
	;; [unrolled: 1-line block ×6, first 2 shown]
	v_fma_f32 v103, |v102|, v103, |v102|
	v_mul_f32_e32 v104, 0xbfb8aa3b, v103
	v_fma_f32 v105, v103, s38, -v104
	v_rndne_f32_e32 v106, v104
	v_fmac_f32_e32 v105, 0xb2a5705f, v103
	v_sub_f32_e32 v104, v104, v106
	v_add_f32_e32 v104, v104, v105
	v_cvt_i32_f32_e32 v105, v106
	v_exp_f32_e32 v104, v104
	v_cmp_nlt_f32_e32 vcc, s39, v103
	v_ldexp_f32 v104, v104, v105
	s_nop 0
	v_cndmask_b32_e32 v104, 0, v104, vcc
	v_cmp_ngt_f32_e32 vcc, s40, v103
	s_nop 1
	v_cndmask_b32_e32 v103, v100, v104, vcc
	v_sub_f32_e32 v103, 1.0, v103
.LBB421_11:                             ;   in Loop: Header=BB421_9 Depth=1
	s_andn2_saveexec_b64 s[14:15], s[14:15]
; %bb.12:                               ;   in Loop: Header=BB421_9 Depth=1
	v_mul_f32_e32 v103, v102, v102
	v_fmamk_f32 v104, v103, 0xba1345e1, v98
	v_fmaak_f32 v104, v103, v104, 0xbcdac9b8
	v_fmaak_f32 v104, v103, v104, 0x3de703be
	;; [unrolled: 1-line block ×4, first 2 shown]
	v_fma_f32 v103, |v102|, v103, |v102|
; %bb.13:                               ;   in Loop: Header=BB421_9 Depth=1
	s_or_b64 exec, exec, s[14:15]
	v_cvt_f32_f16_sdwa v80, v80 dst_sel:DWORD dst_unused:UNUSED_PAD src0_sel:WORD_1
                                        ; implicit-def: $vgpr104
	v_add_f32_e32 v80, v93, v80
	v_mul_f32_e32 v93, 0x3f3504f3, v80
	v_cmp_nlt_f32_e64 s[14:15], |v93|, 1.0
	s_and_saveexec_b64 s[42:43], s[14:15]
	s_xor_b64 s[14:15], exec, s[42:43]
	s_cbranch_execz .LBB421_15
; %bb.14:                               ;   in Loop: Header=BB421_9 Depth=1
	v_fma_f32 v104, |v93|, s31, v99
	v_fma_f32 v104, |v93|, v104, s33
	;; [unrolled: 1-line block ×6, first 2 shown]
	v_fma_f32 v104, |v93|, v104, |v93|
	v_mul_f32_e32 v105, 0xbfb8aa3b, v104
	v_fma_f32 v106, v104, s38, -v105
	v_rndne_f32_e32 v107, v105
	v_fmac_f32_e32 v106, 0xb2a5705f, v104
	v_sub_f32_e32 v105, v105, v107
	v_add_f32_e32 v105, v105, v106
	v_cvt_i32_f32_e32 v106, v107
	v_exp_f32_e32 v105, v105
	v_cmp_nlt_f32_e32 vcc, s39, v104
	v_ldexp_f32 v105, v105, v106
	s_nop 0
	v_cndmask_b32_e32 v105, 0, v105, vcc
	v_cmp_ngt_f32_e32 vcc, s40, v104
	s_nop 1
	v_cndmask_b32_e32 v104, v100, v105, vcc
	v_sub_f32_e32 v104, 1.0, v104
.LBB421_15:                             ;   in Loop: Header=BB421_9 Depth=1
	s_andn2_saveexec_b64 s[14:15], s[14:15]
; %bb.16:                               ;   in Loop: Header=BB421_9 Depth=1
	v_mul_f32_e32 v104, v93, v93
	v_fmamk_f32 v105, v104, 0xba1345e1, v98
	v_fmaak_f32 v105, v104, v105, 0xbcdac9b8
	v_fmaak_f32 v105, v104, v105, 0x3de703be
	;; [unrolled: 1-line block ×4, first 2 shown]
	v_fma_f32 v104, |v93|, v104, |v93|
; %bb.17:                               ;   in Loop: Header=BB421_9 Depth=1
	s_or_b64 exec, exec, s[14:15]
	v_bfi_b32 v102, s41, v103, v102
	v_cvt_f32_f16_sdwa v103, v72 dst_sel:DWORD dst_unused:UNUSED_PAD src0_sel:WORD_1
	v_cvt_f32_f16_e32 v72, v72
	v_mul_f32_e32 v92, 0.5, v92
	v_add_f32_e32 v102, 1.0, v102
	v_mul_f32_e32 v92, v92, v102
	v_cvt_f32_f16_e32 v102, v81
	s_waitcnt vmcnt(7)
	v_add_f32_e32 v88, v88, v72
	v_mul_f32_e32 v72, 0.5, v80
	v_bfi_b32 v80, s41, v104, v93
	v_add_f32_e32 v80, 1.0, v80
	v_mul_f32_e32 v93, v72, v80
	v_add_f32_e32 v72, v94, v102
	v_mul_f32_e32 v80, 0x3f3504f3, v72
	v_add_f32_e32 v89, v89, v103
	v_cmp_nlt_f32_e64 s[14:15], |v80|, 1.0
	;;#ASMSTART
	v_pk_mul_f32 v[88:89], v[92:93], v[88:89]
	;;#ASMEND
                                        ; implicit-def: $vgpr92
	s_and_saveexec_b64 s[42:43], s[14:15]
	s_xor_b64 s[14:15], exec, s[42:43]
	s_cbranch_execz .LBB421_19
; %bb.18:                               ;   in Loop: Header=BB421_9 Depth=1
	v_fma_f32 v92, |v80|, s31, v99
	v_fma_f32 v92, |v80|, v92, s33
	;; [unrolled: 1-line block ×6, first 2 shown]
	v_fma_f32 v92, |v80|, v92, |v80|
	v_mul_f32_e32 v93, 0xbfb8aa3b, v92
	v_fma_f32 v94, v92, s38, -v93
	v_rndne_f32_e32 v102, v93
	v_fmac_f32_e32 v94, 0xb2a5705f, v92
	v_sub_f32_e32 v93, v93, v102
	v_add_f32_e32 v93, v93, v94
	v_cvt_i32_f32_e32 v94, v102
	v_exp_f32_e32 v93, v93
	v_cmp_nlt_f32_e32 vcc, s39, v92
	v_ldexp_f32 v93, v93, v94
	s_nop 0
	v_cndmask_b32_e32 v93, 0, v93, vcc
	v_cmp_ngt_f32_e32 vcc, s40, v92
	s_nop 1
	v_cndmask_b32_e32 v92, v100, v93, vcc
	v_sub_f32_e32 v92, 1.0, v92
.LBB421_19:                             ;   in Loop: Header=BB421_9 Depth=1
	s_andn2_saveexec_b64 s[14:15], s[14:15]
; %bb.20:                               ;   in Loop: Header=BB421_9 Depth=1
	v_mul_f32_e32 v92, v80, v80
	v_fmamk_f32 v93, v92, 0xba1345e1, v98
	v_fmaak_f32 v93, v92, v93, 0xbcdac9b8
	v_fmaak_f32 v93, v92, v93, 0x3de703be
	;; [unrolled: 1-line block ×4, first 2 shown]
	v_fma_f32 v92, |v80|, v92, |v80|
; %bb.21:                               ;   in Loop: Header=BB421_9 Depth=1
	s_or_b64 exec, exec, s[14:15]
	v_cvt_f32_f16_sdwa v81, v81 dst_sel:DWORD dst_unused:UNUSED_PAD src0_sel:WORD_1
                                        ; implicit-def: $vgpr94
	v_add_f32_e32 v81, v95, v81
	v_mul_f32_e32 v93, 0x3f3504f3, v81
	v_cmp_nlt_f32_e64 s[14:15], |v93|, 1.0
	s_and_saveexec_b64 s[42:43], s[14:15]
	s_xor_b64 s[14:15], exec, s[42:43]
	s_cbranch_execz .LBB421_23
; %bb.22:                               ;   in Loop: Header=BB421_9 Depth=1
	v_fma_f32 v94, |v93|, s31, v99
	v_fma_f32 v94, |v93|, v94, s33
	;; [unrolled: 1-line block ×6, first 2 shown]
	v_fma_f32 v94, |v93|, v94, |v93|
	v_mul_f32_e32 v95, 0xbfb8aa3b, v94
	v_fma_f32 v102, v94, s38, -v95
	v_rndne_f32_e32 v103, v95
	v_fmac_f32_e32 v102, 0xb2a5705f, v94
	v_sub_f32_e32 v95, v95, v103
	v_add_f32_e32 v95, v95, v102
	v_cvt_i32_f32_e32 v102, v103
	v_exp_f32_e32 v95, v95
	v_cmp_nlt_f32_e32 vcc, s39, v94
	v_ldexp_f32 v95, v95, v102
	s_nop 0
	v_cndmask_b32_e32 v95, 0, v95, vcc
	v_cmp_ngt_f32_e32 vcc, s40, v94
	s_nop 1
	v_cndmask_b32_e32 v94, v100, v95, vcc
	v_sub_f32_e32 v94, 1.0, v94
.LBB421_23:                             ;   in Loop: Header=BB421_9 Depth=1
	s_andn2_saveexec_b64 s[14:15], s[14:15]
; %bb.24:                               ;   in Loop: Header=BB421_9 Depth=1
	v_mul_f32_e32 v94, v93, v93
	v_fmamk_f32 v95, v94, 0xba1345e1, v98
	v_fmaak_f32 v95, v94, v95, 0xbcdac9b8
	v_fmaak_f32 v95, v94, v95, 0x3de703be
	;; [unrolled: 1-line block ×4, first 2 shown]
	v_fma_f32 v94, |v93|, v94, |v93|
; %bb.25:                               ;   in Loop: Header=BB421_9 Depth=1
	s_or_b64 exec, exec, s[14:15]
	v_bfi_b32 v80, s41, v92, v80
	v_cvt_f32_f16_sdwa v92, v73 dst_sel:DWORD dst_unused:UNUSED_PAD src0_sel:WORD_1
	v_cvt_f32_f16_e32 v73, v73
	v_mul_f32_e32 v72, 0.5, v72
	v_add_f32_e32 v80, 1.0, v80
	v_mul_f32_e32 v72, v72, v80
	v_add_f32_e32 v90, v90, v73
	v_mul_f32_e32 v73, 0.5, v81
	v_cvt_f32_f16_e32 v81, v82
	v_bfi_b32 v80, s41, v94, v93
	v_add_f32_e32 v80, 1.0, v80
	v_mul_f32_e32 v73, v73, v80
	v_add_f32_e32 v80, v84, v81
	v_mul_f32_e32 v81, 0x3f3504f3, v80
	v_cmp_nlt_f32_e64 s[14:15], |v81|, 1.0
	v_add_f32_e32 v91, v91, v92
	;;#ASMSTART
	v_pk_mul_f32 v[72:73], v[72:73], v[90:91]
	;;#ASMEND
                                        ; implicit-def: $vgpr84
	s_and_saveexec_b64 s[42:43], s[14:15]
	s_xor_b64 s[14:15], exec, s[42:43]
	s_cbranch_execz .LBB421_27
; %bb.26:                               ;   in Loop: Header=BB421_9 Depth=1
	v_fma_f32 v84, |v81|, s31, v99
	v_fma_f32 v84, |v81|, v84, s33
	;; [unrolled: 1-line block ×6, first 2 shown]
	v_fma_f32 v84, |v81|, v84, |v81|
	v_mul_f32_e32 v90, 0xbfb8aa3b, v84
	v_fma_f32 v91, v84, s38, -v90
	v_rndne_f32_e32 v92, v90
	v_fmac_f32_e32 v91, 0xb2a5705f, v84
	v_sub_f32_e32 v90, v90, v92
	v_add_f32_e32 v90, v90, v91
	v_cvt_i32_f32_e32 v91, v92
	v_exp_f32_e32 v90, v90
	v_cmp_nlt_f32_e32 vcc, s39, v84
	v_ldexp_f32 v90, v90, v91
	s_nop 0
	v_cndmask_b32_e32 v90, 0, v90, vcc
	v_cmp_ngt_f32_e32 vcc, s40, v84
	s_nop 1
	v_cndmask_b32_e32 v84, v100, v90, vcc
	v_sub_f32_e32 v84, 1.0, v84
.LBB421_27:                             ;   in Loop: Header=BB421_9 Depth=1
	s_andn2_saveexec_b64 s[14:15], s[14:15]
; %bb.28:                               ;   in Loop: Header=BB421_9 Depth=1
	v_mul_f32_e32 v84, v81, v81
	v_fmamk_f32 v90, v84, 0xba1345e1, v98
	v_fmaak_f32 v90, v84, v90, 0xbcdac9b8
	v_fmaak_f32 v90, v84, v90, 0x3de703be
	;; [unrolled: 1-line block ×4, first 2 shown]
	v_fma_f32 v84, |v81|, v84, |v81|
; %bb.29:                               ;   in Loop: Header=BB421_9 Depth=1
	s_or_b64 exec, exec, s[14:15]
	v_cvt_f32_f16_sdwa v82, v82 dst_sel:DWORD dst_unused:UNUSED_PAD src0_sel:WORD_1
                                        ; implicit-def: $vgpr90
	v_add_f32_e32 v82, v85, v82
	v_mul_f32_e32 v85, 0x3f3504f3, v82
	v_cmp_nlt_f32_e64 s[14:15], |v85|, 1.0
	s_and_saveexec_b64 s[42:43], s[14:15]
	s_xor_b64 s[14:15], exec, s[42:43]
	s_cbranch_execz .LBB421_31
; %bb.30:                               ;   in Loop: Header=BB421_9 Depth=1
	v_fma_f32 v90, |v85|, s31, v99
	v_fma_f32 v90, |v85|, v90, s33
	;; [unrolled: 1-line block ×6, first 2 shown]
	v_fma_f32 v90, |v85|, v90, |v85|
	v_mul_f32_e32 v91, 0xbfb8aa3b, v90
	v_fma_f32 v92, v90, s38, -v91
	v_rndne_f32_e32 v93, v91
	v_fmac_f32_e32 v92, 0xb2a5705f, v90
	v_sub_f32_e32 v91, v91, v93
	v_add_f32_e32 v91, v91, v92
	v_cvt_i32_f32_e32 v92, v93
	v_exp_f32_e32 v91, v91
	v_cmp_nlt_f32_e32 vcc, s39, v90
	v_ldexp_f32 v91, v91, v92
	s_nop 0
	v_cndmask_b32_e32 v91, 0, v91, vcc
	v_cmp_ngt_f32_e32 vcc, s40, v90
	s_nop 1
	v_cndmask_b32_e32 v90, v100, v91, vcc
	v_sub_f32_e32 v90, 1.0, v90
.LBB421_31:                             ;   in Loop: Header=BB421_9 Depth=1
	s_andn2_saveexec_b64 s[14:15], s[14:15]
; %bb.32:                               ;   in Loop: Header=BB421_9 Depth=1
	v_mul_f32_e32 v90, v85, v85
	v_fmamk_f32 v91, v90, 0xba1345e1, v98
	v_fmaak_f32 v91, v90, v91, 0xbcdac9b8
	v_fmaak_f32 v91, v90, v91, 0x3de703be
	;; [unrolled: 1-line block ×4, first 2 shown]
	v_fma_f32 v90, |v85|, v90, |v85|
; %bb.33:                               ;   in Loop: Header=BB421_9 Depth=1
	s_or_b64 exec, exec, s[14:15]
	v_bfi_b32 v81, s41, v84, v81
	v_cvt_f32_f16_sdwa v84, v74 dst_sel:DWORD dst_unused:UNUSED_PAD src0_sel:WORD_1
	v_cvt_f32_f16_e32 v74, v74
	v_mul_f32_e32 v80, 0.5, v80
	v_add_f32_e32 v81, 1.0, v81
	v_mul_f32_e32 v80, v80, v81
	s_waitcnt vmcnt(6)
	v_add_f32_e32 v76, v76, v74
	v_mul_f32_e32 v74, 0.5, v82
	v_cvt_f32_f16_e32 v82, v83
	v_bfi_b32 v81, s41, v90, v85
	v_add_f32_e32 v81, 1.0, v81
	v_add_f32_e32 v77, v77, v84
	v_mul_f32_e32 v81, v74, v81
	v_add_f32_e32 v74, v86, v82
	;;#ASMSTART
	v_pk_mul_f32 v[76:77], v[80:81], v[76:77]
	;;#ASMEND
	v_mul_f32_e32 v80, 0x3f3504f3, v74
	v_cmp_nlt_f32_e64 s[14:15], |v80|, 1.0
                                        ; implicit-def: $vgpr81
	s_and_saveexec_b64 s[42:43], s[14:15]
	s_xor_b64 s[14:15], exec, s[42:43]
	s_cbranch_execz .LBB421_35
; %bb.34:                               ;   in Loop: Header=BB421_9 Depth=1
	v_fma_f32 v81, |v80|, s31, v99
	v_fma_f32 v81, |v80|, v81, s33
	;; [unrolled: 1-line block ×6, first 2 shown]
	v_fma_f32 v81, |v80|, v81, |v80|
	v_mul_f32_e32 v82, 0xbfb8aa3b, v81
	v_fma_f32 v84, v81, s38, -v82
	v_rndne_f32_e32 v85, v82
	v_fmac_f32_e32 v84, 0xb2a5705f, v81
	v_sub_f32_e32 v82, v82, v85
	v_add_f32_e32 v82, v82, v84
	v_cvt_i32_f32_e32 v84, v85
	v_exp_f32_e32 v82, v82
	v_cmp_nlt_f32_e32 vcc, s39, v81
	v_ldexp_f32 v82, v82, v84
	s_nop 0
	v_cndmask_b32_e32 v82, 0, v82, vcc
	v_cmp_ngt_f32_e32 vcc, s40, v81
	s_nop 1
	v_cndmask_b32_e32 v81, v100, v82, vcc
	v_sub_f32_e32 v81, 1.0, v81
.LBB421_35:                             ;   in Loop: Header=BB421_9 Depth=1
	s_andn2_saveexec_b64 s[14:15], s[14:15]
; %bb.36:                               ;   in Loop: Header=BB421_9 Depth=1
	v_mul_f32_e32 v81, v80, v80
	v_fmamk_f32 v82, v81, 0xba1345e1, v98
	v_fmaak_f32 v82, v81, v82, 0xbcdac9b8
	v_fmaak_f32 v82, v81, v82, 0x3de703be
	;; [unrolled: 1-line block ×4, first 2 shown]
	v_fma_f32 v81, |v80|, v81, |v80|
; %bb.37:                               ;   in Loop: Header=BB421_9 Depth=1
	s_or_b64 exec, exec, s[14:15]
	v_cvt_f32_f16_sdwa v82, v83 dst_sel:DWORD dst_unused:UNUSED_PAD src0_sel:WORD_1
                                        ; implicit-def: $vgpr84
	v_add_f32_e32 v82, v87, v82
	v_mul_f32_e32 v83, 0x3f3504f3, v82
	v_cmp_nlt_f32_e64 s[14:15], |v83|, 1.0
	s_and_saveexec_b64 s[42:43], s[14:15]
	s_xor_b64 s[14:15], exec, s[42:43]
	s_cbranch_execz .LBB421_39
; %bb.38:                               ;   in Loop: Header=BB421_9 Depth=1
	v_fma_f32 v84, |v83|, s31, v99
	v_fma_f32 v84, |v83|, v84, s33
	;; [unrolled: 1-line block ×6, first 2 shown]
	v_fma_f32 v84, |v83|, v84, |v83|
	v_mul_f32_e32 v85, 0xbfb8aa3b, v84
	v_fma_f32 v86, v84, s38, -v85
	v_rndne_f32_e32 v87, v85
	v_fmac_f32_e32 v86, 0xb2a5705f, v84
	v_sub_f32_e32 v85, v85, v87
	v_add_f32_e32 v85, v85, v86
	v_cvt_i32_f32_e32 v86, v87
	v_exp_f32_e32 v85, v85
	v_cmp_nlt_f32_e32 vcc, s39, v84
	v_ldexp_f32 v85, v85, v86
	s_nop 0
	v_cndmask_b32_e32 v85, 0, v85, vcc
	v_cmp_ngt_f32_e32 vcc, s40, v84
	s_nop 1
	v_cndmask_b32_e32 v84, v100, v85, vcc
	v_sub_f32_e32 v84, 1.0, v84
.LBB421_39:                             ;   in Loop: Header=BB421_9 Depth=1
	s_andn2_saveexec_b64 s[14:15], s[14:15]
; %bb.40:                               ;   in Loop: Header=BB421_9 Depth=1
	v_mul_f32_e32 v84, v83, v83
	v_fmamk_f32 v85, v84, 0xba1345e1, v98
	v_fmaak_f32 v85, v84, v85, 0xbcdac9b8
	v_fmaak_f32 v85, v84, v85, 0x3de703be
	;; [unrolled: 1-line block ×4, first 2 shown]
	v_fma_f32 v84, |v83|, v84, |v83|
; %bb.41:                               ;   in Loop: Header=BB421_9 Depth=1
	s_or_b64 exec, exec, s[14:15]
	v_bfi_b32 v80, s41, v81, v80
	v_cvt_f32_f16_sdwa v81, v75 dst_sel:DWORD dst_unused:UNUSED_PAD src0_sel:WORD_1
	v_cvt_f32_f16_e32 v75, v75
	v_mul_f32_e32 v74, 0.5, v74
	v_add_f32_e32 v80, 1.0, v80
	v_add_f32_e32 v79, v79, v81
	v_cvt_f32_f16_e32 v81, v56
	v_mul_f32_e32 v74, v74, v80
	v_bfi_b32 v80, s41, v84, v83
	v_add_f32_e32 v78, v78, v75
	v_mul_f32_e32 v75, 0.5, v82
	v_add_f32_e32 v80, 1.0, v80
	v_mul_f32_e32 v75, v75, v80
	v_add_f32_e32 v68, v68, v81
	;;#ASMSTART
	v_pk_mul_f32 v[74:75], v[74:75], v[78:79]
	;;#ASMEND
	v_mul_f32_e32 v78, 0x3f3504f3, v68
	v_cmp_nlt_f32_e64 s[14:15], |v78|, 1.0
                                        ; implicit-def: $vgpr79
	s_and_saveexec_b64 s[42:43], s[14:15]
	s_xor_b64 s[14:15], exec, s[42:43]
	s_cbranch_execz .LBB421_43
; %bb.42:                               ;   in Loop: Header=BB421_9 Depth=1
	v_fma_f32 v79, |v78|, s31, v99
	v_fma_f32 v79, |v78|, v79, s33
	;; [unrolled: 1-line block ×6, first 2 shown]
	v_fma_f32 v79, |v78|, v79, |v78|
	v_mul_f32_e32 v80, 0xbfb8aa3b, v79
	v_fma_f32 v81, v79, s38, -v80
	v_rndne_f32_e32 v82, v80
	v_fmac_f32_e32 v81, 0xb2a5705f, v79
	v_sub_f32_e32 v80, v80, v82
	v_add_f32_e32 v80, v80, v81
	v_cvt_i32_f32_e32 v81, v82
	v_exp_f32_e32 v80, v80
	v_cmp_nlt_f32_e32 vcc, s39, v79
	v_ldexp_f32 v80, v80, v81
	s_nop 0
	v_cndmask_b32_e32 v80, 0, v80, vcc
	v_cmp_ngt_f32_e32 vcc, s40, v79
	s_nop 1
	v_cndmask_b32_e32 v79, v100, v80, vcc
	v_sub_f32_e32 v79, 1.0, v79
.LBB421_43:                             ;   in Loop: Header=BB421_9 Depth=1
	s_andn2_saveexec_b64 s[14:15], s[14:15]
; %bb.44:                               ;   in Loop: Header=BB421_9 Depth=1
	v_mul_f32_e32 v79, v78, v78
	v_fmamk_f32 v80, v79, 0xba1345e1, v98
	v_fmaak_f32 v80, v79, v80, 0xbcdac9b8
	v_fmaak_f32 v80, v79, v80, 0x3de703be
	;; [unrolled: 1-line block ×4, first 2 shown]
	v_fma_f32 v79, |v78|, v79, |v78|
; %bb.45:                               ;   in Loop: Header=BB421_9 Depth=1
	s_or_b64 exec, exec, s[14:15]
	v_cvt_f32_f16_sdwa v56, v56 dst_sel:DWORD dst_unused:UNUSED_PAD src0_sel:WORD_1
                                        ; implicit-def: $vgpr80
	v_add_f32_e32 v56, v69, v56
	v_mul_f32_e32 v69, 0x3f3504f3, v56
	v_cmp_nlt_f32_e64 s[14:15], |v69|, 1.0
	s_and_saveexec_b64 s[42:43], s[14:15]
	s_xor_b64 s[14:15], exec, s[42:43]
	s_cbranch_execz .LBB421_47
; %bb.46:                               ;   in Loop: Header=BB421_9 Depth=1
	v_fma_f32 v80, |v69|, s31, v99
	v_fma_f32 v80, |v69|, v80, s33
	;; [unrolled: 1-line block ×6, first 2 shown]
	v_fma_f32 v80, |v69|, v80, |v69|
	v_mul_f32_e32 v81, 0xbfb8aa3b, v80
	v_fma_f32 v82, v80, s38, -v81
	v_rndne_f32_e32 v83, v81
	v_fmac_f32_e32 v82, 0xb2a5705f, v80
	v_sub_f32_e32 v81, v81, v83
	v_add_f32_e32 v81, v81, v82
	v_cvt_i32_f32_e32 v82, v83
	v_exp_f32_e32 v81, v81
	v_cmp_nlt_f32_e32 vcc, s39, v80
	v_ldexp_f32 v81, v81, v82
	s_nop 0
	v_cndmask_b32_e32 v81, 0, v81, vcc
	v_cmp_ngt_f32_e32 vcc, s40, v80
	s_nop 1
	v_cndmask_b32_e32 v80, v100, v81, vcc
	v_sub_f32_e32 v80, 1.0, v80
.LBB421_47:                             ;   in Loop: Header=BB421_9 Depth=1
	s_andn2_saveexec_b64 s[14:15], s[14:15]
; %bb.48:                               ;   in Loop: Header=BB421_9 Depth=1
	v_mul_f32_e32 v80, v69, v69
	v_fmamk_f32 v81, v80, 0xba1345e1, v98
	v_fmaak_f32 v81, v80, v81, 0xbcdac9b8
	v_fmaak_f32 v81, v80, v81, 0x3de703be
	;; [unrolled: 1-line block ×4, first 2 shown]
	v_fma_f32 v80, |v69|, v80, |v69|
; %bb.49:                               ;   in Loop: Header=BB421_9 Depth=1
	s_or_b64 exec, exec, s[14:15]
	v_bfi_b32 v78, s41, v79, v78
	v_cvt_f32_f16_sdwa v79, v48 dst_sel:DWORD dst_unused:UNUSED_PAD src0_sel:WORD_1
	v_cvt_f32_f16_e32 v48, v48
	v_mul_f32_e32 v68, 0.5, v68
	v_add_f32_e32 v78, 1.0, v78
	v_mul_f32_e32 v68, v68, v78
	v_cvt_f32_f16_e32 v78, v57
	s_waitcnt vmcnt(5)
	v_add_f32_e32 v64, v64, v48
	v_mul_f32_e32 v48, 0.5, v56
	v_bfi_b32 v56, s41, v80, v69
	v_add_f32_e32 v56, 1.0, v56
	v_mul_f32_e32 v69, v48, v56
	v_add_f32_e32 v48, v70, v78
	v_mul_f32_e32 v56, 0x3f3504f3, v48
	v_add_f32_e32 v65, v65, v79
	v_cmp_nlt_f32_e64 s[14:15], |v56|, 1.0
	;;#ASMSTART
	v_pk_mul_f32 v[64:65], v[68:69], v[64:65]
	;;#ASMEND
                                        ; implicit-def: $vgpr68
	s_and_saveexec_b64 s[42:43], s[14:15]
	s_xor_b64 s[14:15], exec, s[42:43]
	s_cbranch_execz .LBB421_51
; %bb.50:                               ;   in Loop: Header=BB421_9 Depth=1
	v_fma_f32 v68, |v56|, s31, v99
	v_fma_f32 v68, |v56|, v68, s33
	;; [unrolled: 1-line block ×6, first 2 shown]
	v_fma_f32 v68, |v56|, v68, |v56|
	v_mul_f32_e32 v69, 0xbfb8aa3b, v68
	v_fma_f32 v70, v68, s38, -v69
	v_rndne_f32_e32 v78, v69
	v_fmac_f32_e32 v70, 0xb2a5705f, v68
	v_sub_f32_e32 v69, v69, v78
	v_add_f32_e32 v69, v69, v70
	v_cvt_i32_f32_e32 v70, v78
	v_exp_f32_e32 v69, v69
	v_cmp_nlt_f32_e32 vcc, s39, v68
	v_ldexp_f32 v69, v69, v70
	s_nop 0
	v_cndmask_b32_e32 v69, 0, v69, vcc
	v_cmp_ngt_f32_e32 vcc, s40, v68
	s_nop 1
	v_cndmask_b32_e32 v68, v100, v69, vcc
	v_sub_f32_e32 v68, 1.0, v68
.LBB421_51:                             ;   in Loop: Header=BB421_9 Depth=1
	s_andn2_saveexec_b64 s[14:15], s[14:15]
; %bb.52:                               ;   in Loop: Header=BB421_9 Depth=1
	v_mul_f32_e32 v68, v56, v56
	v_fmamk_f32 v69, v68, 0xba1345e1, v98
	v_fmaak_f32 v69, v68, v69, 0xbcdac9b8
	v_fmaak_f32 v69, v68, v69, 0x3de703be
	;; [unrolled: 1-line block ×4, first 2 shown]
	v_fma_f32 v68, |v56|, v68, |v56|
; %bb.53:                               ;   in Loop: Header=BB421_9 Depth=1
	s_or_b64 exec, exec, s[14:15]
	v_cvt_f32_f16_sdwa v57, v57 dst_sel:DWORD dst_unused:UNUSED_PAD src0_sel:WORD_1
                                        ; implicit-def: $vgpr70
	v_add_f32_e32 v57, v71, v57
	v_mul_f32_e32 v69, 0x3f3504f3, v57
	v_cmp_nlt_f32_e64 s[14:15], |v69|, 1.0
	s_and_saveexec_b64 s[42:43], s[14:15]
	s_xor_b64 s[14:15], exec, s[42:43]
	s_cbranch_execz .LBB421_55
; %bb.54:                               ;   in Loop: Header=BB421_9 Depth=1
	v_fma_f32 v70, |v69|, s31, v99
	v_fma_f32 v70, |v69|, v70, s33
	;; [unrolled: 1-line block ×6, first 2 shown]
	v_fma_f32 v70, |v69|, v70, |v69|
	v_mul_f32_e32 v71, 0xbfb8aa3b, v70
	v_fma_f32 v78, v70, s38, -v71
	v_rndne_f32_e32 v79, v71
	v_fmac_f32_e32 v78, 0xb2a5705f, v70
	v_sub_f32_e32 v71, v71, v79
	v_add_f32_e32 v71, v71, v78
	v_cvt_i32_f32_e32 v78, v79
	v_exp_f32_e32 v71, v71
	v_cmp_nlt_f32_e32 vcc, s39, v70
	v_ldexp_f32 v71, v71, v78
	s_nop 0
	v_cndmask_b32_e32 v71, 0, v71, vcc
	v_cmp_ngt_f32_e32 vcc, s40, v70
	s_nop 1
	v_cndmask_b32_e32 v70, v100, v71, vcc
	v_sub_f32_e32 v70, 1.0, v70
.LBB421_55:                             ;   in Loop: Header=BB421_9 Depth=1
	s_andn2_saveexec_b64 s[14:15], s[14:15]
; %bb.56:                               ;   in Loop: Header=BB421_9 Depth=1
	v_mul_f32_e32 v70, v69, v69
	v_fmamk_f32 v71, v70, 0xba1345e1, v98
	v_fmaak_f32 v71, v70, v71, 0xbcdac9b8
	v_fmaak_f32 v71, v70, v71, 0x3de703be
	v_fmaak_f32 v71, v70, v71, 0xbec09330
	v_fmaak_f32 v70, v70, v71, 0x3e0375d0
	v_fma_f32 v70, |v69|, v70, |v69|
; %bb.57:                               ;   in Loop: Header=BB421_9 Depth=1
	s_or_b64 exec, exec, s[14:15]
	v_bfi_b32 v56, s41, v68, v56
	v_cvt_f32_f16_sdwa v68, v49 dst_sel:DWORD dst_unused:UNUSED_PAD src0_sel:WORD_1
	v_cvt_f32_f16_e32 v49, v49
	v_mul_f32_e32 v48, 0.5, v48
	v_add_f32_e32 v56, 1.0, v56
	v_mul_f32_e32 v48, v48, v56
	v_add_f32_e32 v66, v66, v49
	v_mul_f32_e32 v49, 0.5, v57
	v_cvt_f32_f16_e32 v57, v58
	v_bfi_b32 v56, s41, v70, v69
	v_add_f32_e32 v56, 1.0, v56
	v_mul_f32_e32 v49, v49, v56
	v_add_f32_e32 v56, v60, v57
	v_mul_f32_e32 v57, 0x3f3504f3, v56
	v_cmp_nlt_f32_e64 s[14:15], |v57|, 1.0
	v_add_f32_e32 v67, v67, v68
	;;#ASMSTART
	v_pk_mul_f32 v[48:49], v[48:49], v[66:67]
	;;#ASMEND
                                        ; implicit-def: $vgpr60
	s_and_saveexec_b64 s[42:43], s[14:15]
	s_xor_b64 s[14:15], exec, s[42:43]
	s_cbranch_execz .LBB421_59
; %bb.58:                               ;   in Loop: Header=BB421_9 Depth=1
	v_fma_f32 v60, |v57|, s31, v99
	v_fma_f32 v60, |v57|, v60, s33
	v_fma_f32 v60, |v57|, v60, s34
	v_fma_f32 v60, |v57|, v60, s35
	v_fma_f32 v60, |v57|, v60, s36
	v_fma_f32 v60, |v57|, v60, s37
	v_fma_f32 v60, |v57|, v60, |v57|
	v_mul_f32_e32 v66, 0xbfb8aa3b, v60
	v_fma_f32 v67, v60, s38, -v66
	v_rndne_f32_e32 v68, v66
	v_fmac_f32_e32 v67, 0xb2a5705f, v60
	v_sub_f32_e32 v66, v66, v68
	v_add_f32_e32 v66, v66, v67
	v_cvt_i32_f32_e32 v67, v68
	v_exp_f32_e32 v66, v66
	v_cmp_nlt_f32_e32 vcc, s39, v60
	v_ldexp_f32 v66, v66, v67
	s_nop 0
	v_cndmask_b32_e32 v66, 0, v66, vcc
	v_cmp_ngt_f32_e32 vcc, s40, v60
	s_nop 1
	v_cndmask_b32_e32 v60, v100, v66, vcc
	v_sub_f32_e32 v60, 1.0, v60
.LBB421_59:                             ;   in Loop: Header=BB421_9 Depth=1
	s_andn2_saveexec_b64 s[14:15], s[14:15]
; %bb.60:                               ;   in Loop: Header=BB421_9 Depth=1
	v_mul_f32_e32 v60, v57, v57
	v_fmamk_f32 v66, v60, 0xba1345e1, v98
	v_fmaak_f32 v66, v60, v66, 0xbcdac9b8
	v_fmaak_f32 v66, v60, v66, 0x3de703be
	;; [unrolled: 1-line block ×4, first 2 shown]
	v_fma_f32 v60, |v57|, v60, |v57|
; %bb.61:                               ;   in Loop: Header=BB421_9 Depth=1
	s_or_b64 exec, exec, s[14:15]
	v_cvt_f32_f16_sdwa v58, v58 dst_sel:DWORD dst_unused:UNUSED_PAD src0_sel:WORD_1
                                        ; implicit-def: $vgpr66
	v_add_f32_e32 v58, v61, v58
	v_mul_f32_e32 v61, 0x3f3504f3, v58
	v_cmp_nlt_f32_e64 s[14:15], |v61|, 1.0
	s_and_saveexec_b64 s[42:43], s[14:15]
	s_xor_b64 s[14:15], exec, s[42:43]
	s_cbranch_execz .LBB421_63
; %bb.62:                               ;   in Loop: Header=BB421_9 Depth=1
	v_fma_f32 v66, |v61|, s31, v99
	v_fma_f32 v66, |v61|, v66, s33
	;; [unrolled: 1-line block ×6, first 2 shown]
	v_fma_f32 v66, |v61|, v66, |v61|
	v_mul_f32_e32 v67, 0xbfb8aa3b, v66
	v_fma_f32 v68, v66, s38, -v67
	v_rndne_f32_e32 v69, v67
	v_fmac_f32_e32 v68, 0xb2a5705f, v66
	v_sub_f32_e32 v67, v67, v69
	v_add_f32_e32 v67, v67, v68
	v_cvt_i32_f32_e32 v68, v69
	v_exp_f32_e32 v67, v67
	v_cmp_nlt_f32_e32 vcc, s39, v66
	v_ldexp_f32 v67, v67, v68
	s_nop 0
	v_cndmask_b32_e32 v67, 0, v67, vcc
	v_cmp_ngt_f32_e32 vcc, s40, v66
	s_nop 1
	v_cndmask_b32_e32 v66, v100, v67, vcc
	v_sub_f32_e32 v66, 1.0, v66
.LBB421_63:                             ;   in Loop: Header=BB421_9 Depth=1
	s_andn2_saveexec_b64 s[14:15], s[14:15]
; %bb.64:                               ;   in Loop: Header=BB421_9 Depth=1
	v_mul_f32_e32 v66, v61, v61
	v_fmamk_f32 v67, v66, 0xba1345e1, v98
	v_fmaak_f32 v67, v66, v67, 0xbcdac9b8
	v_fmaak_f32 v67, v66, v67, 0x3de703be
	;; [unrolled: 1-line block ×4, first 2 shown]
	v_fma_f32 v66, |v61|, v66, |v61|
; %bb.65:                               ;   in Loop: Header=BB421_9 Depth=1
	s_or_b64 exec, exec, s[14:15]
	v_bfi_b32 v57, s41, v60, v57
	v_cvt_f32_f16_sdwa v60, v50 dst_sel:DWORD dst_unused:UNUSED_PAD src0_sel:WORD_1
	v_cvt_f32_f16_e32 v50, v50
	v_mul_f32_e32 v56, 0.5, v56
	v_add_f32_e32 v57, 1.0, v57
	v_mul_f32_e32 v56, v56, v57
	s_waitcnt vmcnt(4)
	v_add_f32_e32 v52, v52, v50
	v_mul_f32_e32 v50, 0.5, v58
	v_cvt_f32_f16_e32 v58, v59
	v_bfi_b32 v57, s41, v66, v61
	v_add_f32_e32 v57, 1.0, v57
	v_add_f32_e32 v53, v53, v60
	v_mul_f32_e32 v57, v50, v57
	v_add_f32_e32 v50, v62, v58
	;;#ASMSTART
	v_pk_mul_f32 v[52:53], v[56:57], v[52:53]
	;;#ASMEND
	v_mul_f32_e32 v56, 0x3f3504f3, v50
	v_cmp_nlt_f32_e64 s[14:15], |v56|, 1.0
                                        ; implicit-def: $vgpr57
	s_and_saveexec_b64 s[42:43], s[14:15]
	s_xor_b64 s[14:15], exec, s[42:43]
	s_cbranch_execz .LBB421_67
; %bb.66:                               ;   in Loop: Header=BB421_9 Depth=1
	v_fma_f32 v57, |v56|, s31, v99
	v_fma_f32 v57, |v56|, v57, s33
	;; [unrolled: 1-line block ×6, first 2 shown]
	v_fma_f32 v57, |v56|, v57, |v56|
	v_mul_f32_e32 v58, 0xbfb8aa3b, v57
	v_fma_f32 v60, v57, s38, -v58
	v_rndne_f32_e32 v61, v58
	v_fmac_f32_e32 v60, 0xb2a5705f, v57
	v_sub_f32_e32 v58, v58, v61
	v_add_f32_e32 v58, v58, v60
	v_cvt_i32_f32_e32 v60, v61
	v_exp_f32_e32 v58, v58
	v_cmp_nlt_f32_e32 vcc, s39, v57
	v_ldexp_f32 v58, v58, v60
	s_nop 0
	v_cndmask_b32_e32 v58, 0, v58, vcc
	v_cmp_ngt_f32_e32 vcc, s40, v57
	s_nop 1
	v_cndmask_b32_e32 v57, v100, v58, vcc
	v_sub_f32_e32 v57, 1.0, v57
.LBB421_67:                             ;   in Loop: Header=BB421_9 Depth=1
	s_andn2_saveexec_b64 s[14:15], s[14:15]
; %bb.68:                               ;   in Loop: Header=BB421_9 Depth=1
	v_mul_f32_e32 v57, v56, v56
	v_fmamk_f32 v58, v57, 0xba1345e1, v98
	v_fmaak_f32 v58, v57, v58, 0xbcdac9b8
	v_fmaak_f32 v58, v57, v58, 0x3de703be
	v_fmaak_f32 v58, v57, v58, 0xbec09330
	v_fmaak_f32 v57, v57, v58, 0x3e0375d0
	v_fma_f32 v57, |v56|, v57, |v56|
; %bb.69:                               ;   in Loop: Header=BB421_9 Depth=1
	s_or_b64 exec, exec, s[14:15]
	v_cvt_f32_f16_sdwa v58, v59 dst_sel:DWORD dst_unused:UNUSED_PAD src0_sel:WORD_1
                                        ; implicit-def: $vgpr60
	v_add_f32_e32 v58, v63, v58
	v_mul_f32_e32 v59, 0x3f3504f3, v58
	v_cmp_nlt_f32_e64 s[14:15], |v59|, 1.0
	s_and_saveexec_b64 s[42:43], s[14:15]
	s_xor_b64 s[14:15], exec, s[42:43]
	s_cbranch_execz .LBB421_71
; %bb.70:                               ;   in Loop: Header=BB421_9 Depth=1
	v_fma_f32 v60, |v59|, s31, v99
	v_fma_f32 v60, |v59|, v60, s33
	v_fma_f32 v60, |v59|, v60, s34
	v_fma_f32 v60, |v59|, v60, s35
	v_fma_f32 v60, |v59|, v60, s36
	v_fma_f32 v60, |v59|, v60, s37
	v_fma_f32 v60, |v59|, v60, |v59|
	v_mul_f32_e32 v61, 0xbfb8aa3b, v60
	v_fma_f32 v62, v60, s38, -v61
	v_rndne_f32_e32 v63, v61
	v_fmac_f32_e32 v62, 0xb2a5705f, v60
	v_sub_f32_e32 v61, v61, v63
	v_add_f32_e32 v61, v61, v62
	v_cvt_i32_f32_e32 v62, v63
	v_exp_f32_e32 v61, v61
	v_cmp_nlt_f32_e32 vcc, s39, v60
	v_ldexp_f32 v61, v61, v62
	s_nop 0
	v_cndmask_b32_e32 v61, 0, v61, vcc
	v_cmp_ngt_f32_e32 vcc, s40, v60
	s_nop 1
	v_cndmask_b32_e32 v60, v100, v61, vcc
	v_sub_f32_e32 v60, 1.0, v60
.LBB421_71:                             ;   in Loop: Header=BB421_9 Depth=1
	s_andn2_saveexec_b64 s[14:15], s[14:15]
; %bb.72:                               ;   in Loop: Header=BB421_9 Depth=1
	v_mul_f32_e32 v60, v59, v59
	v_fmamk_f32 v61, v60, 0xba1345e1, v98
	v_fmaak_f32 v61, v60, v61, 0xbcdac9b8
	v_fmaak_f32 v61, v60, v61, 0x3de703be
	;; [unrolled: 1-line block ×4, first 2 shown]
	v_fma_f32 v60, |v59|, v60, |v59|
; %bb.73:                               ;   in Loop: Header=BB421_9 Depth=1
	s_or_b64 exec, exec, s[14:15]
	v_bfi_b32 v56, s41, v57, v56
	v_cvt_f32_f16_sdwa v57, v51 dst_sel:DWORD dst_unused:UNUSED_PAD src0_sel:WORD_1
	v_cvt_f32_f16_e32 v51, v51
	v_mul_f32_e32 v50, 0.5, v50
	v_add_f32_e32 v56, 1.0, v56
	v_add_f32_e32 v55, v55, v57
	v_cvt_f32_f16_e32 v57, v32
	v_mul_f32_e32 v50, v50, v56
	v_bfi_b32 v56, s41, v60, v59
	v_add_f32_e32 v54, v54, v51
	v_mul_f32_e32 v51, 0.5, v58
	v_add_f32_e32 v56, 1.0, v56
	v_mul_f32_e32 v51, v51, v56
	v_add_f32_e32 v44, v44, v57
	;;#ASMSTART
	v_pk_mul_f32 v[50:51], v[50:51], v[54:55]
	;;#ASMEND
	v_mul_f32_e32 v54, 0x3f3504f3, v44
	v_cmp_nlt_f32_e64 s[14:15], |v54|, 1.0
                                        ; implicit-def: $vgpr55
	s_and_saveexec_b64 s[42:43], s[14:15]
	s_xor_b64 s[14:15], exec, s[42:43]
	s_cbranch_execz .LBB421_75
; %bb.74:                               ;   in Loop: Header=BB421_9 Depth=1
	v_fma_f32 v55, |v54|, s31, v99
	v_fma_f32 v55, |v54|, v55, s33
	;; [unrolled: 1-line block ×6, first 2 shown]
	v_fma_f32 v55, |v54|, v55, |v54|
	v_mul_f32_e32 v56, 0xbfb8aa3b, v55
	v_fma_f32 v57, v55, s38, -v56
	v_rndne_f32_e32 v58, v56
	v_fmac_f32_e32 v57, 0xb2a5705f, v55
	v_sub_f32_e32 v56, v56, v58
	v_add_f32_e32 v56, v56, v57
	v_cvt_i32_f32_e32 v57, v58
	v_exp_f32_e32 v56, v56
	v_cmp_nlt_f32_e32 vcc, s39, v55
	v_ldexp_f32 v56, v56, v57
	s_nop 0
	v_cndmask_b32_e32 v56, 0, v56, vcc
	v_cmp_ngt_f32_e32 vcc, s40, v55
	s_nop 1
	v_cndmask_b32_e32 v55, v100, v56, vcc
	v_sub_f32_e32 v55, 1.0, v55
.LBB421_75:                             ;   in Loop: Header=BB421_9 Depth=1
	s_andn2_saveexec_b64 s[14:15], s[14:15]
; %bb.76:                               ;   in Loop: Header=BB421_9 Depth=1
	v_mul_f32_e32 v55, v54, v54
	v_fmamk_f32 v56, v55, 0xba1345e1, v98
	v_fmaak_f32 v56, v55, v56, 0xbcdac9b8
	v_fmaak_f32 v56, v55, v56, 0x3de703be
	;; [unrolled: 1-line block ×4, first 2 shown]
	v_fma_f32 v55, |v54|, v55, |v54|
; %bb.77:                               ;   in Loop: Header=BB421_9 Depth=1
	s_or_b64 exec, exec, s[14:15]
	v_cvt_f32_f16_sdwa v32, v32 dst_sel:DWORD dst_unused:UNUSED_PAD src0_sel:WORD_1
                                        ; implicit-def: $vgpr56
	v_add_f32_e32 v32, v45, v32
	v_mul_f32_e32 v45, 0x3f3504f3, v32
	v_cmp_nlt_f32_e64 s[14:15], |v45|, 1.0
	s_and_saveexec_b64 s[42:43], s[14:15]
	s_xor_b64 s[14:15], exec, s[42:43]
	s_cbranch_execz .LBB421_79
; %bb.78:                               ;   in Loop: Header=BB421_9 Depth=1
	v_fma_f32 v56, |v45|, s31, v99
	v_fma_f32 v56, |v45|, v56, s33
	;; [unrolled: 1-line block ×6, first 2 shown]
	v_fma_f32 v56, |v45|, v56, |v45|
	v_mul_f32_e32 v57, 0xbfb8aa3b, v56
	v_fma_f32 v58, v56, s38, -v57
	v_rndne_f32_e32 v59, v57
	v_fmac_f32_e32 v58, 0xb2a5705f, v56
	v_sub_f32_e32 v57, v57, v59
	v_add_f32_e32 v57, v57, v58
	v_cvt_i32_f32_e32 v58, v59
	v_exp_f32_e32 v57, v57
	v_cmp_nlt_f32_e32 vcc, s39, v56
	v_ldexp_f32 v57, v57, v58
	s_nop 0
	v_cndmask_b32_e32 v57, 0, v57, vcc
	v_cmp_ngt_f32_e32 vcc, s40, v56
	s_nop 1
	v_cndmask_b32_e32 v56, v100, v57, vcc
	v_sub_f32_e32 v56, 1.0, v56
.LBB421_79:                             ;   in Loop: Header=BB421_9 Depth=1
	s_andn2_saveexec_b64 s[14:15], s[14:15]
; %bb.80:                               ;   in Loop: Header=BB421_9 Depth=1
	v_mul_f32_e32 v56, v45, v45
	v_fmamk_f32 v57, v56, 0xba1345e1, v98
	v_fmaak_f32 v57, v56, v57, 0xbcdac9b8
	v_fmaak_f32 v57, v56, v57, 0x3de703be
	v_fmaak_f32 v57, v56, v57, 0xbec09330
	v_fmaak_f32 v56, v56, v57, 0x3e0375d0
	v_fma_f32 v56, |v45|, v56, |v45|
; %bb.81:                               ;   in Loop: Header=BB421_9 Depth=1
	s_or_b64 exec, exec, s[14:15]
	v_bfi_b32 v54, s41, v55, v54
	v_cvt_f32_f16_sdwa v55, v24 dst_sel:DWORD dst_unused:UNUSED_PAD src0_sel:WORD_1
	v_cvt_f32_f16_e32 v24, v24
	v_mul_f32_e32 v44, 0.5, v44
	v_add_f32_e32 v54, 1.0, v54
	v_mul_f32_e32 v44, v44, v54
	v_cvt_f32_f16_e32 v54, v33
	s_waitcnt vmcnt(3)
	v_add_f32_e32 v40, v40, v24
	v_mul_f32_e32 v24, 0.5, v32
	v_bfi_b32 v32, s41, v56, v45
	v_add_f32_e32 v32, 1.0, v32
	v_mul_f32_e32 v45, v24, v32
	v_add_f32_e32 v24, v46, v54
	v_mul_f32_e32 v32, 0x3f3504f3, v24
	v_add_f32_e32 v41, v41, v55
	v_cmp_nlt_f32_e64 s[14:15], |v32|, 1.0
	;;#ASMSTART
	v_pk_mul_f32 v[40:41], v[44:45], v[40:41]
	;;#ASMEND
                                        ; implicit-def: $vgpr44
	s_and_saveexec_b64 s[42:43], s[14:15]
	s_xor_b64 s[14:15], exec, s[42:43]
	s_cbranch_execz .LBB421_83
; %bb.82:                               ;   in Loop: Header=BB421_9 Depth=1
	v_fma_f32 v44, |v32|, s31, v99
	v_fma_f32 v44, |v32|, v44, s33
	;; [unrolled: 1-line block ×6, first 2 shown]
	v_fma_f32 v44, |v32|, v44, |v32|
	v_mul_f32_e32 v45, 0xbfb8aa3b, v44
	v_fma_f32 v46, v44, s38, -v45
	v_rndne_f32_e32 v54, v45
	v_fmac_f32_e32 v46, 0xb2a5705f, v44
	v_sub_f32_e32 v45, v45, v54
	v_add_f32_e32 v45, v45, v46
	v_cvt_i32_f32_e32 v46, v54
	v_exp_f32_e32 v45, v45
	v_cmp_nlt_f32_e32 vcc, s39, v44
	v_ldexp_f32 v45, v45, v46
	s_nop 0
	v_cndmask_b32_e32 v45, 0, v45, vcc
	v_cmp_ngt_f32_e32 vcc, s40, v44
	s_nop 1
	v_cndmask_b32_e32 v44, v100, v45, vcc
	v_sub_f32_e32 v44, 1.0, v44
.LBB421_83:                             ;   in Loop: Header=BB421_9 Depth=1
	s_andn2_saveexec_b64 s[14:15], s[14:15]
; %bb.84:                               ;   in Loop: Header=BB421_9 Depth=1
	v_mul_f32_e32 v44, v32, v32
	v_fmamk_f32 v45, v44, 0xba1345e1, v98
	v_fmaak_f32 v45, v44, v45, 0xbcdac9b8
	v_fmaak_f32 v45, v44, v45, 0x3de703be
	;; [unrolled: 1-line block ×4, first 2 shown]
	v_fma_f32 v44, |v32|, v44, |v32|
; %bb.85:                               ;   in Loop: Header=BB421_9 Depth=1
	s_or_b64 exec, exec, s[14:15]
	v_cvt_f32_f16_sdwa v33, v33 dst_sel:DWORD dst_unused:UNUSED_PAD src0_sel:WORD_1
                                        ; implicit-def: $vgpr46
	v_add_f32_e32 v33, v47, v33
	v_mul_f32_e32 v45, 0x3f3504f3, v33
	v_cmp_nlt_f32_e64 s[14:15], |v45|, 1.0
	s_and_saveexec_b64 s[42:43], s[14:15]
	s_xor_b64 s[14:15], exec, s[42:43]
	s_cbranch_execz .LBB421_87
; %bb.86:                               ;   in Loop: Header=BB421_9 Depth=1
	v_fma_f32 v46, |v45|, s31, v99
	v_fma_f32 v46, |v45|, v46, s33
	;; [unrolled: 1-line block ×6, first 2 shown]
	v_fma_f32 v46, |v45|, v46, |v45|
	v_mul_f32_e32 v47, 0xbfb8aa3b, v46
	v_fma_f32 v54, v46, s38, -v47
	v_rndne_f32_e32 v55, v47
	v_fmac_f32_e32 v54, 0xb2a5705f, v46
	v_sub_f32_e32 v47, v47, v55
	v_add_f32_e32 v47, v47, v54
	v_cvt_i32_f32_e32 v54, v55
	v_exp_f32_e32 v47, v47
	v_cmp_nlt_f32_e32 vcc, s39, v46
	v_ldexp_f32 v47, v47, v54
	s_nop 0
	v_cndmask_b32_e32 v47, 0, v47, vcc
	v_cmp_ngt_f32_e32 vcc, s40, v46
	s_nop 1
	v_cndmask_b32_e32 v46, v100, v47, vcc
	v_sub_f32_e32 v46, 1.0, v46
.LBB421_87:                             ;   in Loop: Header=BB421_9 Depth=1
	s_andn2_saveexec_b64 s[14:15], s[14:15]
; %bb.88:                               ;   in Loop: Header=BB421_9 Depth=1
	v_mul_f32_e32 v46, v45, v45
	v_fmamk_f32 v47, v46, 0xba1345e1, v98
	v_fmaak_f32 v47, v46, v47, 0xbcdac9b8
	v_fmaak_f32 v47, v46, v47, 0x3de703be
	;; [unrolled: 1-line block ×4, first 2 shown]
	v_fma_f32 v46, |v45|, v46, |v45|
; %bb.89:                               ;   in Loop: Header=BB421_9 Depth=1
	s_or_b64 exec, exec, s[14:15]
	v_bfi_b32 v32, s41, v44, v32
	v_cvt_f32_f16_sdwa v44, v25 dst_sel:DWORD dst_unused:UNUSED_PAD src0_sel:WORD_1
	v_cvt_f32_f16_e32 v25, v25
	v_mul_f32_e32 v24, 0.5, v24
	v_add_f32_e32 v32, 1.0, v32
	v_mul_f32_e32 v24, v24, v32
	v_add_f32_e32 v42, v42, v25
	v_mul_f32_e32 v25, 0.5, v33
	v_cvt_f32_f16_e32 v33, v34
	v_bfi_b32 v32, s41, v46, v45
	v_add_f32_e32 v32, 1.0, v32
	v_mul_f32_e32 v25, v25, v32
	v_add_f32_e32 v32, v36, v33
	v_mul_f32_e32 v33, 0x3f3504f3, v32
	v_cmp_nlt_f32_e64 s[14:15], |v33|, 1.0
	v_add_f32_e32 v43, v43, v44
	;;#ASMSTART
	v_pk_mul_f32 v[24:25], v[24:25], v[42:43]
	;;#ASMEND
                                        ; implicit-def: $vgpr36
	s_and_saveexec_b64 s[42:43], s[14:15]
	s_xor_b64 s[14:15], exec, s[42:43]
	s_cbranch_execz .LBB421_91
; %bb.90:                               ;   in Loop: Header=BB421_9 Depth=1
	v_fma_f32 v36, |v33|, s31, v99
	v_fma_f32 v36, |v33|, v36, s33
	;; [unrolled: 1-line block ×6, first 2 shown]
	v_fma_f32 v36, |v33|, v36, |v33|
	v_mul_f32_e32 v42, 0xbfb8aa3b, v36
	v_fma_f32 v43, v36, s38, -v42
	v_rndne_f32_e32 v44, v42
	v_fmac_f32_e32 v43, 0xb2a5705f, v36
	v_sub_f32_e32 v42, v42, v44
	v_add_f32_e32 v42, v42, v43
	v_cvt_i32_f32_e32 v43, v44
	v_exp_f32_e32 v42, v42
	v_cmp_nlt_f32_e32 vcc, s39, v36
	v_ldexp_f32 v42, v42, v43
	s_nop 0
	v_cndmask_b32_e32 v42, 0, v42, vcc
	v_cmp_ngt_f32_e32 vcc, s40, v36
	s_nop 1
	v_cndmask_b32_e32 v36, v100, v42, vcc
	v_sub_f32_e32 v36, 1.0, v36
.LBB421_91:                             ;   in Loop: Header=BB421_9 Depth=1
	s_andn2_saveexec_b64 s[14:15], s[14:15]
; %bb.92:                               ;   in Loop: Header=BB421_9 Depth=1
	v_mul_f32_e32 v36, v33, v33
	v_fmamk_f32 v42, v36, 0xba1345e1, v98
	v_fmaak_f32 v42, v36, v42, 0xbcdac9b8
	v_fmaak_f32 v42, v36, v42, 0x3de703be
	;; [unrolled: 1-line block ×4, first 2 shown]
	v_fma_f32 v36, |v33|, v36, |v33|
; %bb.93:                               ;   in Loop: Header=BB421_9 Depth=1
	s_or_b64 exec, exec, s[14:15]
	v_cvt_f32_f16_sdwa v34, v34 dst_sel:DWORD dst_unused:UNUSED_PAD src0_sel:WORD_1
                                        ; implicit-def: $vgpr42
	v_add_f32_e32 v34, v37, v34
	v_mul_f32_e32 v37, 0x3f3504f3, v34
	v_cmp_nlt_f32_e64 s[14:15], |v37|, 1.0
	s_and_saveexec_b64 s[42:43], s[14:15]
	s_xor_b64 s[14:15], exec, s[42:43]
	s_cbranch_execz .LBB421_95
; %bb.94:                               ;   in Loop: Header=BB421_9 Depth=1
	v_fma_f32 v42, |v37|, s31, v99
	v_fma_f32 v42, |v37|, v42, s33
	;; [unrolled: 1-line block ×6, first 2 shown]
	v_fma_f32 v42, |v37|, v42, |v37|
	v_mul_f32_e32 v43, 0xbfb8aa3b, v42
	v_fma_f32 v44, v42, s38, -v43
	v_rndne_f32_e32 v45, v43
	v_fmac_f32_e32 v44, 0xb2a5705f, v42
	v_sub_f32_e32 v43, v43, v45
	v_add_f32_e32 v43, v43, v44
	v_cvt_i32_f32_e32 v44, v45
	v_exp_f32_e32 v43, v43
	v_cmp_nlt_f32_e32 vcc, s39, v42
	v_ldexp_f32 v43, v43, v44
	s_nop 0
	v_cndmask_b32_e32 v43, 0, v43, vcc
	v_cmp_ngt_f32_e32 vcc, s40, v42
	s_nop 1
	v_cndmask_b32_e32 v42, v100, v43, vcc
	v_sub_f32_e32 v42, 1.0, v42
.LBB421_95:                             ;   in Loop: Header=BB421_9 Depth=1
	s_andn2_saveexec_b64 s[14:15], s[14:15]
; %bb.96:                               ;   in Loop: Header=BB421_9 Depth=1
	v_mul_f32_e32 v42, v37, v37
	v_fmamk_f32 v43, v42, 0xba1345e1, v98
	v_fmaak_f32 v43, v42, v43, 0xbcdac9b8
	v_fmaak_f32 v43, v42, v43, 0x3de703be
	;; [unrolled: 1-line block ×4, first 2 shown]
	v_fma_f32 v42, |v37|, v42, |v37|
; %bb.97:                               ;   in Loop: Header=BB421_9 Depth=1
	s_or_b64 exec, exec, s[14:15]
	v_bfi_b32 v33, s41, v36, v33
	v_cvt_f32_f16_sdwa v36, v26 dst_sel:DWORD dst_unused:UNUSED_PAD src0_sel:WORD_1
	v_cvt_f32_f16_e32 v26, v26
	v_mul_f32_e32 v32, 0.5, v32
	v_add_f32_e32 v33, 1.0, v33
	v_mul_f32_e32 v32, v32, v33
	s_waitcnt vmcnt(2)
	v_add_f32_e32 v28, v28, v26
	v_mul_f32_e32 v26, 0.5, v34
	v_cvt_f32_f16_e32 v34, v35
	v_bfi_b32 v33, s41, v42, v37
	v_add_f32_e32 v33, 1.0, v33
	v_add_f32_e32 v29, v29, v36
	v_mul_f32_e32 v33, v26, v33
	v_add_f32_e32 v26, v38, v34
	;;#ASMSTART
	v_pk_mul_f32 v[28:29], v[32:33], v[28:29]
	;;#ASMEND
	v_mul_f32_e32 v32, 0x3f3504f3, v26
	v_cmp_nlt_f32_e64 s[14:15], |v32|, 1.0
                                        ; implicit-def: $vgpr33
	s_and_saveexec_b64 s[42:43], s[14:15]
	s_xor_b64 s[14:15], exec, s[42:43]
	s_cbranch_execz .LBB421_99
; %bb.98:                               ;   in Loop: Header=BB421_9 Depth=1
	v_fma_f32 v33, |v32|, s31, v99
	v_fma_f32 v33, |v32|, v33, s33
	;; [unrolled: 1-line block ×6, first 2 shown]
	v_fma_f32 v33, |v32|, v33, |v32|
	v_mul_f32_e32 v34, 0xbfb8aa3b, v33
	v_fma_f32 v36, v33, s38, -v34
	v_rndne_f32_e32 v37, v34
	v_fmac_f32_e32 v36, 0xb2a5705f, v33
	v_sub_f32_e32 v34, v34, v37
	v_add_f32_e32 v34, v34, v36
	v_cvt_i32_f32_e32 v36, v37
	v_exp_f32_e32 v34, v34
	v_cmp_nlt_f32_e32 vcc, s39, v33
	v_ldexp_f32 v34, v34, v36
	s_nop 0
	v_cndmask_b32_e32 v34, 0, v34, vcc
	v_cmp_ngt_f32_e32 vcc, s40, v33
	s_nop 1
	v_cndmask_b32_e32 v33, v100, v34, vcc
	v_sub_f32_e32 v33, 1.0, v33
.LBB421_99:                             ;   in Loop: Header=BB421_9 Depth=1
	s_andn2_saveexec_b64 s[14:15], s[14:15]
; %bb.100:                              ;   in Loop: Header=BB421_9 Depth=1
	v_mul_f32_e32 v33, v32, v32
	v_fmamk_f32 v34, v33, 0xba1345e1, v98
	v_fmaak_f32 v34, v33, v34, 0xbcdac9b8
	v_fmaak_f32 v34, v33, v34, 0x3de703be
	v_fmaak_f32 v34, v33, v34, 0xbec09330
	v_fmaak_f32 v33, v33, v34, 0x3e0375d0
	v_fma_f32 v33, |v32|, v33, |v32|
; %bb.101:                              ;   in Loop: Header=BB421_9 Depth=1
	s_or_b64 exec, exec, s[14:15]
	v_cvt_f32_f16_sdwa v34, v35 dst_sel:DWORD dst_unused:UNUSED_PAD src0_sel:WORD_1
                                        ; implicit-def: $vgpr36
	v_add_f32_e32 v34, v39, v34
	v_mul_f32_e32 v35, 0x3f3504f3, v34
	v_cmp_nlt_f32_e64 s[14:15], |v35|, 1.0
	s_and_saveexec_b64 s[42:43], s[14:15]
	s_xor_b64 s[14:15], exec, s[42:43]
	s_cbranch_execz .LBB421_103
; %bb.102:                              ;   in Loop: Header=BB421_9 Depth=1
	v_fma_f32 v36, |v35|, s31, v99
	v_fma_f32 v36, |v35|, v36, s33
	;; [unrolled: 1-line block ×6, first 2 shown]
	v_fma_f32 v36, |v35|, v36, |v35|
	v_mul_f32_e32 v37, 0xbfb8aa3b, v36
	v_fma_f32 v38, v36, s38, -v37
	v_rndne_f32_e32 v39, v37
	v_fmac_f32_e32 v38, 0xb2a5705f, v36
	v_sub_f32_e32 v37, v37, v39
	v_add_f32_e32 v37, v37, v38
	v_cvt_i32_f32_e32 v38, v39
	v_exp_f32_e32 v37, v37
	v_cmp_nlt_f32_e32 vcc, s39, v36
	v_ldexp_f32 v37, v37, v38
	s_nop 0
	v_cndmask_b32_e32 v37, 0, v37, vcc
	v_cmp_ngt_f32_e32 vcc, s40, v36
	s_nop 1
	v_cndmask_b32_e32 v36, v100, v37, vcc
	v_sub_f32_e32 v36, 1.0, v36
.LBB421_103:                            ;   in Loop: Header=BB421_9 Depth=1
	s_andn2_saveexec_b64 s[14:15], s[14:15]
; %bb.104:                              ;   in Loop: Header=BB421_9 Depth=1
	v_mul_f32_e32 v36, v35, v35
	v_fmamk_f32 v37, v36, 0xba1345e1, v98
	v_fmaak_f32 v37, v36, v37, 0xbcdac9b8
	v_fmaak_f32 v37, v36, v37, 0x3de703be
	;; [unrolled: 1-line block ×4, first 2 shown]
	v_fma_f32 v36, |v35|, v36, |v35|
; %bb.105:                              ;   in Loop: Header=BB421_9 Depth=1
	s_or_b64 exec, exec, s[14:15]
	v_bfi_b32 v32, s41, v33, v32
	v_cvt_f32_f16_sdwa v33, v27 dst_sel:DWORD dst_unused:UNUSED_PAD src0_sel:WORD_1
	v_cvt_f32_f16_e32 v27, v27
	v_mul_f32_e32 v26, 0.5, v26
	v_add_f32_e32 v32, 1.0, v32
	v_add_f32_e32 v31, v31, v33
	v_cvt_f32_f16_e32 v33, v8
	v_mul_f32_e32 v26, v26, v32
	v_bfi_b32 v32, s41, v36, v35
	v_add_f32_e32 v30, v30, v27
	v_mul_f32_e32 v27, 0.5, v34
	v_add_f32_e32 v32, 1.0, v32
	v_mul_f32_e32 v27, v27, v32
	v_add_f32_e32 v20, v20, v33
	;;#ASMSTART
	v_pk_mul_f32 v[26:27], v[26:27], v[30:31]
	;;#ASMEND
	v_mul_f32_e32 v30, 0x3f3504f3, v20
	v_cmp_nlt_f32_e64 s[14:15], |v30|, 1.0
                                        ; implicit-def: $vgpr31
	s_and_saveexec_b64 s[42:43], s[14:15]
	s_xor_b64 s[14:15], exec, s[42:43]
	s_cbranch_execz .LBB421_107
; %bb.106:                              ;   in Loop: Header=BB421_9 Depth=1
	v_fma_f32 v31, |v30|, s31, v99
	v_fma_f32 v31, |v30|, v31, s33
	;; [unrolled: 1-line block ×6, first 2 shown]
	v_fma_f32 v31, |v30|, v31, |v30|
	v_mul_f32_e32 v32, 0xbfb8aa3b, v31
	v_fma_f32 v33, v31, s38, -v32
	v_rndne_f32_e32 v34, v32
	v_fmac_f32_e32 v33, 0xb2a5705f, v31
	v_sub_f32_e32 v32, v32, v34
	v_add_f32_e32 v32, v32, v33
	v_cvt_i32_f32_e32 v33, v34
	v_exp_f32_e32 v32, v32
	v_cmp_nlt_f32_e32 vcc, s39, v31
	v_ldexp_f32 v32, v32, v33
	s_nop 0
	v_cndmask_b32_e32 v32, 0, v32, vcc
	v_cmp_ngt_f32_e32 vcc, s40, v31
	s_nop 1
	v_cndmask_b32_e32 v31, v100, v32, vcc
	v_sub_f32_e32 v31, 1.0, v31
.LBB421_107:                            ;   in Loop: Header=BB421_9 Depth=1
	s_andn2_saveexec_b64 s[14:15], s[14:15]
; %bb.108:                              ;   in Loop: Header=BB421_9 Depth=1
	v_mul_f32_e32 v31, v30, v30
	v_fmamk_f32 v32, v31, 0xba1345e1, v98
	v_fmaak_f32 v32, v31, v32, 0xbcdac9b8
	v_fmaak_f32 v32, v31, v32, 0x3de703be
	;; [unrolled: 1-line block ×4, first 2 shown]
	v_fma_f32 v31, |v30|, v31, |v30|
; %bb.109:                              ;   in Loop: Header=BB421_9 Depth=1
	s_or_b64 exec, exec, s[14:15]
	v_cvt_f32_f16_sdwa v8, v8 dst_sel:DWORD dst_unused:UNUSED_PAD src0_sel:WORD_1
                                        ; implicit-def: $vgpr32
	v_add_f32_e32 v8, v21, v8
	v_mul_f32_e32 v21, 0x3f3504f3, v8
	v_cmp_nlt_f32_e64 s[14:15], |v21|, 1.0
	s_and_saveexec_b64 s[42:43], s[14:15]
	s_xor_b64 s[14:15], exec, s[42:43]
	s_cbranch_execz .LBB421_111
; %bb.110:                              ;   in Loop: Header=BB421_9 Depth=1
	v_fma_f32 v32, |v21|, s31, v99
	v_fma_f32 v32, |v21|, v32, s33
	;; [unrolled: 1-line block ×6, first 2 shown]
	v_fma_f32 v32, |v21|, v32, |v21|
	v_mul_f32_e32 v33, 0xbfb8aa3b, v32
	v_fma_f32 v34, v32, s38, -v33
	v_rndne_f32_e32 v35, v33
	v_fmac_f32_e32 v34, 0xb2a5705f, v32
	v_sub_f32_e32 v33, v33, v35
	v_add_f32_e32 v33, v33, v34
	v_cvt_i32_f32_e32 v34, v35
	v_exp_f32_e32 v33, v33
	v_cmp_nlt_f32_e32 vcc, s39, v32
	v_ldexp_f32 v33, v33, v34
	s_nop 0
	v_cndmask_b32_e32 v33, 0, v33, vcc
	v_cmp_ngt_f32_e32 vcc, s40, v32
	s_nop 1
	v_cndmask_b32_e32 v32, v100, v33, vcc
	v_sub_f32_e32 v32, 1.0, v32
.LBB421_111:                            ;   in Loop: Header=BB421_9 Depth=1
	s_andn2_saveexec_b64 s[14:15], s[14:15]
; %bb.112:                              ;   in Loop: Header=BB421_9 Depth=1
	v_mul_f32_e32 v32, v21, v21
	v_fmamk_f32 v33, v32, 0xba1345e1, v98
	v_fmaak_f32 v33, v32, v33, 0xbcdac9b8
	v_fmaak_f32 v33, v32, v33, 0x3de703be
	;; [unrolled: 1-line block ×4, first 2 shown]
	v_fma_f32 v32, |v21|, v32, |v21|
; %bb.113:                              ;   in Loop: Header=BB421_9 Depth=1
	s_or_b64 exec, exec, s[14:15]
	v_bfi_b32 v30, s41, v31, v30
	v_cvt_f32_f16_sdwa v31, v0 dst_sel:DWORD dst_unused:UNUSED_PAD src0_sel:WORD_1
	v_cvt_f32_f16_e32 v0, v0
	v_mul_f32_e32 v20, 0.5, v20
	v_add_f32_e32 v30, 1.0, v30
	v_mul_f32_e32 v20, v20, v30
	v_cvt_f32_f16_e32 v30, v9
	s_waitcnt vmcnt(1)
	v_add_f32_e32 v16, v16, v0
	v_mul_f32_e32 v0, 0.5, v8
	v_bfi_b32 v8, s41, v32, v21
	v_add_f32_e32 v8, 1.0, v8
	v_mul_f32_e32 v21, v0, v8
	v_add_f32_e32 v0, v22, v30
	v_mul_f32_e32 v8, 0x3f3504f3, v0
	v_add_f32_e32 v17, v17, v31
	v_cmp_nlt_f32_e64 s[14:15], |v8|, 1.0
	;;#ASMSTART
	v_pk_mul_f32 v[16:17], v[20:21], v[16:17]
	;;#ASMEND
                                        ; implicit-def: $vgpr20
	s_and_saveexec_b64 s[42:43], s[14:15]
	s_xor_b64 s[14:15], exec, s[42:43]
	s_cbranch_execz .LBB421_115
; %bb.114:                              ;   in Loop: Header=BB421_9 Depth=1
	v_fma_f32 v20, |v8|, s31, v99
	v_fma_f32 v20, |v8|, v20, s33
	;; [unrolled: 1-line block ×6, first 2 shown]
	v_fma_f32 v20, |v8|, v20, |v8|
	v_mul_f32_e32 v21, 0xbfb8aa3b, v20
	v_fma_f32 v22, v20, s38, -v21
	v_rndne_f32_e32 v30, v21
	v_fmac_f32_e32 v22, 0xb2a5705f, v20
	v_sub_f32_e32 v21, v21, v30
	v_add_f32_e32 v21, v21, v22
	v_cvt_i32_f32_e32 v22, v30
	v_exp_f32_e32 v21, v21
	v_cmp_nlt_f32_e32 vcc, s39, v20
	v_ldexp_f32 v21, v21, v22
	s_nop 0
	v_cndmask_b32_e32 v21, 0, v21, vcc
	v_cmp_ngt_f32_e32 vcc, s40, v20
	s_nop 1
	v_cndmask_b32_e32 v20, v100, v21, vcc
	v_sub_f32_e32 v20, 1.0, v20
.LBB421_115:                            ;   in Loop: Header=BB421_9 Depth=1
	s_andn2_saveexec_b64 s[14:15], s[14:15]
; %bb.116:                              ;   in Loop: Header=BB421_9 Depth=1
	v_mul_f32_e32 v20, v8, v8
	v_fmamk_f32 v21, v20, 0xba1345e1, v98
	v_fmaak_f32 v21, v20, v21, 0xbcdac9b8
	v_fmaak_f32 v21, v20, v21, 0x3de703be
	v_fmaak_f32 v21, v20, v21, 0xbec09330
	v_fmaak_f32 v20, v20, v21, 0x3e0375d0
	v_fma_f32 v20, |v8|, v20, |v8|
; %bb.117:                              ;   in Loop: Header=BB421_9 Depth=1
	s_or_b64 exec, exec, s[14:15]
	v_cvt_f32_f16_sdwa v9, v9 dst_sel:DWORD dst_unused:UNUSED_PAD src0_sel:WORD_1
                                        ; implicit-def: $vgpr22
	v_add_f32_e32 v9, v23, v9
	v_mul_f32_e32 v21, 0x3f3504f3, v9
	v_cmp_nlt_f32_e64 s[14:15], |v21|, 1.0
	s_and_saveexec_b64 s[42:43], s[14:15]
	s_xor_b64 s[14:15], exec, s[42:43]
	s_cbranch_execz .LBB421_119
; %bb.118:                              ;   in Loop: Header=BB421_9 Depth=1
	v_fma_f32 v22, |v21|, s31, v99
	v_fma_f32 v22, |v21|, v22, s33
	v_fma_f32 v22, |v21|, v22, s34
	v_fma_f32 v22, |v21|, v22, s35
	v_fma_f32 v22, |v21|, v22, s36
	v_fma_f32 v22, |v21|, v22, s37
	v_fma_f32 v22, |v21|, v22, |v21|
	v_mul_f32_e32 v23, 0xbfb8aa3b, v22
	v_fma_f32 v30, v22, s38, -v23
	v_rndne_f32_e32 v31, v23
	v_fmac_f32_e32 v30, 0xb2a5705f, v22
	v_sub_f32_e32 v23, v23, v31
	v_add_f32_e32 v23, v23, v30
	v_cvt_i32_f32_e32 v30, v31
	v_exp_f32_e32 v23, v23
	v_cmp_nlt_f32_e32 vcc, s39, v22
	v_ldexp_f32 v23, v23, v30
	s_nop 0
	v_cndmask_b32_e32 v23, 0, v23, vcc
	v_cmp_ngt_f32_e32 vcc, s40, v22
	s_nop 1
	v_cndmask_b32_e32 v22, v100, v23, vcc
	v_sub_f32_e32 v22, 1.0, v22
.LBB421_119:                            ;   in Loop: Header=BB421_9 Depth=1
	s_andn2_saveexec_b64 s[14:15], s[14:15]
; %bb.120:                              ;   in Loop: Header=BB421_9 Depth=1
	v_mul_f32_e32 v22, v21, v21
	v_fmamk_f32 v23, v22, 0xba1345e1, v98
	v_fmaak_f32 v23, v22, v23, 0xbcdac9b8
	v_fmaak_f32 v23, v22, v23, 0x3de703be
	;; [unrolled: 1-line block ×4, first 2 shown]
	v_fma_f32 v22, |v21|, v22, |v21|
; %bb.121:                              ;   in Loop: Header=BB421_9 Depth=1
	s_or_b64 exec, exec, s[14:15]
	v_bfi_b32 v8, s41, v20, v8
	v_cvt_f32_f16_sdwa v20, v1 dst_sel:DWORD dst_unused:UNUSED_PAD src0_sel:WORD_1
	v_cvt_f32_f16_e32 v1, v1
	v_mul_f32_e32 v0, 0.5, v0
	v_add_f32_e32 v8, 1.0, v8
	v_mul_f32_e32 v0, v0, v8
	v_add_f32_e32 v18, v18, v1
	v_mul_f32_e32 v1, 0.5, v9
	v_cvt_f32_f16_e32 v9, v10
	v_bfi_b32 v8, s41, v22, v21
	v_add_f32_e32 v8, 1.0, v8
	v_mul_f32_e32 v1, v1, v8
	v_add_f32_e32 v8, v12, v9
	v_mul_f32_e32 v9, 0x3f3504f3, v8
	v_cmp_nlt_f32_e64 s[14:15], |v9|, 1.0
	v_add_f32_e32 v19, v19, v20
	;;#ASMSTART
	v_pk_mul_f32 v[0:1], v[0:1], v[18:19]
	;;#ASMEND
                                        ; implicit-def: $vgpr12
	s_and_saveexec_b64 s[42:43], s[14:15]
	s_xor_b64 s[14:15], exec, s[42:43]
	s_cbranch_execz .LBB421_123
; %bb.122:                              ;   in Loop: Header=BB421_9 Depth=1
	v_fma_f32 v12, |v9|, s31, v99
	v_fma_f32 v12, |v9|, v12, s33
	;; [unrolled: 1-line block ×6, first 2 shown]
	v_fma_f32 v12, |v9|, v12, |v9|
	v_mul_f32_e32 v18, 0xbfb8aa3b, v12
	v_fma_f32 v19, v12, s38, -v18
	v_rndne_f32_e32 v20, v18
	v_fmac_f32_e32 v19, 0xb2a5705f, v12
	v_sub_f32_e32 v18, v18, v20
	v_add_f32_e32 v18, v18, v19
	v_cvt_i32_f32_e32 v19, v20
	v_exp_f32_e32 v18, v18
	v_cmp_nlt_f32_e32 vcc, s39, v12
	v_ldexp_f32 v18, v18, v19
	s_nop 0
	v_cndmask_b32_e32 v18, 0, v18, vcc
	v_cmp_ngt_f32_e32 vcc, s40, v12
	s_nop 1
	v_cndmask_b32_e32 v12, v100, v18, vcc
	v_sub_f32_e32 v12, 1.0, v12
.LBB421_123:                            ;   in Loop: Header=BB421_9 Depth=1
	s_andn2_saveexec_b64 s[14:15], s[14:15]
; %bb.124:                              ;   in Loop: Header=BB421_9 Depth=1
	v_mul_f32_e32 v12, v9, v9
	v_fmamk_f32 v18, v12, 0xba1345e1, v98
	v_fmaak_f32 v18, v12, v18, 0xbcdac9b8
	v_fmaak_f32 v18, v12, v18, 0x3de703be
	;; [unrolled: 1-line block ×4, first 2 shown]
	v_fma_f32 v12, |v9|, v12, |v9|
; %bb.125:                              ;   in Loop: Header=BB421_9 Depth=1
	s_or_b64 exec, exec, s[14:15]
	v_cvt_f32_f16_sdwa v10, v10 dst_sel:DWORD dst_unused:UNUSED_PAD src0_sel:WORD_1
                                        ; implicit-def: $vgpr18
	v_add_f32_e32 v10, v13, v10
	v_mul_f32_e32 v13, 0x3f3504f3, v10
	v_cmp_nlt_f32_e64 s[14:15], |v13|, 1.0
	s_and_saveexec_b64 s[42:43], s[14:15]
	s_xor_b64 s[14:15], exec, s[42:43]
	s_cbranch_execz .LBB421_127
; %bb.126:                              ;   in Loop: Header=BB421_9 Depth=1
	v_fma_f32 v18, |v13|, s31, v99
	v_fma_f32 v18, |v13|, v18, s33
	;; [unrolled: 1-line block ×6, first 2 shown]
	v_fma_f32 v18, |v13|, v18, |v13|
	v_mul_f32_e32 v19, 0xbfb8aa3b, v18
	v_fma_f32 v20, v18, s38, -v19
	v_rndne_f32_e32 v21, v19
	v_fmac_f32_e32 v20, 0xb2a5705f, v18
	v_sub_f32_e32 v19, v19, v21
	v_add_f32_e32 v19, v19, v20
	v_cvt_i32_f32_e32 v20, v21
	v_exp_f32_e32 v19, v19
	v_cmp_nlt_f32_e32 vcc, s39, v18
	v_ldexp_f32 v19, v19, v20
	s_nop 0
	v_cndmask_b32_e32 v19, 0, v19, vcc
	v_cmp_ngt_f32_e32 vcc, s40, v18
	s_nop 1
	v_cndmask_b32_e32 v18, v100, v19, vcc
	v_sub_f32_e32 v18, 1.0, v18
.LBB421_127:                            ;   in Loop: Header=BB421_9 Depth=1
	s_andn2_saveexec_b64 s[14:15], s[14:15]
; %bb.128:                              ;   in Loop: Header=BB421_9 Depth=1
	v_mul_f32_e32 v18, v13, v13
	v_fmamk_f32 v19, v18, 0xba1345e1, v98
	v_fmaak_f32 v19, v18, v19, 0xbcdac9b8
	v_fmaak_f32 v19, v18, v19, 0x3de703be
	;; [unrolled: 1-line block ×4, first 2 shown]
	v_fma_f32 v18, |v13|, v18, |v13|
; %bb.129:                              ;   in Loop: Header=BB421_9 Depth=1
	s_or_b64 exec, exec, s[14:15]
	v_bfi_b32 v9, s41, v12, v9
	v_cvt_f32_f16_sdwa v12, v2 dst_sel:DWORD dst_unused:UNUSED_PAD src0_sel:WORD_1
	v_cvt_f32_f16_e32 v2, v2
	v_mul_f32_e32 v8, 0.5, v8
	v_add_f32_e32 v9, 1.0, v9
	v_mul_f32_e32 v8, v8, v9
	s_waitcnt vmcnt(0)
	v_add_f32_e32 v4, v4, v2
	v_mul_f32_e32 v2, 0.5, v10
	v_cvt_f32_f16_e32 v10, v11
	v_bfi_b32 v9, s41, v18, v13
	v_add_f32_e32 v5, v5, v12
	v_add_f32_e32 v9, 1.0, v9
	v_mul_f32_e32 v9, v2, v9
	;;#ASMSTART
	v_pk_mul_f32 v[4:5], v[8:9], v[4:5]
	;;#ASMEND
	v_add_f32_e32 v8, v14, v10
	v_mul_f32_e32 v2, 0x3f3504f3, v8
	v_cmp_nlt_f32_e64 s[14:15], |v2|, 1.0
                                        ; implicit-def: $vgpr12
	s_and_saveexec_b64 s[42:43], s[14:15]
	s_xor_b64 s[14:15], exec, s[42:43]
	s_cbranch_execz .LBB421_131
; %bb.130:                              ;   in Loop: Header=BB421_9 Depth=1
	v_fma_f32 v9, |v2|, s31, v99
	v_fma_f32 v9, |v2|, v9, s33
	;; [unrolled: 1-line block ×6, first 2 shown]
	v_fma_f32 v9, |v2|, v9, |v2|
	v_mul_f32_e32 v10, 0xbfb8aa3b, v9
	v_fma_f32 v12, v9, s38, -v10
	v_rndne_f32_e32 v13, v10
	v_fmac_f32_e32 v12, 0xb2a5705f, v9
	v_sub_f32_e32 v10, v10, v13
	v_add_f32_e32 v10, v10, v12
	v_cvt_i32_f32_e32 v12, v13
	v_exp_f32_e32 v10, v10
	v_cmp_nlt_f32_e32 vcc, s39, v9
	v_ldexp_f32 v10, v10, v12
	s_nop 0
	v_cndmask_b32_e32 v10, 0, v10, vcc
	v_cmp_ngt_f32_e32 vcc, s40, v9
	s_nop 1
	v_cndmask_b32_e32 v9, v100, v10, vcc
	v_sub_f32_e32 v12, 1.0, v9
.LBB421_131:                            ;   in Loop: Header=BB421_9 Depth=1
	s_andn2_saveexec_b64 s[14:15], s[14:15]
; %bb.132:                              ;   in Loop: Header=BB421_9 Depth=1
	v_mul_f32_e32 v9, v2, v2
	v_fmamk_f32 v10, v9, 0xba1345e1, v98
	v_fmaak_f32 v10, v9, v10, 0xbcdac9b8
	v_fmaak_f32 v10, v9, v10, 0x3de703be
	;; [unrolled: 1-line block ×4, first 2 shown]
	v_fma_f32 v12, |v2|, v9, |v2|
; %bb.133:                              ;   in Loop: Header=BB421_9 Depth=1
	s_or_b64 exec, exec, s[14:15]
	v_cvt_f32_f16_sdwa v9, v11 dst_sel:DWORD dst_unused:UNUSED_PAD src0_sel:WORD_1
                                        ; implicit-def: $vgpr11
	v_add_f32_e32 v9, v15, v9
	v_mul_f32_e32 v10, 0x3f3504f3, v9
	v_cmp_nlt_f32_e64 s[14:15], |v10|, 1.0
	s_and_saveexec_b64 s[42:43], s[14:15]
	s_xor_b64 s[14:15], exec, s[42:43]
	s_cbranch_execz .LBB421_135
; %bb.134:                              ;   in Loop: Header=BB421_9 Depth=1
	v_fma_f32 v11, |v10|, s31, v99
	v_fma_f32 v11, |v10|, v11, s33
	;; [unrolled: 1-line block ×6, first 2 shown]
	v_fma_f32 v11, |v10|, v11, |v10|
	v_mul_f32_e32 v13, 0xbfb8aa3b, v11
	v_fma_f32 v14, v11, s38, -v13
	v_rndne_f32_e32 v15, v13
	v_fmac_f32_e32 v14, 0xb2a5705f, v11
	v_sub_f32_e32 v13, v13, v15
	v_add_f32_e32 v13, v13, v14
	v_cvt_i32_f32_e32 v14, v15
	v_exp_f32_e32 v13, v13
	v_cmp_nlt_f32_e32 vcc, s39, v11
	v_ldexp_f32 v13, v13, v14
	s_nop 0
	v_cndmask_b32_e32 v13, 0, v13, vcc
	v_cmp_ngt_f32_e32 vcc, s40, v11
	s_nop 1
	v_cndmask_b32_e32 v11, v100, v13, vcc
	v_sub_f32_e32 v11, 1.0, v11
.LBB421_135:                            ;   in Loop: Header=BB421_9 Depth=1
	s_andn2_saveexec_b64 s[14:15], s[14:15]
	s_cbranch_execz .LBB421_8
; %bb.136:                              ;   in Loop: Header=BB421_9 Depth=1
	v_mul_f32_e32 v11, v10, v10
	v_fmamk_f32 v13, v11, 0xba1345e1, v98
	v_fmaak_f32 v13, v11, v13, 0xbcdac9b8
	v_fmaak_f32 v13, v11, v13, 0x3de703be
	;; [unrolled: 1-line block ×4, first 2 shown]
	v_fma_f32 v11, |v10|, v11, |v10|
	s_branch .LBB421_8
.LBB421_137:
	s_endpgm
	.section	.rodata,"a",@progbits
	.p2align	6, 0x0
	.amdhsa_kernel _ZN5aiter23act_and_mul_bias_kernelIDF16_DF16_sfTnPFfRKT2_EXadL_ZNS_11gelu_kernelIfEEfRKT_EELi32EEEvPT0_PS8_PKT1_PS2_il
		.amdhsa_group_segment_fixed_size 0
		.amdhsa_private_segment_fixed_size 0
		.amdhsa_kernarg_size 304
		.amdhsa_user_sgpr_count 2
		.amdhsa_user_sgpr_dispatch_ptr 0
		.amdhsa_user_sgpr_queue_ptr 0
		.amdhsa_user_sgpr_kernarg_segment_ptr 1
		.amdhsa_user_sgpr_dispatch_id 0
		.amdhsa_user_sgpr_kernarg_preload_length 0
		.amdhsa_user_sgpr_kernarg_preload_offset 0
		.amdhsa_user_sgpr_private_segment_size 0
		.amdhsa_uses_dynamic_stack 0
		.amdhsa_enable_private_segment 0
		.amdhsa_system_sgpr_workgroup_id_x 1
		.amdhsa_system_sgpr_workgroup_id_y 0
		.amdhsa_system_sgpr_workgroup_id_z 0
		.amdhsa_system_sgpr_workgroup_info 0
		.amdhsa_system_vgpr_workitem_id 0
		.amdhsa_next_free_vgpr 108
		.amdhsa_next_free_sgpr 44
		.amdhsa_accum_offset 108
		.amdhsa_reserve_vcc 1
		.amdhsa_float_round_mode_32 0
		.amdhsa_float_round_mode_16_64 0
		.amdhsa_float_denorm_mode_32 3
		.amdhsa_float_denorm_mode_16_64 3
		.amdhsa_dx10_clamp 1
		.amdhsa_ieee_mode 1
		.amdhsa_fp16_overflow 0
		.amdhsa_tg_split 0
		.amdhsa_exception_fp_ieee_invalid_op 0
		.amdhsa_exception_fp_denorm_src 0
		.amdhsa_exception_fp_ieee_div_zero 0
		.amdhsa_exception_fp_ieee_overflow 0
		.amdhsa_exception_fp_ieee_underflow 0
		.amdhsa_exception_fp_ieee_inexact 0
		.amdhsa_exception_int_div_zero 0
	.end_amdhsa_kernel
	.section	.text._ZN5aiter23act_and_mul_bias_kernelIDF16_DF16_sfTnPFfRKT2_EXadL_ZNS_11gelu_kernelIfEEfRKT_EELi32EEEvPT0_PS8_PKT1_PS2_il,"axG",@progbits,_ZN5aiter23act_and_mul_bias_kernelIDF16_DF16_sfTnPFfRKT2_EXadL_ZNS_11gelu_kernelIfEEfRKT_EELi32EEEvPT0_PS8_PKT1_PS2_il,comdat
.Lfunc_end421:
	.size	_ZN5aiter23act_and_mul_bias_kernelIDF16_DF16_sfTnPFfRKT2_EXadL_ZNS_11gelu_kernelIfEEfRKT_EELi32EEEvPT0_PS8_PKT1_PS2_il, .Lfunc_end421-_ZN5aiter23act_and_mul_bias_kernelIDF16_DF16_sfTnPFfRKT2_EXadL_ZNS_11gelu_kernelIfEEfRKT_EELi32EEEvPT0_PS8_PKT1_PS2_il
                                        ; -- End function
	.section	.AMDGPU.csdata,"",@progbits
; Kernel info:
; codeLenInByte = 9832
; NumSgprs: 50
; NumVgprs: 108
; NumAgprs: 0
; TotalNumVgprs: 108
; ScratchSize: 0
; MemoryBound: 0
; FloatMode: 240
; IeeeMode: 1
; LDSByteSize: 0 bytes/workgroup (compile time only)
; SGPRBlocks: 6
; VGPRBlocks: 13
; NumSGPRsForWavesPerEU: 50
; NumVGPRsForWavesPerEU: 108
; AccumOffset: 108
; Occupancy: 4
; WaveLimiterHint : 0
; COMPUTE_PGM_RSRC2:SCRATCH_EN: 0
; COMPUTE_PGM_RSRC2:USER_SGPR: 2
; COMPUTE_PGM_RSRC2:TRAP_HANDLER: 0
; COMPUTE_PGM_RSRC2:TGID_X_EN: 1
; COMPUTE_PGM_RSRC2:TGID_Y_EN: 0
; COMPUTE_PGM_RSRC2:TGID_Z_EN: 0
; COMPUTE_PGM_RSRC2:TIDIG_COMP_CNT: 0
; COMPUTE_PGM_RSRC3_GFX90A:ACCUM_OFFSET: 26
; COMPUTE_PGM_RSRC3_GFX90A:TG_SPLIT: 0
	.section	.text._ZN5aiter23act_and_mul_bias_kernelIDF16_DF16_sfTnPFfRKT2_EXadL_ZNS_11gelu_kernelIfEEfRKT_EELi16EEEvPT0_PS8_PKT1_PS2_il,"axG",@progbits,_ZN5aiter23act_and_mul_bias_kernelIDF16_DF16_sfTnPFfRKT2_EXadL_ZNS_11gelu_kernelIfEEfRKT_EELi16EEEvPT0_PS8_PKT1_PS2_il,comdat
	.protected	_ZN5aiter23act_and_mul_bias_kernelIDF16_DF16_sfTnPFfRKT2_EXadL_ZNS_11gelu_kernelIfEEfRKT_EELi16EEEvPT0_PS8_PKT1_PS2_il ; -- Begin function _ZN5aiter23act_and_mul_bias_kernelIDF16_DF16_sfTnPFfRKT2_EXadL_ZNS_11gelu_kernelIfEEfRKT_EELi16EEEvPT0_PS8_PKT1_PS2_il
	.globl	_ZN5aiter23act_and_mul_bias_kernelIDF16_DF16_sfTnPFfRKT2_EXadL_ZNS_11gelu_kernelIfEEfRKT_EELi16EEEvPT0_PS8_PKT1_PS2_il
	.p2align	8
	.type	_ZN5aiter23act_and_mul_bias_kernelIDF16_DF16_sfTnPFfRKT2_EXadL_ZNS_11gelu_kernelIfEEfRKT_EELi16EEEvPT0_PS8_PKT1_PS2_il,@function
_ZN5aiter23act_and_mul_bias_kernelIDF16_DF16_sfTnPFfRKT2_EXadL_ZNS_11gelu_kernelIfEEfRKT_EELi16EEEvPT0_PS8_PKT1_PS2_il: ; @_ZN5aiter23act_and_mul_bias_kernelIDF16_DF16_sfTnPFfRKT2_EXadL_ZNS_11gelu_kernelIfEEfRKT_EELi16EEEvPT0_PS8_PKT1_PS2_il
; %bb.0:
	s_load_dword s24, s[0:1], 0x20
	s_load_dwordx2 s[4:5], s[0:1], 0x10
	s_load_dwordx2 s[6:7], s[0:1], 0x28
	s_mov_b32 s3, 0
	s_lshl_b64 s[8:9], s[2:3], 1
	s_waitcnt lgkmcnt(0)
	s_ashr_i32 s25, s24, 31
	s_add_u32 s4, s4, s8
	s_addc_u32 s5, s5, s9
	v_mov_b32_e32 v1, 0
	global_load_ushort v1, v1, s[4:5]
	s_mul_hi_u32 s3, s24, s2
	v_mov_b64_e32 v[2:3], s[6:7]
	s_mul_i32 s6, s25, s2
	s_add_i32 s7, s24, 1
	s_add_i32 s9, s3, s6
	s_lshr_b32 s3, s7, 31
	s_load_dwordx2 s[4:5], s[0:1], 0x0
	s_add_i32 s7, s7, s3
	s_lshl_b32 s3, s7, 1
	s_mul_i32 s8, s24, s2
	s_and_b32 s6, s3, -4
	s_lshl_b64 s[12:13], s[8:9], 1
	s_mov_b64 s[10:11], -1
	v_lshlrev_b32_e32 v48, 4, v0
	s_waitcnt vmcnt(0)
	v_readfirstlane_b32 s3, v1
	s_sext_i32_i16 s8, s3
	s_ashr_i32 s9, s8, 31
	s_waitcnt lgkmcnt(0)
	s_add_u32 s4, s4, s12
	s_addc_u32 s3, s5, s13
	s_and_b32 s5, s3, 0xffff
	s_cmp_gt_i32 s8, -1
	v_cmp_lt_i64_e32 vcc, s[8:9], v[2:3]
	s_cselect_b64 s[12:13], -1, 0
	s_and_b64 s[12:13], s[12:13], vcc
	s_and_b64 vcc, exec, s[12:13]
	s_cbranch_vccnz .LBB422_5
; %bb.1:
	v_cmp_gt_i32_e32 vcc, s24, v48
	s_and_saveexec_b64 s[10:11], vcc
	s_cbranch_execz .LBB422_4
; %bb.2:
	s_load_dword s3, s[0:1], 0x3c
	s_mov_b32 s13, 0
	s_mov_b32 s16, s13
	s_mov_b32 s17, s13
	v_mov_b32_e32 v49, 0
	v_lshlrev_b32_e32 v6, 5, v0
	s_waitcnt lgkmcnt(0)
	s_and_b32 s3, s3, 0xffff
	s_mov_b32 s18, s13
	s_mov_b32 s19, s13
	v_mov_b64_e32 v[0:1], s[16:17]
	s_lshl_b32 s12, s3, 4
	s_lshl_b32 s3, s3, 5
	s_mov_b64 s[14:15], 0
	s_mov_b32 s7, 0x20000
	v_mov_b64_e32 v[2:3], s[18:19]
	v_mov_b64_e32 v[4:5], v[48:49]
.LBB422_3:                              ; =>This Inner Loop Header: Depth=1
	v_lshl_add_u64 v[4:5], s[12:13], 0, v[4:5]
	v_cmp_le_i64_e32 vcc, s[24:25], v[4:5]
	buffer_store_dwordx4 v[0:3], v6, s[4:7], 0 offen
	buffer_store_dwordx4 v[0:3], v6, s[4:7], 16 offen
	s_or_b64 s[14:15], vcc, s[14:15]
	v_add_u32_e32 v6, s3, v6
	s_andn2_b64 exec, exec, s[14:15]
	s_cbranch_execnz .LBB422_3
.LBB422_4:
	s_or_b64 exec, exec, s[10:11]
	s_mov_b64 s[10:11], 0
.LBB422_5:
	s_andn2_b64 vcc, exec, s[10:11]
	s_cbranch_vccnz .LBB422_73
; %bb.6:
	v_cmp_gt_i32_e32 vcc, s24, v48
	s_and_saveexec_b64 s[10:11], vcc
	s_cbranch_execz .LBB422_73
; %bb.7:
	s_load_dwordx2 s[10:11], s[0:1], 0x18
	s_load_dwordx2 s[14:15], s[0:1], 0x8
	s_mul_hi_i32 s9, s24, s8
	s_mul_i32 s8, s24, s8
	s_lshl_b64 s[8:9], s[8:9], 3
	s_waitcnt lgkmcnt(0)
	s_add_u32 s8, s10, s8
	s_addc_u32 s3, s11, s9
	s_lshl_b64 s[10:11], s[24:25], 2
	s_add_u32 s12, s8, s10
	s_addc_u32 s13, s3, s11
	s_and_b32 s9, s3, 0xffff
	s_mul_i32 s3, s2, s25
	s_mul_hi_u32 s16, s2, s24
	s_add_i32 s3, s16, s3
	s_mul_i32 s2, s2, s24
	s_lshl_b32 s10, s24, 2
	s_and_b32 s13, s13, 0xffff
	s_lshl_b64 s[2:3], s[2:3], 2
	s_add_u32 s16, s14, s2
	s_addc_u32 s14, s15, s3
	s_lshl_b64 s[2:3], s[24:25], 1
	s_add_u32 s20, s16, s2
	s_addc_u32 s2, s14, s3
	s_and_b32 s17, s14, 0xffff
	s_and_b32 s21, s2, 0xffff
	s_mov_b32 s7, 0x20000
	s_add_u32 s0, s0, 48
	s_mov_b32 s11, s7
	s_mov_b64 s[22:23], s[6:7]
	v_mov_b32_e32 v49, 0
	s_addc_u32 s1, s1, 0
	s_mov_b64 s[2:3], 0
	s_mov_b32 s18, s6
	s_mov_b32 s19, s7
	;; [unrolled: 1-line block ×12, first 2 shown]
	v_mov_b32_e32 v50, 0x3ba10414
	s_brev_b32 s38, -2
	v_mov_b32_e32 v51, 0xb9c68948
	v_mov_b32_e32 v52, 0x7f800000
                                        ; implicit-def: $vgpr0
                                        ; implicit-def: $vgpr0
	;; [unrolled: 1-line block ×4, first 2 shown]
	s_branch .LBB422_9
.LBB422_8:                              ;   in Loop: Header=BB422_9 Depth=1
	s_or_b64 exec, exec, s[14:15]
	v_cvt_f32_f16_sdwa v13, v3 dst_sel:DWORD dst_unused:UNUSED_PAD src0_sel:WORD_1
	v_bfi_b32 v2, s38, v12, v2
	v_cvt_f16_f32_e32 v14, v1
	v_bfi_b32 v1, s38, v11, v10
	v_add_f32_e32 v7, v7, v13
	v_cvt_f16_f32_e32 v13, v0
	v_cvt_f32_f16_e32 v0, v3
	v_mul_f32_e32 v8, 0.5, v8
	v_add_f32_e32 v2, 1.0, v2
	v_add_f32_e32 v1, 1.0, v1
	v_add_f32_e32 v6, v6, v0
	v_mul_f32_e32 v0, 0.5, v9
	v_mul_f32_e32 v2, v8, v2
	v_mul_f32_e32 v3, v0, v1
	;;#ASMSTART
	v_pk_mul_f32 v[0:1], v[2:3], v[6:7]
	;;#ASMEND
	s_load_dword s14, s[0:1], 0xc
	v_cvt_f16_f32_e32 v8, v16
	v_cvt_f16_f32_e32 v12, v17
	;; [unrolled: 1-line block ×14, first 2 shown]
	s_waitcnt lgkmcnt(0)
	s_and_b32 s14, s14, 0xffff
	s_lshl_b32 s26, s14, 4
	v_lshl_add_u64 v[48:49], s[26:27], 0, v[48:49]
	v_pack_b32_f16 v3, v21, v22
	v_pack_b32_f16 v2, v19, v20
	;; [unrolled: 1-line block ×4, first 2 shown]
	v_cmp_le_i64_e32 vcc, s[24:25], v[48:49]
	buffer_store_dwordx4 v[0:3], v53, s[4:7], 0 offen
	s_or_b64 s[2:3], vcc, s[2:3]
	s_nop 0
	v_pack_b32_f16 v3, v6, v7
	v_pack_b32_f16 v2, v4, v5
	;; [unrolled: 1-line block ×4, first 2 shown]
	buffer_store_dwordx4 v[0:3], v53, s[4:7], 16 offen
	s_andn2_b64 exec, exec, s[2:3]
	s_cbranch_execz .LBB422_73
.LBB422_9:                              ; =>This Inner Loop Header: Depth=1
	v_lshlrev_b32_e32 v53, 1, v48
	buffer_load_dwordx4 v[32:35], v53, s[16:19], 0 offen
	buffer_load_dwordx4 v[8:11], v53, s[16:19], 16 offen
	;; [unrolled: 1-line block ×4, first 2 shown]
	v_lshlrev_b32_e32 v54, 2, v48
	s_mov_b32 s14, s10
	s_mov_b32 s15, s11
	buffer_load_dwordx4 v[44:47], v54, s[8:11], 0 offen
	buffer_load_dwordx4 v[36:39], v54, s[8:11], 16 offen
	;; [unrolled: 1-line block ×8, first 2 shown]
                                        ; implicit-def: $vgpr55
	s_waitcnt vmcnt(11)
	v_cvt_f32_f16_e32 v54, v32
	s_waitcnt vmcnt(7)
	v_add_f32_e32 v44, v44, v54
	v_mul_f32_e32 v54, 0x3f3504f3, v44
	v_cmp_nlt_f32_e64 s[14:15], |v54|, 1.0
	s_and_saveexec_b64 s[40:41], s[14:15]
	s_xor_b64 s[14:15], exec, s[40:41]
	s_cbranch_execz .LBB422_11
; %bb.10:                               ;   in Loop: Header=BB422_9 Depth=1
	v_fma_f32 v55, |v54|, s28, v51
	v_fma_f32 v55, |v54|, v55, s29
	;; [unrolled: 1-line block ×6, first 2 shown]
	v_fma_f32 v55, |v54|, v55, |v54|
	v_mul_f32_e32 v56, 0xbfb8aa3b, v55
	v_fma_f32 v57, v55, s35, -v56
	v_rndne_f32_e32 v58, v56
	v_fmac_f32_e32 v57, 0xb2a5705f, v55
	v_sub_f32_e32 v56, v56, v58
	v_add_f32_e32 v56, v56, v57
	v_cvt_i32_f32_e32 v57, v58
	v_exp_f32_e32 v56, v56
	v_cmp_nlt_f32_e32 vcc, s36, v55
	v_ldexp_f32 v56, v56, v57
	s_nop 0
	v_cndmask_b32_e32 v56, 0, v56, vcc
	v_cmp_ngt_f32_e32 vcc, s37, v55
	s_nop 1
	v_cndmask_b32_e32 v55, v52, v56, vcc
	v_sub_f32_e32 v55, 1.0, v55
.LBB422_11:                             ;   in Loop: Header=BB422_9 Depth=1
	s_andn2_saveexec_b64 s[14:15], s[14:15]
; %bb.12:                               ;   in Loop: Header=BB422_9 Depth=1
	v_mul_f32_e32 v55, v54, v54
	v_fmamk_f32 v56, v55, 0xba1345e1, v50
	v_fmaak_f32 v56, v55, v56, 0xbcdac9b8
	v_fmaak_f32 v56, v55, v56, 0x3de703be
	;; [unrolled: 1-line block ×4, first 2 shown]
	v_fma_f32 v55, |v54|, v55, |v54|
; %bb.13:                               ;   in Loop: Header=BB422_9 Depth=1
	s_or_b64 exec, exec, s[14:15]
	v_cvt_f32_f16_sdwa v32, v32 dst_sel:DWORD dst_unused:UNUSED_PAD src0_sel:WORD_1
                                        ; implicit-def: $vgpr56
	v_add_f32_e32 v32, v45, v32
	v_mul_f32_e32 v45, 0x3f3504f3, v32
	v_cmp_nlt_f32_e64 s[14:15], |v45|, 1.0
	s_and_saveexec_b64 s[40:41], s[14:15]
	s_xor_b64 s[14:15], exec, s[40:41]
	s_cbranch_execz .LBB422_15
; %bb.14:                               ;   in Loop: Header=BB422_9 Depth=1
	v_fma_f32 v56, |v45|, s28, v51
	v_fma_f32 v56, |v45|, v56, s29
	;; [unrolled: 1-line block ×6, first 2 shown]
	v_fma_f32 v56, |v45|, v56, |v45|
	v_mul_f32_e32 v57, 0xbfb8aa3b, v56
	v_fma_f32 v58, v56, s35, -v57
	v_rndne_f32_e32 v59, v57
	v_fmac_f32_e32 v58, 0xb2a5705f, v56
	v_sub_f32_e32 v57, v57, v59
	v_add_f32_e32 v57, v57, v58
	v_cvt_i32_f32_e32 v58, v59
	v_exp_f32_e32 v57, v57
	v_cmp_nlt_f32_e32 vcc, s36, v56
	v_ldexp_f32 v57, v57, v58
	s_nop 0
	v_cndmask_b32_e32 v57, 0, v57, vcc
	v_cmp_ngt_f32_e32 vcc, s37, v56
	s_nop 1
	v_cndmask_b32_e32 v56, v52, v57, vcc
	v_sub_f32_e32 v56, 1.0, v56
.LBB422_15:                             ;   in Loop: Header=BB422_9 Depth=1
	s_andn2_saveexec_b64 s[14:15], s[14:15]
; %bb.16:                               ;   in Loop: Header=BB422_9 Depth=1
	v_mul_f32_e32 v56, v45, v45
	v_fmamk_f32 v57, v56, 0xba1345e1, v50
	v_fmaak_f32 v57, v56, v57, 0xbcdac9b8
	v_fmaak_f32 v57, v56, v57, 0x3de703be
	;; [unrolled: 1-line block ×4, first 2 shown]
	v_fma_f32 v56, |v45|, v56, |v45|
; %bb.17:                               ;   in Loop: Header=BB422_9 Depth=1
	s_or_b64 exec, exec, s[14:15]
	v_bfi_b32 v54, s38, v55, v54
	v_cvt_f32_f16_sdwa v55, v24 dst_sel:DWORD dst_unused:UNUSED_PAD src0_sel:WORD_1
	v_cvt_f32_f16_e32 v24, v24
	v_mul_f32_e32 v44, 0.5, v44
	v_add_f32_e32 v54, 1.0, v54
	v_mul_f32_e32 v44, v44, v54
	v_cvt_f32_f16_e32 v54, v33
	s_waitcnt vmcnt(3)
	v_add_f32_e32 v40, v40, v24
	v_mul_f32_e32 v24, 0.5, v32
	v_bfi_b32 v32, s38, v56, v45
	v_add_f32_e32 v32, 1.0, v32
	v_mul_f32_e32 v45, v24, v32
	v_add_f32_e32 v24, v46, v54
	v_mul_f32_e32 v32, 0x3f3504f3, v24
	v_add_f32_e32 v41, v41, v55
	v_cmp_nlt_f32_e64 s[14:15], |v32|, 1.0
	;;#ASMSTART
	v_pk_mul_f32 v[40:41], v[44:45], v[40:41]
	;;#ASMEND
                                        ; implicit-def: $vgpr44
	s_and_saveexec_b64 s[40:41], s[14:15]
	s_xor_b64 s[14:15], exec, s[40:41]
	s_cbranch_execz .LBB422_19
; %bb.18:                               ;   in Loop: Header=BB422_9 Depth=1
	v_fma_f32 v44, |v32|, s28, v51
	v_fma_f32 v44, |v32|, v44, s29
	;; [unrolled: 1-line block ×6, first 2 shown]
	v_fma_f32 v44, |v32|, v44, |v32|
	v_mul_f32_e32 v45, 0xbfb8aa3b, v44
	v_fma_f32 v46, v44, s35, -v45
	v_rndne_f32_e32 v54, v45
	v_fmac_f32_e32 v46, 0xb2a5705f, v44
	v_sub_f32_e32 v45, v45, v54
	v_add_f32_e32 v45, v45, v46
	v_cvt_i32_f32_e32 v46, v54
	v_exp_f32_e32 v45, v45
	v_cmp_nlt_f32_e32 vcc, s36, v44
	v_ldexp_f32 v45, v45, v46
	s_nop 0
	v_cndmask_b32_e32 v45, 0, v45, vcc
	v_cmp_ngt_f32_e32 vcc, s37, v44
	s_nop 1
	v_cndmask_b32_e32 v44, v52, v45, vcc
	v_sub_f32_e32 v44, 1.0, v44
.LBB422_19:                             ;   in Loop: Header=BB422_9 Depth=1
	s_andn2_saveexec_b64 s[14:15], s[14:15]
; %bb.20:                               ;   in Loop: Header=BB422_9 Depth=1
	v_mul_f32_e32 v44, v32, v32
	v_fmamk_f32 v45, v44, 0xba1345e1, v50
	v_fmaak_f32 v45, v44, v45, 0xbcdac9b8
	v_fmaak_f32 v45, v44, v45, 0x3de703be
	;; [unrolled: 1-line block ×4, first 2 shown]
	v_fma_f32 v44, |v32|, v44, |v32|
; %bb.21:                               ;   in Loop: Header=BB422_9 Depth=1
	s_or_b64 exec, exec, s[14:15]
	v_cvt_f32_f16_sdwa v33, v33 dst_sel:DWORD dst_unused:UNUSED_PAD src0_sel:WORD_1
                                        ; implicit-def: $vgpr46
	v_add_f32_e32 v33, v47, v33
	v_mul_f32_e32 v45, 0x3f3504f3, v33
	v_cmp_nlt_f32_e64 s[14:15], |v45|, 1.0
	s_and_saveexec_b64 s[40:41], s[14:15]
	s_xor_b64 s[14:15], exec, s[40:41]
	s_cbranch_execz .LBB422_23
; %bb.22:                               ;   in Loop: Header=BB422_9 Depth=1
	v_fma_f32 v46, |v45|, s28, v51
	v_fma_f32 v46, |v45|, v46, s29
	v_fma_f32 v46, |v45|, v46, s30
	v_fma_f32 v46, |v45|, v46, s31
	v_fma_f32 v46, |v45|, v46, s33
	v_fma_f32 v46, |v45|, v46, s34
	v_fma_f32 v46, |v45|, v46, |v45|
	v_mul_f32_e32 v47, 0xbfb8aa3b, v46
	v_fma_f32 v54, v46, s35, -v47
	v_rndne_f32_e32 v55, v47
	v_fmac_f32_e32 v54, 0xb2a5705f, v46
	v_sub_f32_e32 v47, v47, v55
	v_add_f32_e32 v47, v47, v54
	v_cvt_i32_f32_e32 v54, v55
	v_exp_f32_e32 v47, v47
	v_cmp_nlt_f32_e32 vcc, s36, v46
	v_ldexp_f32 v47, v47, v54
	s_nop 0
	v_cndmask_b32_e32 v47, 0, v47, vcc
	v_cmp_ngt_f32_e32 vcc, s37, v46
	s_nop 1
	v_cndmask_b32_e32 v46, v52, v47, vcc
	v_sub_f32_e32 v46, 1.0, v46
.LBB422_23:                             ;   in Loop: Header=BB422_9 Depth=1
	s_andn2_saveexec_b64 s[14:15], s[14:15]
; %bb.24:                               ;   in Loop: Header=BB422_9 Depth=1
	v_mul_f32_e32 v46, v45, v45
	v_fmamk_f32 v47, v46, 0xba1345e1, v50
	v_fmaak_f32 v47, v46, v47, 0xbcdac9b8
	v_fmaak_f32 v47, v46, v47, 0x3de703be
	;; [unrolled: 1-line block ×4, first 2 shown]
	v_fma_f32 v46, |v45|, v46, |v45|
; %bb.25:                               ;   in Loop: Header=BB422_9 Depth=1
	s_or_b64 exec, exec, s[14:15]
	v_bfi_b32 v32, s38, v44, v32
	v_cvt_f32_f16_sdwa v44, v25 dst_sel:DWORD dst_unused:UNUSED_PAD src0_sel:WORD_1
	v_cvt_f32_f16_e32 v25, v25
	v_mul_f32_e32 v24, 0.5, v24
	v_add_f32_e32 v32, 1.0, v32
	v_mul_f32_e32 v24, v24, v32
	v_add_f32_e32 v42, v42, v25
	v_mul_f32_e32 v25, 0.5, v33
	v_cvt_f32_f16_e32 v33, v34
	v_bfi_b32 v32, s38, v46, v45
	v_add_f32_e32 v32, 1.0, v32
	v_mul_f32_e32 v25, v25, v32
	v_add_f32_e32 v32, v36, v33
	v_mul_f32_e32 v33, 0x3f3504f3, v32
	v_cmp_nlt_f32_e64 s[14:15], |v33|, 1.0
	v_add_f32_e32 v43, v43, v44
	;;#ASMSTART
	v_pk_mul_f32 v[24:25], v[24:25], v[42:43]
	;;#ASMEND
                                        ; implicit-def: $vgpr36
	s_and_saveexec_b64 s[40:41], s[14:15]
	s_xor_b64 s[14:15], exec, s[40:41]
	s_cbranch_execz .LBB422_27
; %bb.26:                               ;   in Loop: Header=BB422_9 Depth=1
	v_fma_f32 v36, |v33|, s28, v51
	v_fma_f32 v36, |v33|, v36, s29
	;; [unrolled: 1-line block ×6, first 2 shown]
	v_fma_f32 v36, |v33|, v36, |v33|
	v_mul_f32_e32 v42, 0xbfb8aa3b, v36
	v_fma_f32 v43, v36, s35, -v42
	v_rndne_f32_e32 v44, v42
	v_fmac_f32_e32 v43, 0xb2a5705f, v36
	v_sub_f32_e32 v42, v42, v44
	v_add_f32_e32 v42, v42, v43
	v_cvt_i32_f32_e32 v43, v44
	v_exp_f32_e32 v42, v42
	v_cmp_nlt_f32_e32 vcc, s36, v36
	v_ldexp_f32 v42, v42, v43
	s_nop 0
	v_cndmask_b32_e32 v42, 0, v42, vcc
	v_cmp_ngt_f32_e32 vcc, s37, v36
	s_nop 1
	v_cndmask_b32_e32 v36, v52, v42, vcc
	v_sub_f32_e32 v36, 1.0, v36
.LBB422_27:                             ;   in Loop: Header=BB422_9 Depth=1
	s_andn2_saveexec_b64 s[14:15], s[14:15]
; %bb.28:                               ;   in Loop: Header=BB422_9 Depth=1
	v_mul_f32_e32 v36, v33, v33
	v_fmamk_f32 v42, v36, 0xba1345e1, v50
	v_fmaak_f32 v42, v36, v42, 0xbcdac9b8
	v_fmaak_f32 v42, v36, v42, 0x3de703be
	;; [unrolled: 1-line block ×4, first 2 shown]
	v_fma_f32 v36, |v33|, v36, |v33|
; %bb.29:                               ;   in Loop: Header=BB422_9 Depth=1
	s_or_b64 exec, exec, s[14:15]
	v_cvt_f32_f16_sdwa v34, v34 dst_sel:DWORD dst_unused:UNUSED_PAD src0_sel:WORD_1
                                        ; implicit-def: $vgpr42
	v_add_f32_e32 v34, v37, v34
	v_mul_f32_e32 v37, 0x3f3504f3, v34
	v_cmp_nlt_f32_e64 s[14:15], |v37|, 1.0
	s_and_saveexec_b64 s[40:41], s[14:15]
	s_xor_b64 s[14:15], exec, s[40:41]
	s_cbranch_execz .LBB422_31
; %bb.30:                               ;   in Loop: Header=BB422_9 Depth=1
	v_fma_f32 v42, |v37|, s28, v51
	v_fma_f32 v42, |v37|, v42, s29
	;; [unrolled: 1-line block ×6, first 2 shown]
	v_fma_f32 v42, |v37|, v42, |v37|
	v_mul_f32_e32 v43, 0xbfb8aa3b, v42
	v_fma_f32 v44, v42, s35, -v43
	v_rndne_f32_e32 v45, v43
	v_fmac_f32_e32 v44, 0xb2a5705f, v42
	v_sub_f32_e32 v43, v43, v45
	v_add_f32_e32 v43, v43, v44
	v_cvt_i32_f32_e32 v44, v45
	v_exp_f32_e32 v43, v43
	v_cmp_nlt_f32_e32 vcc, s36, v42
	v_ldexp_f32 v43, v43, v44
	s_nop 0
	v_cndmask_b32_e32 v43, 0, v43, vcc
	v_cmp_ngt_f32_e32 vcc, s37, v42
	s_nop 1
	v_cndmask_b32_e32 v42, v52, v43, vcc
	v_sub_f32_e32 v42, 1.0, v42
.LBB422_31:                             ;   in Loop: Header=BB422_9 Depth=1
	s_andn2_saveexec_b64 s[14:15], s[14:15]
; %bb.32:                               ;   in Loop: Header=BB422_9 Depth=1
	v_mul_f32_e32 v42, v37, v37
	v_fmamk_f32 v43, v42, 0xba1345e1, v50
	v_fmaak_f32 v43, v42, v43, 0xbcdac9b8
	v_fmaak_f32 v43, v42, v43, 0x3de703be
	;; [unrolled: 1-line block ×4, first 2 shown]
	v_fma_f32 v42, |v37|, v42, |v37|
; %bb.33:                               ;   in Loop: Header=BB422_9 Depth=1
	s_or_b64 exec, exec, s[14:15]
	v_bfi_b32 v33, s38, v36, v33
	v_cvt_f32_f16_sdwa v36, v26 dst_sel:DWORD dst_unused:UNUSED_PAD src0_sel:WORD_1
	v_cvt_f32_f16_e32 v26, v26
	v_mul_f32_e32 v32, 0.5, v32
	v_add_f32_e32 v33, 1.0, v33
	v_mul_f32_e32 v32, v32, v33
	s_waitcnt vmcnt(2)
	v_add_f32_e32 v28, v28, v26
	v_mul_f32_e32 v26, 0.5, v34
	v_cvt_f32_f16_e32 v34, v35
	v_bfi_b32 v33, s38, v42, v37
	v_add_f32_e32 v33, 1.0, v33
	v_add_f32_e32 v29, v29, v36
	v_mul_f32_e32 v33, v26, v33
	v_add_f32_e32 v26, v38, v34
	;;#ASMSTART
	v_pk_mul_f32 v[28:29], v[32:33], v[28:29]
	;;#ASMEND
	v_mul_f32_e32 v32, 0x3f3504f3, v26
	v_cmp_nlt_f32_e64 s[14:15], |v32|, 1.0
                                        ; implicit-def: $vgpr33
	s_and_saveexec_b64 s[40:41], s[14:15]
	s_xor_b64 s[14:15], exec, s[40:41]
	s_cbranch_execz .LBB422_35
; %bb.34:                               ;   in Loop: Header=BB422_9 Depth=1
	v_fma_f32 v33, |v32|, s28, v51
	v_fma_f32 v33, |v32|, v33, s29
	;; [unrolled: 1-line block ×6, first 2 shown]
	v_fma_f32 v33, |v32|, v33, |v32|
	v_mul_f32_e32 v34, 0xbfb8aa3b, v33
	v_fma_f32 v36, v33, s35, -v34
	v_rndne_f32_e32 v37, v34
	v_fmac_f32_e32 v36, 0xb2a5705f, v33
	v_sub_f32_e32 v34, v34, v37
	v_add_f32_e32 v34, v34, v36
	v_cvt_i32_f32_e32 v36, v37
	v_exp_f32_e32 v34, v34
	v_cmp_nlt_f32_e32 vcc, s36, v33
	v_ldexp_f32 v34, v34, v36
	s_nop 0
	v_cndmask_b32_e32 v34, 0, v34, vcc
	v_cmp_ngt_f32_e32 vcc, s37, v33
	s_nop 1
	v_cndmask_b32_e32 v33, v52, v34, vcc
	v_sub_f32_e32 v33, 1.0, v33
.LBB422_35:                             ;   in Loop: Header=BB422_9 Depth=1
	s_andn2_saveexec_b64 s[14:15], s[14:15]
; %bb.36:                               ;   in Loop: Header=BB422_9 Depth=1
	v_mul_f32_e32 v33, v32, v32
	v_fmamk_f32 v34, v33, 0xba1345e1, v50
	v_fmaak_f32 v34, v33, v34, 0xbcdac9b8
	v_fmaak_f32 v34, v33, v34, 0x3de703be
	;; [unrolled: 1-line block ×4, first 2 shown]
	v_fma_f32 v33, |v32|, v33, |v32|
; %bb.37:                               ;   in Loop: Header=BB422_9 Depth=1
	s_or_b64 exec, exec, s[14:15]
	v_cvt_f32_f16_sdwa v34, v35 dst_sel:DWORD dst_unused:UNUSED_PAD src0_sel:WORD_1
                                        ; implicit-def: $vgpr36
	v_add_f32_e32 v34, v39, v34
	v_mul_f32_e32 v35, 0x3f3504f3, v34
	v_cmp_nlt_f32_e64 s[14:15], |v35|, 1.0
	s_and_saveexec_b64 s[40:41], s[14:15]
	s_xor_b64 s[14:15], exec, s[40:41]
	s_cbranch_execz .LBB422_39
; %bb.38:                               ;   in Loop: Header=BB422_9 Depth=1
	v_fma_f32 v36, |v35|, s28, v51
	v_fma_f32 v36, |v35|, v36, s29
	;; [unrolled: 1-line block ×6, first 2 shown]
	v_fma_f32 v36, |v35|, v36, |v35|
	v_mul_f32_e32 v37, 0xbfb8aa3b, v36
	v_fma_f32 v38, v36, s35, -v37
	v_rndne_f32_e32 v39, v37
	v_fmac_f32_e32 v38, 0xb2a5705f, v36
	v_sub_f32_e32 v37, v37, v39
	v_add_f32_e32 v37, v37, v38
	v_cvt_i32_f32_e32 v38, v39
	v_exp_f32_e32 v37, v37
	v_cmp_nlt_f32_e32 vcc, s36, v36
	v_ldexp_f32 v37, v37, v38
	s_nop 0
	v_cndmask_b32_e32 v37, 0, v37, vcc
	v_cmp_ngt_f32_e32 vcc, s37, v36
	s_nop 1
	v_cndmask_b32_e32 v36, v52, v37, vcc
	v_sub_f32_e32 v36, 1.0, v36
.LBB422_39:                             ;   in Loop: Header=BB422_9 Depth=1
	s_andn2_saveexec_b64 s[14:15], s[14:15]
; %bb.40:                               ;   in Loop: Header=BB422_9 Depth=1
	v_mul_f32_e32 v36, v35, v35
	v_fmamk_f32 v37, v36, 0xba1345e1, v50
	v_fmaak_f32 v37, v36, v37, 0xbcdac9b8
	v_fmaak_f32 v37, v36, v37, 0x3de703be
	;; [unrolled: 1-line block ×4, first 2 shown]
	v_fma_f32 v36, |v35|, v36, |v35|
; %bb.41:                               ;   in Loop: Header=BB422_9 Depth=1
	s_or_b64 exec, exec, s[14:15]
	v_bfi_b32 v32, s38, v33, v32
	v_cvt_f32_f16_sdwa v33, v27 dst_sel:DWORD dst_unused:UNUSED_PAD src0_sel:WORD_1
	v_cvt_f32_f16_e32 v27, v27
	v_mul_f32_e32 v26, 0.5, v26
	v_add_f32_e32 v32, 1.0, v32
	v_add_f32_e32 v31, v31, v33
	v_cvt_f32_f16_e32 v33, v8
	v_mul_f32_e32 v26, v26, v32
	v_bfi_b32 v32, s38, v36, v35
	v_add_f32_e32 v30, v30, v27
	v_mul_f32_e32 v27, 0.5, v34
	v_add_f32_e32 v32, 1.0, v32
	v_mul_f32_e32 v27, v27, v32
	v_add_f32_e32 v20, v20, v33
	;;#ASMSTART
	v_pk_mul_f32 v[26:27], v[26:27], v[30:31]
	;;#ASMEND
	v_mul_f32_e32 v30, 0x3f3504f3, v20
	v_cmp_nlt_f32_e64 s[14:15], |v30|, 1.0
                                        ; implicit-def: $vgpr31
	s_and_saveexec_b64 s[40:41], s[14:15]
	s_xor_b64 s[14:15], exec, s[40:41]
	s_cbranch_execz .LBB422_43
; %bb.42:                               ;   in Loop: Header=BB422_9 Depth=1
	v_fma_f32 v31, |v30|, s28, v51
	v_fma_f32 v31, |v30|, v31, s29
	;; [unrolled: 1-line block ×6, first 2 shown]
	v_fma_f32 v31, |v30|, v31, |v30|
	v_mul_f32_e32 v32, 0xbfb8aa3b, v31
	v_fma_f32 v33, v31, s35, -v32
	v_rndne_f32_e32 v34, v32
	v_fmac_f32_e32 v33, 0xb2a5705f, v31
	v_sub_f32_e32 v32, v32, v34
	v_add_f32_e32 v32, v32, v33
	v_cvt_i32_f32_e32 v33, v34
	v_exp_f32_e32 v32, v32
	v_cmp_nlt_f32_e32 vcc, s36, v31
	v_ldexp_f32 v32, v32, v33
	s_nop 0
	v_cndmask_b32_e32 v32, 0, v32, vcc
	v_cmp_ngt_f32_e32 vcc, s37, v31
	s_nop 1
	v_cndmask_b32_e32 v31, v52, v32, vcc
	v_sub_f32_e32 v31, 1.0, v31
.LBB422_43:                             ;   in Loop: Header=BB422_9 Depth=1
	s_andn2_saveexec_b64 s[14:15], s[14:15]
; %bb.44:                               ;   in Loop: Header=BB422_9 Depth=1
	v_mul_f32_e32 v31, v30, v30
	v_fmamk_f32 v32, v31, 0xba1345e1, v50
	v_fmaak_f32 v32, v31, v32, 0xbcdac9b8
	v_fmaak_f32 v32, v31, v32, 0x3de703be
	;; [unrolled: 1-line block ×4, first 2 shown]
	v_fma_f32 v31, |v30|, v31, |v30|
; %bb.45:                               ;   in Loop: Header=BB422_9 Depth=1
	s_or_b64 exec, exec, s[14:15]
	v_cvt_f32_f16_sdwa v8, v8 dst_sel:DWORD dst_unused:UNUSED_PAD src0_sel:WORD_1
                                        ; implicit-def: $vgpr32
	v_add_f32_e32 v8, v21, v8
	v_mul_f32_e32 v21, 0x3f3504f3, v8
	v_cmp_nlt_f32_e64 s[14:15], |v21|, 1.0
	s_and_saveexec_b64 s[40:41], s[14:15]
	s_xor_b64 s[14:15], exec, s[40:41]
	s_cbranch_execz .LBB422_47
; %bb.46:                               ;   in Loop: Header=BB422_9 Depth=1
	v_fma_f32 v32, |v21|, s28, v51
	v_fma_f32 v32, |v21|, v32, s29
	;; [unrolled: 1-line block ×6, first 2 shown]
	v_fma_f32 v32, |v21|, v32, |v21|
	v_mul_f32_e32 v33, 0xbfb8aa3b, v32
	v_fma_f32 v34, v32, s35, -v33
	v_rndne_f32_e32 v35, v33
	v_fmac_f32_e32 v34, 0xb2a5705f, v32
	v_sub_f32_e32 v33, v33, v35
	v_add_f32_e32 v33, v33, v34
	v_cvt_i32_f32_e32 v34, v35
	v_exp_f32_e32 v33, v33
	v_cmp_nlt_f32_e32 vcc, s36, v32
	v_ldexp_f32 v33, v33, v34
	s_nop 0
	v_cndmask_b32_e32 v33, 0, v33, vcc
	v_cmp_ngt_f32_e32 vcc, s37, v32
	s_nop 1
	v_cndmask_b32_e32 v32, v52, v33, vcc
	v_sub_f32_e32 v32, 1.0, v32
.LBB422_47:                             ;   in Loop: Header=BB422_9 Depth=1
	s_andn2_saveexec_b64 s[14:15], s[14:15]
; %bb.48:                               ;   in Loop: Header=BB422_9 Depth=1
	v_mul_f32_e32 v32, v21, v21
	v_fmamk_f32 v33, v32, 0xba1345e1, v50
	v_fmaak_f32 v33, v32, v33, 0xbcdac9b8
	v_fmaak_f32 v33, v32, v33, 0x3de703be
	;; [unrolled: 1-line block ×4, first 2 shown]
	v_fma_f32 v32, |v21|, v32, |v21|
; %bb.49:                               ;   in Loop: Header=BB422_9 Depth=1
	s_or_b64 exec, exec, s[14:15]
	v_bfi_b32 v30, s38, v31, v30
	v_cvt_f32_f16_sdwa v31, v0 dst_sel:DWORD dst_unused:UNUSED_PAD src0_sel:WORD_1
	v_cvt_f32_f16_e32 v0, v0
	v_mul_f32_e32 v20, 0.5, v20
	v_add_f32_e32 v30, 1.0, v30
	v_mul_f32_e32 v20, v20, v30
	v_cvt_f32_f16_e32 v30, v9
	s_waitcnt vmcnt(1)
	v_add_f32_e32 v16, v16, v0
	v_mul_f32_e32 v0, 0.5, v8
	v_bfi_b32 v8, s38, v32, v21
	v_add_f32_e32 v8, 1.0, v8
	v_mul_f32_e32 v21, v0, v8
	v_add_f32_e32 v0, v22, v30
	v_mul_f32_e32 v8, 0x3f3504f3, v0
	v_add_f32_e32 v17, v17, v31
	v_cmp_nlt_f32_e64 s[14:15], |v8|, 1.0
	;;#ASMSTART
	v_pk_mul_f32 v[16:17], v[20:21], v[16:17]
	;;#ASMEND
                                        ; implicit-def: $vgpr20
	s_and_saveexec_b64 s[40:41], s[14:15]
	s_xor_b64 s[14:15], exec, s[40:41]
	s_cbranch_execz .LBB422_51
; %bb.50:                               ;   in Loop: Header=BB422_9 Depth=1
	v_fma_f32 v20, |v8|, s28, v51
	v_fma_f32 v20, |v8|, v20, s29
	;; [unrolled: 1-line block ×6, first 2 shown]
	v_fma_f32 v20, |v8|, v20, |v8|
	v_mul_f32_e32 v21, 0xbfb8aa3b, v20
	v_fma_f32 v22, v20, s35, -v21
	v_rndne_f32_e32 v30, v21
	v_fmac_f32_e32 v22, 0xb2a5705f, v20
	v_sub_f32_e32 v21, v21, v30
	v_add_f32_e32 v21, v21, v22
	v_cvt_i32_f32_e32 v22, v30
	v_exp_f32_e32 v21, v21
	v_cmp_nlt_f32_e32 vcc, s36, v20
	v_ldexp_f32 v21, v21, v22
	s_nop 0
	v_cndmask_b32_e32 v21, 0, v21, vcc
	v_cmp_ngt_f32_e32 vcc, s37, v20
	s_nop 1
	v_cndmask_b32_e32 v20, v52, v21, vcc
	v_sub_f32_e32 v20, 1.0, v20
.LBB422_51:                             ;   in Loop: Header=BB422_9 Depth=1
	s_andn2_saveexec_b64 s[14:15], s[14:15]
; %bb.52:                               ;   in Loop: Header=BB422_9 Depth=1
	v_mul_f32_e32 v20, v8, v8
	v_fmamk_f32 v21, v20, 0xba1345e1, v50
	v_fmaak_f32 v21, v20, v21, 0xbcdac9b8
	v_fmaak_f32 v21, v20, v21, 0x3de703be
	;; [unrolled: 1-line block ×4, first 2 shown]
	v_fma_f32 v20, |v8|, v20, |v8|
; %bb.53:                               ;   in Loop: Header=BB422_9 Depth=1
	s_or_b64 exec, exec, s[14:15]
	v_cvt_f32_f16_sdwa v9, v9 dst_sel:DWORD dst_unused:UNUSED_PAD src0_sel:WORD_1
                                        ; implicit-def: $vgpr22
	v_add_f32_e32 v9, v23, v9
	v_mul_f32_e32 v21, 0x3f3504f3, v9
	v_cmp_nlt_f32_e64 s[14:15], |v21|, 1.0
	s_and_saveexec_b64 s[40:41], s[14:15]
	s_xor_b64 s[14:15], exec, s[40:41]
	s_cbranch_execz .LBB422_55
; %bb.54:                               ;   in Loop: Header=BB422_9 Depth=1
	v_fma_f32 v22, |v21|, s28, v51
	v_fma_f32 v22, |v21|, v22, s29
	;; [unrolled: 1-line block ×6, first 2 shown]
	v_fma_f32 v22, |v21|, v22, |v21|
	v_mul_f32_e32 v23, 0xbfb8aa3b, v22
	v_fma_f32 v30, v22, s35, -v23
	v_rndne_f32_e32 v31, v23
	v_fmac_f32_e32 v30, 0xb2a5705f, v22
	v_sub_f32_e32 v23, v23, v31
	v_add_f32_e32 v23, v23, v30
	v_cvt_i32_f32_e32 v30, v31
	v_exp_f32_e32 v23, v23
	v_cmp_nlt_f32_e32 vcc, s36, v22
	v_ldexp_f32 v23, v23, v30
	s_nop 0
	v_cndmask_b32_e32 v23, 0, v23, vcc
	v_cmp_ngt_f32_e32 vcc, s37, v22
	s_nop 1
	v_cndmask_b32_e32 v22, v52, v23, vcc
	v_sub_f32_e32 v22, 1.0, v22
.LBB422_55:                             ;   in Loop: Header=BB422_9 Depth=1
	s_andn2_saveexec_b64 s[14:15], s[14:15]
; %bb.56:                               ;   in Loop: Header=BB422_9 Depth=1
	v_mul_f32_e32 v22, v21, v21
	v_fmamk_f32 v23, v22, 0xba1345e1, v50
	v_fmaak_f32 v23, v22, v23, 0xbcdac9b8
	v_fmaak_f32 v23, v22, v23, 0x3de703be
	;; [unrolled: 1-line block ×4, first 2 shown]
	v_fma_f32 v22, |v21|, v22, |v21|
; %bb.57:                               ;   in Loop: Header=BB422_9 Depth=1
	s_or_b64 exec, exec, s[14:15]
	v_bfi_b32 v8, s38, v20, v8
	v_cvt_f32_f16_sdwa v20, v1 dst_sel:DWORD dst_unused:UNUSED_PAD src0_sel:WORD_1
	v_cvt_f32_f16_e32 v1, v1
	v_mul_f32_e32 v0, 0.5, v0
	v_add_f32_e32 v8, 1.0, v8
	v_mul_f32_e32 v0, v0, v8
	v_add_f32_e32 v18, v18, v1
	v_mul_f32_e32 v1, 0.5, v9
	v_cvt_f32_f16_e32 v9, v10
	v_bfi_b32 v8, s38, v22, v21
	v_add_f32_e32 v8, 1.0, v8
	v_mul_f32_e32 v1, v1, v8
	v_add_f32_e32 v8, v12, v9
	v_mul_f32_e32 v9, 0x3f3504f3, v8
	v_cmp_nlt_f32_e64 s[14:15], |v9|, 1.0
	v_add_f32_e32 v19, v19, v20
	;;#ASMSTART
	v_pk_mul_f32 v[0:1], v[0:1], v[18:19]
	;;#ASMEND
                                        ; implicit-def: $vgpr12
	s_and_saveexec_b64 s[40:41], s[14:15]
	s_xor_b64 s[14:15], exec, s[40:41]
	s_cbranch_execz .LBB422_59
; %bb.58:                               ;   in Loop: Header=BB422_9 Depth=1
	v_fma_f32 v12, |v9|, s28, v51
	v_fma_f32 v12, |v9|, v12, s29
	;; [unrolled: 1-line block ×6, first 2 shown]
	v_fma_f32 v12, |v9|, v12, |v9|
	v_mul_f32_e32 v18, 0xbfb8aa3b, v12
	v_fma_f32 v19, v12, s35, -v18
	v_rndne_f32_e32 v20, v18
	v_fmac_f32_e32 v19, 0xb2a5705f, v12
	v_sub_f32_e32 v18, v18, v20
	v_add_f32_e32 v18, v18, v19
	v_cvt_i32_f32_e32 v19, v20
	v_exp_f32_e32 v18, v18
	v_cmp_nlt_f32_e32 vcc, s36, v12
	v_ldexp_f32 v18, v18, v19
	s_nop 0
	v_cndmask_b32_e32 v18, 0, v18, vcc
	v_cmp_ngt_f32_e32 vcc, s37, v12
	s_nop 1
	v_cndmask_b32_e32 v12, v52, v18, vcc
	v_sub_f32_e32 v12, 1.0, v12
.LBB422_59:                             ;   in Loop: Header=BB422_9 Depth=1
	s_andn2_saveexec_b64 s[14:15], s[14:15]
; %bb.60:                               ;   in Loop: Header=BB422_9 Depth=1
	v_mul_f32_e32 v12, v9, v9
	v_fmamk_f32 v18, v12, 0xba1345e1, v50
	v_fmaak_f32 v18, v12, v18, 0xbcdac9b8
	v_fmaak_f32 v18, v12, v18, 0x3de703be
	;; [unrolled: 1-line block ×4, first 2 shown]
	v_fma_f32 v12, |v9|, v12, |v9|
; %bb.61:                               ;   in Loop: Header=BB422_9 Depth=1
	s_or_b64 exec, exec, s[14:15]
	v_cvt_f32_f16_sdwa v10, v10 dst_sel:DWORD dst_unused:UNUSED_PAD src0_sel:WORD_1
                                        ; implicit-def: $vgpr18
	v_add_f32_e32 v10, v13, v10
	v_mul_f32_e32 v13, 0x3f3504f3, v10
	v_cmp_nlt_f32_e64 s[14:15], |v13|, 1.0
	s_and_saveexec_b64 s[40:41], s[14:15]
	s_xor_b64 s[14:15], exec, s[40:41]
	s_cbranch_execz .LBB422_63
; %bb.62:                               ;   in Loop: Header=BB422_9 Depth=1
	v_fma_f32 v18, |v13|, s28, v51
	v_fma_f32 v18, |v13|, v18, s29
	;; [unrolled: 1-line block ×6, first 2 shown]
	v_fma_f32 v18, |v13|, v18, |v13|
	v_mul_f32_e32 v19, 0xbfb8aa3b, v18
	v_fma_f32 v20, v18, s35, -v19
	v_rndne_f32_e32 v21, v19
	v_fmac_f32_e32 v20, 0xb2a5705f, v18
	v_sub_f32_e32 v19, v19, v21
	v_add_f32_e32 v19, v19, v20
	v_cvt_i32_f32_e32 v20, v21
	v_exp_f32_e32 v19, v19
	v_cmp_nlt_f32_e32 vcc, s36, v18
	v_ldexp_f32 v19, v19, v20
	s_nop 0
	v_cndmask_b32_e32 v19, 0, v19, vcc
	v_cmp_ngt_f32_e32 vcc, s37, v18
	s_nop 1
	v_cndmask_b32_e32 v18, v52, v19, vcc
	v_sub_f32_e32 v18, 1.0, v18
.LBB422_63:                             ;   in Loop: Header=BB422_9 Depth=1
	s_andn2_saveexec_b64 s[14:15], s[14:15]
; %bb.64:                               ;   in Loop: Header=BB422_9 Depth=1
	v_mul_f32_e32 v18, v13, v13
	v_fmamk_f32 v19, v18, 0xba1345e1, v50
	v_fmaak_f32 v19, v18, v19, 0xbcdac9b8
	v_fmaak_f32 v19, v18, v19, 0x3de703be
	;; [unrolled: 1-line block ×4, first 2 shown]
	v_fma_f32 v18, |v13|, v18, |v13|
; %bb.65:                               ;   in Loop: Header=BB422_9 Depth=1
	s_or_b64 exec, exec, s[14:15]
	v_bfi_b32 v9, s38, v12, v9
	v_cvt_f32_f16_sdwa v12, v2 dst_sel:DWORD dst_unused:UNUSED_PAD src0_sel:WORD_1
	v_cvt_f32_f16_e32 v2, v2
	v_mul_f32_e32 v8, 0.5, v8
	v_add_f32_e32 v9, 1.0, v9
	v_mul_f32_e32 v8, v8, v9
	s_waitcnt vmcnt(0)
	v_add_f32_e32 v4, v4, v2
	v_mul_f32_e32 v2, 0.5, v10
	v_cvt_f32_f16_e32 v10, v11
	v_bfi_b32 v9, s38, v18, v13
	v_add_f32_e32 v5, v5, v12
	v_add_f32_e32 v9, 1.0, v9
	v_mul_f32_e32 v9, v2, v9
	;;#ASMSTART
	v_pk_mul_f32 v[4:5], v[8:9], v[4:5]
	;;#ASMEND
	v_add_f32_e32 v8, v14, v10
	v_mul_f32_e32 v2, 0x3f3504f3, v8
	v_cmp_nlt_f32_e64 s[14:15], |v2|, 1.0
                                        ; implicit-def: $vgpr12
	s_and_saveexec_b64 s[40:41], s[14:15]
	s_xor_b64 s[14:15], exec, s[40:41]
	s_cbranch_execz .LBB422_67
; %bb.66:                               ;   in Loop: Header=BB422_9 Depth=1
	v_fma_f32 v9, |v2|, s28, v51
	v_fma_f32 v9, |v2|, v9, s29
	;; [unrolled: 1-line block ×6, first 2 shown]
	v_fma_f32 v9, |v2|, v9, |v2|
	v_mul_f32_e32 v10, 0xbfb8aa3b, v9
	v_fma_f32 v12, v9, s35, -v10
	v_rndne_f32_e32 v13, v10
	v_fmac_f32_e32 v12, 0xb2a5705f, v9
	v_sub_f32_e32 v10, v10, v13
	v_add_f32_e32 v10, v10, v12
	v_cvt_i32_f32_e32 v12, v13
	v_exp_f32_e32 v10, v10
	v_cmp_nlt_f32_e32 vcc, s36, v9
	v_ldexp_f32 v10, v10, v12
	s_nop 0
	v_cndmask_b32_e32 v10, 0, v10, vcc
	v_cmp_ngt_f32_e32 vcc, s37, v9
	s_nop 1
	v_cndmask_b32_e32 v9, v52, v10, vcc
	v_sub_f32_e32 v12, 1.0, v9
.LBB422_67:                             ;   in Loop: Header=BB422_9 Depth=1
	s_andn2_saveexec_b64 s[14:15], s[14:15]
; %bb.68:                               ;   in Loop: Header=BB422_9 Depth=1
	v_mul_f32_e32 v9, v2, v2
	v_fmamk_f32 v10, v9, 0xba1345e1, v50
	v_fmaak_f32 v10, v9, v10, 0xbcdac9b8
	v_fmaak_f32 v10, v9, v10, 0x3de703be
	;; [unrolled: 1-line block ×4, first 2 shown]
	v_fma_f32 v12, |v2|, v9, |v2|
; %bb.69:                               ;   in Loop: Header=BB422_9 Depth=1
	s_or_b64 exec, exec, s[14:15]
	v_cvt_f32_f16_sdwa v9, v11 dst_sel:DWORD dst_unused:UNUSED_PAD src0_sel:WORD_1
                                        ; implicit-def: $vgpr11
	v_add_f32_e32 v9, v15, v9
	v_mul_f32_e32 v10, 0x3f3504f3, v9
	v_cmp_nlt_f32_e64 s[14:15], |v10|, 1.0
	s_and_saveexec_b64 s[40:41], s[14:15]
	s_xor_b64 s[14:15], exec, s[40:41]
	s_cbranch_execz .LBB422_71
; %bb.70:                               ;   in Loop: Header=BB422_9 Depth=1
	v_fma_f32 v11, |v10|, s28, v51
	v_fma_f32 v11, |v10|, v11, s29
	;; [unrolled: 1-line block ×6, first 2 shown]
	v_fma_f32 v11, |v10|, v11, |v10|
	v_mul_f32_e32 v13, 0xbfb8aa3b, v11
	v_fma_f32 v14, v11, s35, -v13
	v_rndne_f32_e32 v15, v13
	v_fmac_f32_e32 v14, 0xb2a5705f, v11
	v_sub_f32_e32 v13, v13, v15
	v_add_f32_e32 v13, v13, v14
	v_cvt_i32_f32_e32 v14, v15
	v_exp_f32_e32 v13, v13
	v_cmp_nlt_f32_e32 vcc, s36, v11
	v_ldexp_f32 v13, v13, v14
	s_nop 0
	v_cndmask_b32_e32 v13, 0, v13, vcc
	v_cmp_ngt_f32_e32 vcc, s37, v11
	s_nop 1
	v_cndmask_b32_e32 v11, v52, v13, vcc
	v_sub_f32_e32 v11, 1.0, v11
.LBB422_71:                             ;   in Loop: Header=BB422_9 Depth=1
	s_andn2_saveexec_b64 s[14:15], s[14:15]
	s_cbranch_execz .LBB422_8
; %bb.72:                               ;   in Loop: Header=BB422_9 Depth=1
	v_mul_f32_e32 v11, v10, v10
	v_fmamk_f32 v13, v11, 0xba1345e1, v50
	v_fmaak_f32 v13, v11, v13, 0xbcdac9b8
	v_fmaak_f32 v13, v11, v13, 0x3de703be
	;; [unrolled: 1-line block ×4, first 2 shown]
	v_fma_f32 v11, |v10|, v11, |v10|
	s_branch .LBB422_8
.LBB422_73:
	s_endpgm
	.section	.rodata,"a",@progbits
	.p2align	6, 0x0
	.amdhsa_kernel _ZN5aiter23act_and_mul_bias_kernelIDF16_DF16_sfTnPFfRKT2_EXadL_ZNS_11gelu_kernelIfEEfRKT_EELi16EEEvPT0_PS8_PKT1_PS2_il
		.amdhsa_group_segment_fixed_size 0
		.amdhsa_private_segment_fixed_size 0
		.amdhsa_kernarg_size 304
		.amdhsa_user_sgpr_count 2
		.amdhsa_user_sgpr_dispatch_ptr 0
		.amdhsa_user_sgpr_queue_ptr 0
		.amdhsa_user_sgpr_kernarg_segment_ptr 1
		.amdhsa_user_sgpr_dispatch_id 0
		.amdhsa_user_sgpr_kernarg_preload_length 0
		.amdhsa_user_sgpr_kernarg_preload_offset 0
		.amdhsa_user_sgpr_private_segment_size 0
		.amdhsa_uses_dynamic_stack 0
		.amdhsa_enable_private_segment 0
		.amdhsa_system_sgpr_workgroup_id_x 1
		.amdhsa_system_sgpr_workgroup_id_y 0
		.amdhsa_system_sgpr_workgroup_id_z 0
		.amdhsa_system_sgpr_workgroup_info 0
		.amdhsa_system_vgpr_workitem_id 0
		.amdhsa_next_free_vgpr 60
		.amdhsa_next_free_sgpr 42
		.amdhsa_accum_offset 60
		.amdhsa_reserve_vcc 1
		.amdhsa_float_round_mode_32 0
		.amdhsa_float_round_mode_16_64 0
		.amdhsa_float_denorm_mode_32 3
		.amdhsa_float_denorm_mode_16_64 3
		.amdhsa_dx10_clamp 1
		.amdhsa_ieee_mode 1
		.amdhsa_fp16_overflow 0
		.amdhsa_tg_split 0
		.amdhsa_exception_fp_ieee_invalid_op 0
		.amdhsa_exception_fp_denorm_src 0
		.amdhsa_exception_fp_ieee_div_zero 0
		.amdhsa_exception_fp_ieee_overflow 0
		.amdhsa_exception_fp_ieee_underflow 0
		.amdhsa_exception_fp_ieee_inexact 0
		.amdhsa_exception_int_div_zero 0
	.end_amdhsa_kernel
	.section	.text._ZN5aiter23act_and_mul_bias_kernelIDF16_DF16_sfTnPFfRKT2_EXadL_ZNS_11gelu_kernelIfEEfRKT_EELi16EEEvPT0_PS8_PKT1_PS2_il,"axG",@progbits,_ZN5aiter23act_and_mul_bias_kernelIDF16_DF16_sfTnPFfRKT2_EXadL_ZNS_11gelu_kernelIfEEfRKT_EELi16EEEvPT0_PS8_PKT1_PS2_il,comdat
.Lfunc_end422:
	.size	_ZN5aiter23act_and_mul_bias_kernelIDF16_DF16_sfTnPFfRKT2_EXadL_ZNS_11gelu_kernelIfEEfRKT_EELi16EEEvPT0_PS8_PKT1_PS2_il, .Lfunc_end422-_ZN5aiter23act_and_mul_bias_kernelIDF16_DF16_sfTnPFfRKT2_EXadL_ZNS_11gelu_kernelIfEEfRKT_EELi16EEEvPT0_PS8_PKT1_PS2_il
                                        ; -- End function
	.section	.AMDGPU.csdata,"",@progbits
; Kernel info:
; codeLenInByte = 5252
; NumSgprs: 48
; NumVgprs: 60
; NumAgprs: 0
; TotalNumVgprs: 60
; ScratchSize: 0
; MemoryBound: 0
; FloatMode: 240
; IeeeMode: 1
; LDSByteSize: 0 bytes/workgroup (compile time only)
; SGPRBlocks: 5
; VGPRBlocks: 7
; NumSGPRsForWavesPerEU: 48
; NumVGPRsForWavesPerEU: 60
; AccumOffset: 60
; Occupancy: 8
; WaveLimiterHint : 0
; COMPUTE_PGM_RSRC2:SCRATCH_EN: 0
; COMPUTE_PGM_RSRC2:USER_SGPR: 2
; COMPUTE_PGM_RSRC2:TRAP_HANDLER: 0
; COMPUTE_PGM_RSRC2:TGID_X_EN: 1
; COMPUTE_PGM_RSRC2:TGID_Y_EN: 0
; COMPUTE_PGM_RSRC2:TGID_Z_EN: 0
; COMPUTE_PGM_RSRC2:TIDIG_COMP_CNT: 0
; COMPUTE_PGM_RSRC3_GFX90A:ACCUM_OFFSET: 14
; COMPUTE_PGM_RSRC3_GFX90A:TG_SPLIT: 0
	.section	.text._ZN5aiter23act_and_mul_bias_kernelIDF16_DF16_sfTnPFfRKT2_EXadL_ZNS_11gelu_kernelIfEEfRKT_EELi8EEEvPT0_PS8_PKT1_PS2_il,"axG",@progbits,_ZN5aiter23act_and_mul_bias_kernelIDF16_DF16_sfTnPFfRKT2_EXadL_ZNS_11gelu_kernelIfEEfRKT_EELi8EEEvPT0_PS8_PKT1_PS2_il,comdat
	.protected	_ZN5aiter23act_and_mul_bias_kernelIDF16_DF16_sfTnPFfRKT2_EXadL_ZNS_11gelu_kernelIfEEfRKT_EELi8EEEvPT0_PS8_PKT1_PS2_il ; -- Begin function _ZN5aiter23act_and_mul_bias_kernelIDF16_DF16_sfTnPFfRKT2_EXadL_ZNS_11gelu_kernelIfEEfRKT_EELi8EEEvPT0_PS8_PKT1_PS2_il
	.globl	_ZN5aiter23act_and_mul_bias_kernelIDF16_DF16_sfTnPFfRKT2_EXadL_ZNS_11gelu_kernelIfEEfRKT_EELi8EEEvPT0_PS8_PKT1_PS2_il
	.p2align	8
	.type	_ZN5aiter23act_and_mul_bias_kernelIDF16_DF16_sfTnPFfRKT2_EXadL_ZNS_11gelu_kernelIfEEfRKT_EELi8EEEvPT0_PS8_PKT1_PS2_il,@function
_ZN5aiter23act_and_mul_bias_kernelIDF16_DF16_sfTnPFfRKT2_EXadL_ZNS_11gelu_kernelIfEEfRKT_EELi8EEEvPT0_PS8_PKT1_PS2_il: ; @_ZN5aiter23act_and_mul_bias_kernelIDF16_DF16_sfTnPFfRKT2_EXadL_ZNS_11gelu_kernelIfEEfRKT_EELi8EEEvPT0_PS8_PKT1_PS2_il
; %bb.0:
	s_load_dword s24, s[0:1], 0x20
	s_load_dwordx2 s[4:5], s[0:1], 0x10
	s_load_dwordx2 s[6:7], s[0:1], 0x28
	s_mov_b32 s3, 0
	s_lshl_b64 s[8:9], s[2:3], 1
	s_waitcnt lgkmcnt(0)
	s_ashr_i32 s25, s24, 31
	s_add_u32 s4, s4, s8
	s_addc_u32 s5, s5, s9
	v_mov_b32_e32 v1, 0
	global_load_ushort v1, v1, s[4:5]
	s_mul_hi_u32 s3, s24, s2
	v_mov_b64_e32 v[2:3], s[6:7]
	s_mul_i32 s6, s25, s2
	s_add_i32 s7, s24, 1
	s_add_i32 s9, s3, s6
	s_lshr_b32 s3, s7, 31
	s_load_dwordx2 s[4:5], s[0:1], 0x0
	s_add_i32 s7, s7, s3
	s_lshl_b32 s3, s7, 1
	s_mul_i32 s8, s24, s2
	s_and_b32 s6, s3, -4
	s_lshl_b64 s[12:13], s[8:9], 1
	s_mov_b64 s[10:11], -1
	v_lshlrev_b32_e32 v24, 3, v0
	s_waitcnt vmcnt(0)
	v_readfirstlane_b32 s3, v1
	s_sext_i32_i16 s8, s3
	s_ashr_i32 s9, s8, 31
	s_waitcnt lgkmcnt(0)
	s_add_u32 s4, s4, s12
	s_addc_u32 s3, s5, s13
	s_and_b32 s5, s3, 0xffff
	s_cmp_gt_i32 s8, -1
	v_cmp_lt_i64_e32 vcc, s[8:9], v[2:3]
	s_cselect_b64 s[12:13], -1, 0
	s_and_b64 s[12:13], s[12:13], vcc
	s_and_b64 vcc, exec, s[12:13]
	s_cbranch_vccnz .LBB423_5
; %bb.1:
	v_cmp_gt_i32_e32 vcc, s24, v24
	s_and_saveexec_b64 s[10:11], vcc
	s_cbranch_execz .LBB423_4
; %bb.2:
	s_load_dword s3, s[0:1], 0x3c
	v_mov_b32_e32 v25, 0
	s_mov_b32 s13, 0
	v_lshlrev_b32_e32 v6, 4, v0
	s_mov_b64 s[14:15], 0
	s_waitcnt lgkmcnt(0)
	s_and_b32 s3, s3, 0xffff
	s_lshl_b32 s12, s3, 3
	s_lshl_b32 s3, s3, 4
	s_mov_b32 s7, 0x20000
	v_mov_b32_e32 v0, v25
	v_mov_b32_e32 v1, v25
	;; [unrolled: 1-line block ×4, first 2 shown]
	v_mov_b64_e32 v[4:5], v[24:25]
.LBB423_3:                              ; =>This Inner Loop Header: Depth=1
	v_lshl_add_u64 v[4:5], s[12:13], 0, v[4:5]
	v_cmp_le_i64_e32 vcc, s[24:25], v[4:5]
	buffer_store_dwordx4 v[0:3], v6, s[4:7], 0 offen
	s_or_b64 s[14:15], vcc, s[14:15]
	v_add_u32_e32 v6, s3, v6
	s_andn2_b64 exec, exec, s[14:15]
	s_cbranch_execnz .LBB423_3
.LBB423_4:
	s_or_b64 exec, exec, s[10:11]
	s_mov_b64 s[10:11], 0
.LBB423_5:
	s_andn2_b64 vcc, exec, s[10:11]
	s_cbranch_vccnz .LBB423_41
; %bb.6:
	v_cmp_gt_i32_e32 vcc, s24, v24
	s_and_saveexec_b64 s[10:11], vcc
	s_cbranch_execz .LBB423_41
; %bb.7:
	s_load_dwordx2 s[10:11], s[0:1], 0x18
	s_load_dwordx2 s[14:15], s[0:1], 0x8
	s_mul_hi_i32 s9, s24, s8
	s_mul_i32 s8, s24, s8
	s_lshl_b64 s[8:9], s[8:9], 3
	s_waitcnt lgkmcnt(0)
	s_add_u32 s8, s10, s8
	s_addc_u32 s3, s11, s9
	s_lshl_b64 s[10:11], s[24:25], 2
	s_add_u32 s12, s8, s10
	s_addc_u32 s13, s3, s11
	s_and_b32 s9, s3, 0xffff
	s_mul_i32 s3, s2, s25
	s_mul_hi_u32 s16, s2, s24
	s_add_i32 s3, s16, s3
	s_mul_i32 s2, s2, s24
	s_lshl_b32 s10, s24, 2
	s_and_b32 s13, s13, 0xffff
	s_lshl_b64 s[2:3], s[2:3], 2
	s_add_u32 s16, s14, s2
	s_addc_u32 s14, s15, s3
	s_lshl_b64 s[2:3], s[24:25], 1
	s_add_u32 s20, s16, s2
	s_addc_u32 s2, s14, s3
	s_and_b32 s17, s14, 0xffff
	s_and_b32 s21, s2, 0xffff
	s_mov_b32 s7, 0x20000
	s_add_u32 s0, s0, 48
	s_mov_b32 s11, s7
	s_mov_b64 s[22:23], s[6:7]
	v_mov_b32_e32 v25, 0
	s_addc_u32 s1, s1, 0
	s_mov_b64 s[2:3], 0
	s_mov_b32 s18, s6
	s_mov_b32 s19, s7
	;; [unrolled: 1-line block ×12, first 2 shown]
	v_mov_b32_e32 v26, 0x3ba10414
	s_brev_b32 s38, -2
	v_mov_b32_e32 v27, 0xb9c68948
	v_mov_b32_e32 v28, 0x7f800000
                                        ; implicit-def: $vgpr0
                                        ; implicit-def: $vgpr0
	;; [unrolled: 1-line block ×4, first 2 shown]
	s_branch .LBB423_9
.LBB423_8:                              ;   in Loop: Header=BB423_9 Depth=1
	s_or_b64 exec, exec, s[14:15]
	v_cvt_f32_f16_sdwa v13, v3 dst_sel:DWORD dst_unused:UNUSED_PAD src0_sel:WORD_1
	v_cvt_f32_f16_e32 v3, v3
	v_bfi_b32 v2, s38, v9, v2
	v_mul_f32_e32 v8, 0.5, v8
	v_add_f32_e32 v2, 1.0, v2
	v_add_f32_e32 v6, v6, v3
	v_mul_f32_e32 v3, 0.5, v10
	v_bfi_b32 v10, s38, v12, v11
	v_add_f32_e32 v10, 1.0, v10
	v_mul_f32_e32 v2, v8, v2
	v_mul_f32_e32 v3, v3, v10
	v_add_f32_e32 v7, v7, v13
	;;#ASMSTART
	v_pk_mul_f32 v[2:3], v[2:3], v[6:7]
	;;#ASMEND
	s_load_dword s14, s[0:1], 0xc
	v_cvt_f16_f32_e32 v8, v16
	v_cvt_f16_f32_e32 v9, v17
	;; [unrolled: 1-line block ×8, first 2 shown]
	s_waitcnt lgkmcnt(0)
	s_and_b32 s14, s14, 0xffff
	s_lshl_b32 s26, s14, 3
	v_lshl_add_u64 v[24:25], s[26:27], 0, v[24:25]
	v_cmp_le_i64_e32 vcc, s[24:25], v[24:25]
	v_pack_b32_f16 v3, v2, v3
	v_pack_b32_f16 v2, v4, v5
	;; [unrolled: 1-line block ×4, first 2 shown]
	s_or_b64 s[2:3], vcc, s[2:3]
	buffer_store_dwordx4 v[0:3], v29, s[4:7], 0 offen
	s_andn2_b64 exec, exec, s[2:3]
	s_cbranch_execz .LBB423_41
.LBB423_9:                              ; =>This Inner Loop Header: Depth=1
	v_lshlrev_b32_e32 v29, 1, v24
	buffer_load_dwordx4 v[8:11], v29, s[16:19], 0 offen
	buffer_load_dwordx4 v[0:3], v29, s[20:23], 0 offen
	v_lshlrev_b32_e32 v30, 2, v24
	buffer_load_dwordx4 v[20:23], v30, s[8:11], 0 offen
	buffer_load_dwordx4 v[12:15], v30, s[8:11], 16 offen
	s_mov_b32 s14, s10
	s_mov_b32 s15, s11
	buffer_load_dwordx4 v[16:19], v30, s[12:15], 0 offen
	buffer_load_dwordx4 v[4:7], v30, s[12:15], 16 offen
                                        ; implicit-def: $vgpr31
	s_waitcnt vmcnt(5)
	v_cvt_f32_f16_e32 v30, v8
	s_waitcnt vmcnt(3)
	v_add_f32_e32 v20, v20, v30
	v_mul_f32_e32 v30, 0x3f3504f3, v20
	v_cmp_nlt_f32_e64 s[14:15], |v30|, 1.0
	s_and_saveexec_b64 s[40:41], s[14:15]
	s_xor_b64 s[14:15], exec, s[40:41]
	s_cbranch_execz .LBB423_11
; %bb.10:                               ;   in Loop: Header=BB423_9 Depth=1
	v_fma_f32 v31, |v30|, s28, v27
	v_fma_f32 v31, |v30|, v31, s29
	;; [unrolled: 1-line block ×6, first 2 shown]
	v_fma_f32 v31, |v30|, v31, |v30|
	v_mul_f32_e32 v32, 0xbfb8aa3b, v31
	v_fma_f32 v33, v31, s35, -v32
	v_rndne_f32_e32 v34, v32
	v_fmac_f32_e32 v33, 0xb2a5705f, v31
	v_sub_f32_e32 v32, v32, v34
	v_add_f32_e32 v32, v32, v33
	v_cvt_i32_f32_e32 v33, v34
	v_exp_f32_e32 v32, v32
	v_cmp_nlt_f32_e32 vcc, s36, v31
	v_ldexp_f32 v32, v32, v33
	s_nop 0
	v_cndmask_b32_e32 v32, 0, v32, vcc
	v_cmp_ngt_f32_e32 vcc, s37, v31
	s_nop 1
	v_cndmask_b32_e32 v31, v28, v32, vcc
	v_sub_f32_e32 v31, 1.0, v31
.LBB423_11:                             ;   in Loop: Header=BB423_9 Depth=1
	s_andn2_saveexec_b64 s[14:15], s[14:15]
; %bb.12:                               ;   in Loop: Header=BB423_9 Depth=1
	v_mul_f32_e32 v31, v30, v30
	v_fmamk_f32 v32, v31, 0xba1345e1, v26
	v_fmaak_f32 v32, v31, v32, 0xbcdac9b8
	v_fmaak_f32 v32, v31, v32, 0x3de703be
	;; [unrolled: 1-line block ×4, first 2 shown]
	v_fma_f32 v31, |v30|, v31, |v30|
; %bb.13:                               ;   in Loop: Header=BB423_9 Depth=1
	s_or_b64 exec, exec, s[14:15]
	v_cvt_f32_f16_sdwa v8, v8 dst_sel:DWORD dst_unused:UNUSED_PAD src0_sel:WORD_1
                                        ; implicit-def: $vgpr32
	v_add_f32_e32 v8, v21, v8
	v_mul_f32_e32 v21, 0x3f3504f3, v8
	v_cmp_nlt_f32_e64 s[14:15], |v21|, 1.0
	s_and_saveexec_b64 s[40:41], s[14:15]
	s_xor_b64 s[14:15], exec, s[40:41]
	s_cbranch_execz .LBB423_15
; %bb.14:                               ;   in Loop: Header=BB423_9 Depth=1
	v_fma_f32 v32, |v21|, s28, v27
	v_fma_f32 v32, |v21|, v32, s29
	;; [unrolled: 1-line block ×6, first 2 shown]
	v_fma_f32 v32, |v21|, v32, |v21|
	v_mul_f32_e32 v33, 0xbfb8aa3b, v32
	v_fma_f32 v34, v32, s35, -v33
	v_rndne_f32_e32 v35, v33
	v_fmac_f32_e32 v34, 0xb2a5705f, v32
	v_sub_f32_e32 v33, v33, v35
	v_add_f32_e32 v33, v33, v34
	v_cvt_i32_f32_e32 v34, v35
	v_exp_f32_e32 v33, v33
	v_cmp_nlt_f32_e32 vcc, s36, v32
	v_ldexp_f32 v33, v33, v34
	s_nop 0
	v_cndmask_b32_e32 v33, 0, v33, vcc
	v_cmp_ngt_f32_e32 vcc, s37, v32
	s_nop 1
	v_cndmask_b32_e32 v32, v28, v33, vcc
	v_sub_f32_e32 v32, 1.0, v32
.LBB423_15:                             ;   in Loop: Header=BB423_9 Depth=1
	s_andn2_saveexec_b64 s[14:15], s[14:15]
; %bb.16:                               ;   in Loop: Header=BB423_9 Depth=1
	v_mul_f32_e32 v32, v21, v21
	v_fmamk_f32 v33, v32, 0xba1345e1, v26
	v_fmaak_f32 v33, v32, v33, 0xbcdac9b8
	v_fmaak_f32 v33, v32, v33, 0x3de703be
	;; [unrolled: 1-line block ×4, first 2 shown]
	v_fma_f32 v32, |v21|, v32, |v21|
; %bb.17:                               ;   in Loop: Header=BB423_9 Depth=1
	s_or_b64 exec, exec, s[14:15]
	v_bfi_b32 v30, s38, v31, v30
	v_cvt_f32_f16_sdwa v31, v0 dst_sel:DWORD dst_unused:UNUSED_PAD src0_sel:WORD_1
	v_cvt_f32_f16_e32 v0, v0
	v_mul_f32_e32 v20, 0.5, v20
	v_add_f32_e32 v30, 1.0, v30
	v_mul_f32_e32 v20, v20, v30
	v_cvt_f32_f16_e32 v30, v9
	s_waitcnt vmcnt(1)
	v_add_f32_e32 v16, v16, v0
	v_mul_f32_e32 v0, 0.5, v8
	v_bfi_b32 v8, s38, v32, v21
	v_add_f32_e32 v8, 1.0, v8
	v_mul_f32_e32 v21, v0, v8
	v_add_f32_e32 v0, v22, v30
	v_mul_f32_e32 v8, 0x3f3504f3, v0
	v_add_f32_e32 v17, v17, v31
	v_cmp_nlt_f32_e64 s[14:15], |v8|, 1.0
	;;#ASMSTART
	v_pk_mul_f32 v[16:17], v[20:21], v[16:17]
	;;#ASMEND
                                        ; implicit-def: $vgpr20
	s_and_saveexec_b64 s[40:41], s[14:15]
	s_xor_b64 s[14:15], exec, s[40:41]
	s_cbranch_execz .LBB423_19
; %bb.18:                               ;   in Loop: Header=BB423_9 Depth=1
	v_fma_f32 v20, |v8|, s28, v27
	v_fma_f32 v20, |v8|, v20, s29
	;; [unrolled: 1-line block ×6, first 2 shown]
	v_fma_f32 v20, |v8|, v20, |v8|
	v_mul_f32_e32 v21, 0xbfb8aa3b, v20
	v_fma_f32 v22, v20, s35, -v21
	v_rndne_f32_e32 v30, v21
	v_fmac_f32_e32 v22, 0xb2a5705f, v20
	v_sub_f32_e32 v21, v21, v30
	v_add_f32_e32 v21, v21, v22
	v_cvt_i32_f32_e32 v22, v30
	v_exp_f32_e32 v21, v21
	v_cmp_nlt_f32_e32 vcc, s36, v20
	v_ldexp_f32 v21, v21, v22
	s_nop 0
	v_cndmask_b32_e32 v21, 0, v21, vcc
	v_cmp_ngt_f32_e32 vcc, s37, v20
	s_nop 1
	v_cndmask_b32_e32 v20, v28, v21, vcc
	v_sub_f32_e32 v20, 1.0, v20
.LBB423_19:                             ;   in Loop: Header=BB423_9 Depth=1
	s_andn2_saveexec_b64 s[14:15], s[14:15]
; %bb.20:                               ;   in Loop: Header=BB423_9 Depth=1
	v_mul_f32_e32 v20, v8, v8
	v_fmamk_f32 v21, v20, 0xba1345e1, v26
	v_fmaak_f32 v21, v20, v21, 0xbcdac9b8
	v_fmaak_f32 v21, v20, v21, 0x3de703be
	;; [unrolled: 1-line block ×4, first 2 shown]
	v_fma_f32 v20, |v8|, v20, |v8|
; %bb.21:                               ;   in Loop: Header=BB423_9 Depth=1
	s_or_b64 exec, exec, s[14:15]
	v_cvt_f32_f16_sdwa v9, v9 dst_sel:DWORD dst_unused:UNUSED_PAD src0_sel:WORD_1
                                        ; implicit-def: $vgpr22
	v_add_f32_e32 v9, v23, v9
	v_mul_f32_e32 v21, 0x3f3504f3, v9
	v_cmp_nlt_f32_e64 s[14:15], |v21|, 1.0
	s_and_saveexec_b64 s[40:41], s[14:15]
	s_xor_b64 s[14:15], exec, s[40:41]
	s_cbranch_execz .LBB423_23
; %bb.22:                               ;   in Loop: Header=BB423_9 Depth=1
	v_fma_f32 v22, |v21|, s28, v27
	v_fma_f32 v22, |v21|, v22, s29
	;; [unrolled: 1-line block ×6, first 2 shown]
	v_fma_f32 v22, |v21|, v22, |v21|
	v_mul_f32_e32 v23, 0xbfb8aa3b, v22
	v_fma_f32 v30, v22, s35, -v23
	v_rndne_f32_e32 v31, v23
	v_fmac_f32_e32 v30, 0xb2a5705f, v22
	v_sub_f32_e32 v23, v23, v31
	v_add_f32_e32 v23, v23, v30
	v_cvt_i32_f32_e32 v30, v31
	v_exp_f32_e32 v23, v23
	v_cmp_nlt_f32_e32 vcc, s36, v22
	v_ldexp_f32 v23, v23, v30
	s_nop 0
	v_cndmask_b32_e32 v23, 0, v23, vcc
	v_cmp_ngt_f32_e32 vcc, s37, v22
	s_nop 1
	v_cndmask_b32_e32 v22, v28, v23, vcc
	v_sub_f32_e32 v22, 1.0, v22
.LBB423_23:                             ;   in Loop: Header=BB423_9 Depth=1
	s_andn2_saveexec_b64 s[14:15], s[14:15]
; %bb.24:                               ;   in Loop: Header=BB423_9 Depth=1
	v_mul_f32_e32 v22, v21, v21
	v_fmamk_f32 v23, v22, 0xba1345e1, v26
	v_fmaak_f32 v23, v22, v23, 0xbcdac9b8
	v_fmaak_f32 v23, v22, v23, 0x3de703be
	;; [unrolled: 1-line block ×4, first 2 shown]
	v_fma_f32 v22, |v21|, v22, |v21|
; %bb.25:                               ;   in Loop: Header=BB423_9 Depth=1
	s_or_b64 exec, exec, s[14:15]
	v_bfi_b32 v8, s38, v20, v8
	v_cvt_f32_f16_sdwa v20, v1 dst_sel:DWORD dst_unused:UNUSED_PAD src0_sel:WORD_1
	v_cvt_f32_f16_e32 v1, v1
	v_mul_f32_e32 v0, 0.5, v0
	v_add_f32_e32 v8, 1.0, v8
	v_mul_f32_e32 v0, v0, v8
	v_add_f32_e32 v18, v18, v1
	v_mul_f32_e32 v1, 0.5, v9
	v_cvt_f32_f16_e32 v9, v10
	v_bfi_b32 v8, s38, v22, v21
	v_add_f32_e32 v8, 1.0, v8
	v_mul_f32_e32 v1, v1, v8
	v_add_f32_e32 v8, v12, v9
	v_mul_f32_e32 v9, 0x3f3504f3, v8
	v_cmp_nlt_f32_e64 s[14:15], |v9|, 1.0
	v_add_f32_e32 v19, v19, v20
	;;#ASMSTART
	v_pk_mul_f32 v[0:1], v[0:1], v[18:19]
	;;#ASMEND
                                        ; implicit-def: $vgpr12
	s_and_saveexec_b64 s[40:41], s[14:15]
	s_xor_b64 s[14:15], exec, s[40:41]
	s_cbranch_execz .LBB423_27
; %bb.26:                               ;   in Loop: Header=BB423_9 Depth=1
	v_fma_f32 v12, |v9|, s28, v27
	v_fma_f32 v12, |v9|, v12, s29
	;; [unrolled: 1-line block ×6, first 2 shown]
	v_fma_f32 v12, |v9|, v12, |v9|
	v_mul_f32_e32 v18, 0xbfb8aa3b, v12
	v_fma_f32 v19, v12, s35, -v18
	v_rndne_f32_e32 v20, v18
	v_fmac_f32_e32 v19, 0xb2a5705f, v12
	v_sub_f32_e32 v18, v18, v20
	v_add_f32_e32 v18, v18, v19
	v_cvt_i32_f32_e32 v19, v20
	v_exp_f32_e32 v18, v18
	v_cmp_nlt_f32_e32 vcc, s36, v12
	v_ldexp_f32 v18, v18, v19
	s_nop 0
	v_cndmask_b32_e32 v18, 0, v18, vcc
	v_cmp_ngt_f32_e32 vcc, s37, v12
	s_nop 1
	v_cndmask_b32_e32 v12, v28, v18, vcc
	v_sub_f32_e32 v12, 1.0, v12
.LBB423_27:                             ;   in Loop: Header=BB423_9 Depth=1
	s_andn2_saveexec_b64 s[14:15], s[14:15]
; %bb.28:                               ;   in Loop: Header=BB423_9 Depth=1
	v_mul_f32_e32 v12, v9, v9
	v_fmamk_f32 v18, v12, 0xba1345e1, v26
	v_fmaak_f32 v18, v12, v18, 0xbcdac9b8
	v_fmaak_f32 v18, v12, v18, 0x3de703be
	;; [unrolled: 1-line block ×4, first 2 shown]
	v_fma_f32 v12, |v9|, v12, |v9|
; %bb.29:                               ;   in Loop: Header=BB423_9 Depth=1
	s_or_b64 exec, exec, s[14:15]
	v_cvt_f32_f16_sdwa v10, v10 dst_sel:DWORD dst_unused:UNUSED_PAD src0_sel:WORD_1
                                        ; implicit-def: $vgpr18
	v_add_f32_e32 v10, v13, v10
	v_mul_f32_e32 v13, 0x3f3504f3, v10
	v_cmp_nlt_f32_e64 s[14:15], |v13|, 1.0
	s_and_saveexec_b64 s[40:41], s[14:15]
	s_xor_b64 s[14:15], exec, s[40:41]
	s_cbranch_execz .LBB423_31
; %bb.30:                               ;   in Loop: Header=BB423_9 Depth=1
	v_fma_f32 v18, |v13|, s28, v27
	v_fma_f32 v18, |v13|, v18, s29
	;; [unrolled: 1-line block ×6, first 2 shown]
	v_fma_f32 v18, |v13|, v18, |v13|
	v_mul_f32_e32 v19, 0xbfb8aa3b, v18
	v_fma_f32 v20, v18, s35, -v19
	v_rndne_f32_e32 v21, v19
	v_fmac_f32_e32 v20, 0xb2a5705f, v18
	v_sub_f32_e32 v19, v19, v21
	v_add_f32_e32 v19, v19, v20
	v_cvt_i32_f32_e32 v20, v21
	v_exp_f32_e32 v19, v19
	v_cmp_nlt_f32_e32 vcc, s36, v18
	v_ldexp_f32 v19, v19, v20
	s_nop 0
	v_cndmask_b32_e32 v19, 0, v19, vcc
	v_cmp_ngt_f32_e32 vcc, s37, v18
	s_nop 1
	v_cndmask_b32_e32 v18, v28, v19, vcc
	v_sub_f32_e32 v18, 1.0, v18
.LBB423_31:                             ;   in Loop: Header=BB423_9 Depth=1
	s_andn2_saveexec_b64 s[14:15], s[14:15]
; %bb.32:                               ;   in Loop: Header=BB423_9 Depth=1
	v_mul_f32_e32 v18, v13, v13
	v_fmamk_f32 v19, v18, 0xba1345e1, v26
	v_fmaak_f32 v19, v18, v19, 0xbcdac9b8
	v_fmaak_f32 v19, v18, v19, 0x3de703be
	;; [unrolled: 1-line block ×4, first 2 shown]
	v_fma_f32 v18, |v13|, v18, |v13|
; %bb.33:                               ;   in Loop: Header=BB423_9 Depth=1
	s_or_b64 exec, exec, s[14:15]
	v_bfi_b32 v9, s38, v12, v9
	v_cvt_f32_f16_sdwa v12, v2 dst_sel:DWORD dst_unused:UNUSED_PAD src0_sel:WORD_1
	v_cvt_f32_f16_e32 v2, v2
	v_mul_f32_e32 v8, 0.5, v8
	v_add_f32_e32 v9, 1.0, v9
	v_mul_f32_e32 v8, v8, v9
	s_waitcnt vmcnt(0)
	v_add_f32_e32 v4, v4, v2
	v_mul_f32_e32 v2, 0.5, v10
	v_cvt_f32_f16_e32 v10, v11
	v_bfi_b32 v9, s38, v18, v13
	v_add_f32_e32 v5, v5, v12
	v_add_f32_e32 v9, 1.0, v9
	v_mul_f32_e32 v9, v2, v9
	;;#ASMSTART
	v_pk_mul_f32 v[4:5], v[8:9], v[4:5]
	;;#ASMEND
	v_add_f32_e32 v8, v14, v10
	v_mul_f32_e32 v2, 0x3f3504f3, v8
	v_cmp_nlt_f32_e64 s[14:15], |v2|, 1.0
                                        ; implicit-def: $vgpr9
	s_and_saveexec_b64 s[40:41], s[14:15]
	s_xor_b64 s[14:15], exec, s[40:41]
	s_cbranch_execz .LBB423_35
; %bb.34:                               ;   in Loop: Header=BB423_9 Depth=1
	v_fma_f32 v9, |v2|, s28, v27
	v_fma_f32 v9, |v2|, v9, s29
	;; [unrolled: 1-line block ×6, first 2 shown]
	v_fma_f32 v9, |v2|, v9, |v2|
	v_mul_f32_e32 v10, 0xbfb8aa3b, v9
	v_fma_f32 v12, v9, s35, -v10
	v_rndne_f32_e32 v13, v10
	v_fmac_f32_e32 v12, 0xb2a5705f, v9
	v_sub_f32_e32 v10, v10, v13
	v_add_f32_e32 v10, v10, v12
	v_cvt_i32_f32_e32 v12, v13
	v_exp_f32_e32 v10, v10
	v_cmp_nlt_f32_e32 vcc, s36, v9
	v_ldexp_f32 v10, v10, v12
	s_nop 0
	v_cndmask_b32_e32 v10, 0, v10, vcc
	v_cmp_ngt_f32_e32 vcc, s37, v9
	s_nop 1
	v_cndmask_b32_e32 v9, v28, v10, vcc
	v_sub_f32_e32 v9, 1.0, v9
.LBB423_35:                             ;   in Loop: Header=BB423_9 Depth=1
	s_andn2_saveexec_b64 s[14:15], s[14:15]
; %bb.36:                               ;   in Loop: Header=BB423_9 Depth=1
	v_mul_f32_e32 v9, v2, v2
	v_fmamk_f32 v10, v9, 0xba1345e1, v26
	v_fmaak_f32 v10, v9, v10, 0xbcdac9b8
	v_fmaak_f32 v10, v9, v10, 0x3de703be
	;; [unrolled: 1-line block ×4, first 2 shown]
	v_fma_f32 v9, |v2|, v9, |v2|
; %bb.37:                               ;   in Loop: Header=BB423_9 Depth=1
	s_or_b64 exec, exec, s[14:15]
	v_cvt_f32_f16_sdwa v10, v11 dst_sel:DWORD dst_unused:UNUSED_PAD src0_sel:WORD_1
                                        ; implicit-def: $vgpr12
	v_add_f32_e32 v10, v15, v10
	v_mul_f32_e32 v11, 0x3f3504f3, v10
	v_cmp_nlt_f32_e64 s[14:15], |v11|, 1.0
	s_and_saveexec_b64 s[40:41], s[14:15]
	s_xor_b64 s[14:15], exec, s[40:41]
	s_cbranch_execz .LBB423_39
; %bb.38:                               ;   in Loop: Header=BB423_9 Depth=1
	v_fma_f32 v12, |v11|, s28, v27
	v_fma_f32 v12, |v11|, v12, s29
	;; [unrolled: 1-line block ×6, first 2 shown]
	v_fma_f32 v12, |v11|, v12, |v11|
	v_mul_f32_e32 v13, 0xbfb8aa3b, v12
	v_fma_f32 v14, v12, s35, -v13
	v_rndne_f32_e32 v15, v13
	v_fmac_f32_e32 v14, 0xb2a5705f, v12
	v_sub_f32_e32 v13, v13, v15
	v_add_f32_e32 v13, v13, v14
	v_cvt_i32_f32_e32 v14, v15
	v_exp_f32_e32 v13, v13
	v_cmp_nlt_f32_e32 vcc, s36, v12
	v_ldexp_f32 v13, v13, v14
	s_nop 0
	v_cndmask_b32_e32 v13, 0, v13, vcc
	v_cmp_ngt_f32_e32 vcc, s37, v12
	s_nop 1
	v_cndmask_b32_e32 v12, v28, v13, vcc
	v_sub_f32_e32 v12, 1.0, v12
.LBB423_39:                             ;   in Loop: Header=BB423_9 Depth=1
	s_andn2_saveexec_b64 s[14:15], s[14:15]
	s_cbranch_execz .LBB423_8
; %bb.40:                               ;   in Loop: Header=BB423_9 Depth=1
	v_mul_f32_e32 v12, v11, v11
	v_fmamk_f32 v13, v12, 0xba1345e1, v26
	v_fmaak_f32 v13, v12, v13, 0xbcdac9b8
	v_fmaak_f32 v13, v12, v13, 0x3de703be
	;; [unrolled: 1-line block ×4, first 2 shown]
	v_fma_f32 v12, |v11|, v12, |v11|
	s_branch .LBB423_8
.LBB423_41:
	s_endpgm
	.section	.rodata,"a",@progbits
	.p2align	6, 0x0
	.amdhsa_kernel _ZN5aiter23act_and_mul_bias_kernelIDF16_DF16_sfTnPFfRKT2_EXadL_ZNS_11gelu_kernelIfEEfRKT_EELi8EEEvPT0_PS8_PKT1_PS2_il
		.amdhsa_group_segment_fixed_size 0
		.amdhsa_private_segment_fixed_size 0
		.amdhsa_kernarg_size 304
		.amdhsa_user_sgpr_count 2
		.amdhsa_user_sgpr_dispatch_ptr 0
		.amdhsa_user_sgpr_queue_ptr 0
		.amdhsa_user_sgpr_kernarg_segment_ptr 1
		.amdhsa_user_sgpr_dispatch_id 0
		.amdhsa_user_sgpr_kernarg_preload_length 0
		.amdhsa_user_sgpr_kernarg_preload_offset 0
		.amdhsa_user_sgpr_private_segment_size 0
		.amdhsa_uses_dynamic_stack 0
		.amdhsa_enable_private_segment 0
		.amdhsa_system_sgpr_workgroup_id_x 1
		.amdhsa_system_sgpr_workgroup_id_y 0
		.amdhsa_system_sgpr_workgroup_id_z 0
		.amdhsa_system_sgpr_workgroup_info 0
		.amdhsa_system_vgpr_workitem_id 0
		.amdhsa_next_free_vgpr 36
		.amdhsa_next_free_sgpr 42
		.amdhsa_accum_offset 36
		.amdhsa_reserve_vcc 1
		.amdhsa_float_round_mode_32 0
		.amdhsa_float_round_mode_16_64 0
		.amdhsa_float_denorm_mode_32 3
		.amdhsa_float_denorm_mode_16_64 3
		.amdhsa_dx10_clamp 1
		.amdhsa_ieee_mode 1
		.amdhsa_fp16_overflow 0
		.amdhsa_tg_split 0
		.amdhsa_exception_fp_ieee_invalid_op 0
		.amdhsa_exception_fp_denorm_src 0
		.amdhsa_exception_fp_ieee_div_zero 0
		.amdhsa_exception_fp_ieee_overflow 0
		.amdhsa_exception_fp_ieee_underflow 0
		.amdhsa_exception_fp_ieee_inexact 0
		.amdhsa_exception_int_div_zero 0
	.end_amdhsa_kernel
	.section	.text._ZN5aiter23act_and_mul_bias_kernelIDF16_DF16_sfTnPFfRKT2_EXadL_ZNS_11gelu_kernelIfEEfRKT_EELi8EEEvPT0_PS8_PKT1_PS2_il,"axG",@progbits,_ZN5aiter23act_and_mul_bias_kernelIDF16_DF16_sfTnPFfRKT2_EXadL_ZNS_11gelu_kernelIfEEfRKT_EELi8EEEvPT0_PS8_PKT1_PS2_il,comdat
.Lfunc_end423:
	.size	_ZN5aiter23act_and_mul_bias_kernelIDF16_DF16_sfTnPFfRKT2_EXadL_ZNS_11gelu_kernelIfEEfRKT_EELi8EEEvPT0_PS8_PKT1_PS2_il, .Lfunc_end423-_ZN5aiter23act_and_mul_bias_kernelIDF16_DF16_sfTnPFfRKT2_EXadL_ZNS_11gelu_kernelIfEEfRKT_EELi8EEEvPT0_PS8_PKT1_PS2_il
                                        ; -- End function
	.section	.AMDGPU.csdata,"",@progbits
; Kernel info:
; codeLenInByte = 2960
; NumSgprs: 48
; NumVgprs: 36
; NumAgprs: 0
; TotalNumVgprs: 36
; ScratchSize: 0
; MemoryBound: 0
; FloatMode: 240
; IeeeMode: 1
; LDSByteSize: 0 bytes/workgroup (compile time only)
; SGPRBlocks: 5
; VGPRBlocks: 4
; NumSGPRsForWavesPerEU: 48
; NumVGPRsForWavesPerEU: 36
; AccumOffset: 36
; Occupancy: 8
; WaveLimiterHint : 0
; COMPUTE_PGM_RSRC2:SCRATCH_EN: 0
; COMPUTE_PGM_RSRC2:USER_SGPR: 2
; COMPUTE_PGM_RSRC2:TRAP_HANDLER: 0
; COMPUTE_PGM_RSRC2:TGID_X_EN: 1
; COMPUTE_PGM_RSRC2:TGID_Y_EN: 0
; COMPUTE_PGM_RSRC2:TGID_Z_EN: 0
; COMPUTE_PGM_RSRC2:TIDIG_COMP_CNT: 0
; COMPUTE_PGM_RSRC3_GFX90A:ACCUM_OFFSET: 8
; COMPUTE_PGM_RSRC3_GFX90A:TG_SPLIT: 0
	.section	.text._ZN5aiter23act_and_mul_bias_kernelIDF16_DF16_sfTnPFfRKT2_EXadL_ZNS_11gelu_kernelIfEEfRKT_EELi4EEEvPT0_PS8_PKT1_PS2_il,"axG",@progbits,_ZN5aiter23act_and_mul_bias_kernelIDF16_DF16_sfTnPFfRKT2_EXadL_ZNS_11gelu_kernelIfEEfRKT_EELi4EEEvPT0_PS8_PKT1_PS2_il,comdat
	.protected	_ZN5aiter23act_and_mul_bias_kernelIDF16_DF16_sfTnPFfRKT2_EXadL_ZNS_11gelu_kernelIfEEfRKT_EELi4EEEvPT0_PS8_PKT1_PS2_il ; -- Begin function _ZN5aiter23act_and_mul_bias_kernelIDF16_DF16_sfTnPFfRKT2_EXadL_ZNS_11gelu_kernelIfEEfRKT_EELi4EEEvPT0_PS8_PKT1_PS2_il
	.globl	_ZN5aiter23act_and_mul_bias_kernelIDF16_DF16_sfTnPFfRKT2_EXadL_ZNS_11gelu_kernelIfEEfRKT_EELi4EEEvPT0_PS8_PKT1_PS2_il
	.p2align	8
	.type	_ZN5aiter23act_and_mul_bias_kernelIDF16_DF16_sfTnPFfRKT2_EXadL_ZNS_11gelu_kernelIfEEfRKT_EELi4EEEvPT0_PS8_PKT1_PS2_il,@function
_ZN5aiter23act_and_mul_bias_kernelIDF16_DF16_sfTnPFfRKT2_EXadL_ZNS_11gelu_kernelIfEEfRKT_EELi4EEEvPT0_PS8_PKT1_PS2_il: ; @_ZN5aiter23act_and_mul_bias_kernelIDF16_DF16_sfTnPFfRKT2_EXadL_ZNS_11gelu_kernelIfEEfRKT_EELi4EEEvPT0_PS8_PKT1_PS2_il
; %bb.0:
	s_load_dword s24, s[0:1], 0x20
	s_load_dwordx2 s[4:5], s[0:1], 0x10
	s_load_dwordx2 s[6:7], s[0:1], 0x28
	s_mov_b32 s3, 0
	s_lshl_b64 s[8:9], s[2:3], 1
	s_waitcnt lgkmcnt(0)
	s_ashr_i32 s25, s24, 31
	s_add_u32 s4, s4, s8
	s_addc_u32 s5, s5, s9
	v_mov_b32_e32 v1, 0
	global_load_ushort v1, v1, s[4:5]
	s_mul_hi_u32 s3, s24, s2
	v_mov_b64_e32 v[2:3], s[6:7]
	s_mul_i32 s6, s25, s2
	s_add_i32 s7, s24, 1
	s_add_i32 s9, s3, s6
	s_lshr_b32 s3, s7, 31
	s_load_dwordx2 s[4:5], s[0:1], 0x0
	s_add_i32 s7, s7, s3
	s_lshl_b32 s3, s7, 1
	s_mul_i32 s8, s24, s2
	s_and_b32 s6, s3, -4
	s_lshl_b64 s[12:13], s[8:9], 1
	s_mov_b64 s[10:11], -1
	v_lshlrev_b32_e32 v8, 2, v0
	s_waitcnt vmcnt(0)
	v_readfirstlane_b32 s3, v1
	s_sext_i32_i16 s8, s3
	s_ashr_i32 s9, s8, 31
	s_waitcnt lgkmcnt(0)
	s_add_u32 s4, s4, s12
	s_addc_u32 s3, s5, s13
	s_and_b32 s5, s3, 0xffff
	s_cmp_gt_i32 s8, -1
	v_cmp_lt_i64_e32 vcc, s[8:9], v[2:3]
	s_cselect_b64 s[12:13], -1, 0
	s_and_b64 s[12:13], s[12:13], vcc
	s_and_b64 vcc, exec, s[12:13]
	s_cbranch_vccnz .LBB424_5
; %bb.1:
	v_cmp_gt_i32_e32 vcc, s24, v8
	s_and_saveexec_b64 s[10:11], vcc
	s_cbranch_execz .LBB424_4
; %bb.2:
	s_load_dword s3, s[0:1], 0x3c
	v_mov_b32_e32 v9, 0
	s_mov_b32 s13, 0
	v_lshlrev_b32_e32 v4, 3, v0
	s_mov_b64 s[14:15], 0
	s_waitcnt lgkmcnt(0)
	s_and_b32 s3, s3, 0xffff
	s_lshl_b32 s12, s3, 2
	s_lshl_b32 s3, s3, 3
	s_mov_b32 s7, 0x20000
	v_mov_b32_e32 v0, v9
	v_mov_b32_e32 v1, v9
	v_mov_b64_e32 v[2:3], v[8:9]
.LBB424_3:                              ; =>This Inner Loop Header: Depth=1
	v_lshl_add_u64 v[2:3], s[12:13], 0, v[2:3]
	v_cmp_le_i64_e32 vcc, s[24:25], v[2:3]
	buffer_store_dwordx2 v[0:1], v4, s[4:7], 0 offen
	s_or_b64 s[14:15], vcc, s[14:15]
	v_add_u32_e32 v4, s3, v4
	s_andn2_b64 exec, exec, s[14:15]
	s_cbranch_execnz .LBB424_3
.LBB424_4:
	s_or_b64 exec, exec, s[10:11]
	s_mov_b64 s[10:11], 0
.LBB424_5:
	s_andn2_b64 vcc, exec, s[10:11]
	s_cbranch_vccnz .LBB424_25
; %bb.6:
	v_cmp_gt_i32_e32 vcc, s24, v8
	s_and_saveexec_b64 s[10:11], vcc
	s_cbranch_execz .LBB424_25
; %bb.7:
	s_load_dwordx2 s[10:11], s[0:1], 0x18
	s_load_dwordx2 s[14:15], s[0:1], 0x8
	s_mul_hi_i32 s9, s24, s8
	s_mul_i32 s8, s24, s8
	s_lshl_b64 s[8:9], s[8:9], 3
	s_waitcnt lgkmcnt(0)
	s_add_u32 s8, s10, s8
	s_addc_u32 s3, s11, s9
	s_lshl_b64 s[10:11], s[24:25], 2
	s_add_u32 s12, s8, s10
	s_addc_u32 s13, s3, s11
	s_and_b32 s9, s3, 0xffff
	s_mul_i32 s3, s2, s25
	s_mul_hi_u32 s16, s2, s24
	s_add_i32 s3, s16, s3
	s_mul_i32 s2, s2, s24
	s_lshl_b32 s10, s24, 2
	s_and_b32 s13, s13, 0xffff
	s_lshl_b64 s[2:3], s[2:3], 2
	s_add_u32 s16, s14, s2
	s_addc_u32 s14, s15, s3
	s_lshl_b64 s[2:3], s[24:25], 1
	s_add_u32 s20, s16, s2
	s_addc_u32 s2, s14, s3
	s_and_b32 s17, s14, 0xffff
	s_and_b32 s21, s2, 0xffff
	s_mov_b32 s7, 0x20000
	s_add_u32 s0, s0, 48
	s_mov_b32 s11, s7
	s_mov_b64 s[22:23], s[6:7]
	v_mov_b32_e32 v9, 0
	s_addc_u32 s1, s1, 0
	s_mov_b64 s[2:3], 0
	s_mov_b32 s18, s6
	s_mov_b32 s19, s7
	;; [unrolled: 1-line block ×12, first 2 shown]
	v_mov_b32_e32 v14, 0x3ba10414
	s_brev_b32 s38, -2
	v_mov_b32_e32 v15, 0xb9c68948
	v_mov_b32_e32 v16, 0x7f800000
                                        ; implicit-def: $vgpr0
                                        ; implicit-def: $vgpr0
	;; [unrolled: 1-line block ×4, first 2 shown]
	s_branch .LBB424_9
.LBB424_8:                              ;   in Loop: Header=BB424_9 Depth=1
	s_or_b64 exec, exec, s[14:15]
	v_bfi_b32 v5, s38, v6, v5
	v_mul_f32_e32 v4, 0.5, v4
	v_cvt_f32_f16_sdwa v6, v11 dst_sel:DWORD dst_unused:UNUSED_PAD src0_sel:WORD_1
	v_add_f32_e32 v5, 1.0, v5
	v_mul_f32_e32 v4, v4, v5
	v_cvt_f32_f16_e32 v5, v11
	v_cvt_f16_f32_e32 v11, v1
	v_bfi_b32 v1, s38, v12, v10
	v_add_f32_e32 v3, v3, v6
	v_cvt_f16_f32_e32 v6, v0
	v_mul_f32_e32 v0, 0.5, v7
	v_add_f32_e32 v1, 1.0, v1
	v_add_f32_e32 v2, v2, v5
	v_mul_f32_e32 v5, v0, v1
	;;#ASMSTART
	v_pk_mul_f32 v[0:1], v[4:5], v[2:3]
	;;#ASMEND
	s_load_dword s14, s[0:1], 0xc
	v_cvt_f16_f32_e32 v0, v0
	v_cvt_f16_f32_e32 v1, v1
	s_waitcnt lgkmcnt(0)
	s_and_b32 s14, s14, 0xffff
	s_lshl_b32 s26, s14, 2
	v_lshl_add_u64 v[8:9], s[26:27], 0, v[8:9]
	v_cmp_le_i64_e32 vcc, s[24:25], v[8:9]
	v_pack_b32_f16 v1, v0, v1
	v_pack_b32_f16 v0, v6, v11
	s_or_b64 s[2:3], vcc, s[2:3]
	buffer_store_dwordx2 v[0:1], v17, s[4:7], 0 offen
	s_andn2_b64 exec, exec, s[2:3]
	s_cbranch_execz .LBB424_25
.LBB424_9:                              ; =>This Inner Loop Header: Depth=1
	v_lshlrev_b32_e32 v17, 1, v8
	buffer_load_dwordx2 v[12:13], v17, s[16:19], 0 offen
	buffer_load_dwordx2 v[10:11], v17, s[20:23], 0 offen
	v_lshlrev_b32_e32 v0, 2, v8
	buffer_load_dwordx4 v[4:7], v0, s[8:11], 0 offen
	s_mov_b32 s14, s10
	s_mov_b32 s15, s11
	buffer_load_dwordx4 v[0:3], v0, s[12:15], 0 offen
                                        ; implicit-def: $vgpr19
	s_waitcnt vmcnt(3)
	v_cvt_f32_f16_e32 v18, v12
	s_waitcnt vmcnt(1)
	v_add_f32_e32 v4, v4, v18
	v_mul_f32_e32 v18, 0x3f3504f3, v4
	v_cmp_nlt_f32_e64 s[14:15], |v18|, 1.0
	s_and_saveexec_b64 s[40:41], s[14:15]
	s_xor_b64 s[14:15], exec, s[40:41]
	s_cbranch_execz .LBB424_11
; %bb.10:                               ;   in Loop: Header=BB424_9 Depth=1
	v_fma_f32 v19, |v18|, s28, v15
	v_fma_f32 v19, |v18|, v19, s29
	;; [unrolled: 1-line block ×6, first 2 shown]
	v_fma_f32 v19, |v18|, v19, |v18|
	v_mul_f32_e32 v20, 0xbfb8aa3b, v19
	v_fma_f32 v21, v19, s35, -v20
	v_rndne_f32_e32 v22, v20
	v_fmac_f32_e32 v21, 0xb2a5705f, v19
	v_sub_f32_e32 v20, v20, v22
	v_add_f32_e32 v20, v20, v21
	v_cvt_i32_f32_e32 v21, v22
	v_exp_f32_e32 v20, v20
	v_cmp_nlt_f32_e32 vcc, s36, v19
	v_ldexp_f32 v20, v20, v21
	s_nop 0
	v_cndmask_b32_e32 v20, 0, v20, vcc
	v_cmp_ngt_f32_e32 vcc, s37, v19
	s_nop 1
	v_cndmask_b32_e32 v19, v16, v20, vcc
	v_sub_f32_e32 v19, 1.0, v19
.LBB424_11:                             ;   in Loop: Header=BB424_9 Depth=1
	s_andn2_saveexec_b64 s[14:15], s[14:15]
; %bb.12:                               ;   in Loop: Header=BB424_9 Depth=1
	v_mul_f32_e32 v19, v18, v18
	v_fmamk_f32 v20, v19, 0xba1345e1, v14
	v_fmaak_f32 v20, v19, v20, 0xbcdac9b8
	v_fmaak_f32 v20, v19, v20, 0x3de703be
	;; [unrolled: 1-line block ×4, first 2 shown]
	v_fma_f32 v19, |v18|, v19, |v18|
; %bb.13:                               ;   in Loop: Header=BB424_9 Depth=1
	s_or_b64 exec, exec, s[14:15]
	v_cvt_f32_f16_sdwa v12, v12 dst_sel:DWORD dst_unused:UNUSED_PAD src0_sel:WORD_1
                                        ; implicit-def: $vgpr20
	v_add_f32_e32 v5, v5, v12
	v_mul_f32_e32 v12, 0x3f3504f3, v5
	v_cmp_nlt_f32_e64 s[14:15], |v12|, 1.0
	s_and_saveexec_b64 s[40:41], s[14:15]
	s_xor_b64 s[14:15], exec, s[40:41]
	s_cbranch_execz .LBB424_15
; %bb.14:                               ;   in Loop: Header=BB424_9 Depth=1
	v_fma_f32 v20, |v12|, s28, v15
	v_fma_f32 v20, |v12|, v20, s29
	;; [unrolled: 1-line block ×6, first 2 shown]
	v_fma_f32 v20, |v12|, v20, |v12|
	v_mul_f32_e32 v21, 0xbfb8aa3b, v20
	v_fma_f32 v22, v20, s35, -v21
	v_rndne_f32_e32 v23, v21
	v_fmac_f32_e32 v22, 0xb2a5705f, v20
	v_sub_f32_e32 v21, v21, v23
	v_add_f32_e32 v21, v21, v22
	v_cvt_i32_f32_e32 v22, v23
	v_exp_f32_e32 v21, v21
	v_cmp_nlt_f32_e32 vcc, s36, v20
	v_ldexp_f32 v21, v21, v22
	s_nop 0
	v_cndmask_b32_e32 v21, 0, v21, vcc
	v_cmp_ngt_f32_e32 vcc, s37, v20
	s_nop 1
	v_cndmask_b32_e32 v20, v16, v21, vcc
	v_sub_f32_e32 v20, 1.0, v20
.LBB424_15:                             ;   in Loop: Header=BB424_9 Depth=1
	s_andn2_saveexec_b64 s[14:15], s[14:15]
; %bb.16:                               ;   in Loop: Header=BB424_9 Depth=1
	v_mul_f32_e32 v20, v12, v12
	v_fmamk_f32 v21, v20, 0xba1345e1, v14
	v_fmaak_f32 v21, v20, v21, 0xbcdac9b8
	v_fmaak_f32 v21, v20, v21, 0x3de703be
	;; [unrolled: 1-line block ×4, first 2 shown]
	v_fma_f32 v20, |v12|, v20, |v12|
; %bb.17:                               ;   in Loop: Header=BB424_9 Depth=1
	s_or_b64 exec, exec, s[14:15]
	v_bfi_b32 v18, s38, v19, v18
	v_cvt_f32_f16_sdwa v19, v10 dst_sel:DWORD dst_unused:UNUSED_PAD src0_sel:WORD_1
	v_cvt_f32_f16_e32 v10, v10
	v_mul_f32_e32 v4, 0.5, v4
	v_add_f32_e32 v18, 1.0, v18
	v_mul_f32_e32 v4, v4, v18
	s_waitcnt vmcnt(0)
	v_add_f32_e32 v0, v0, v10
	v_bfi_b32 v10, s38, v20, v12
	v_cvt_f32_f16_e32 v12, v13
	v_add_f32_e32 v1, v1, v19
	v_mul_f32_e32 v5, 0.5, v5
	v_add_f32_e32 v10, 1.0, v10
	v_mul_f32_e32 v5, v5, v10
	;;#ASMSTART
	v_pk_mul_f32 v[0:1], v[4:5], v[0:1]
	;;#ASMEND
	v_add_f32_e32 v4, v6, v12
	v_mul_f32_e32 v5, 0x3f3504f3, v4
	v_cmp_nlt_f32_e64 s[14:15], |v5|, 1.0
                                        ; implicit-def: $vgpr6
	s_and_saveexec_b64 s[40:41], s[14:15]
	s_xor_b64 s[14:15], exec, s[40:41]
	s_cbranch_execz .LBB424_19
; %bb.18:                               ;   in Loop: Header=BB424_9 Depth=1
	v_fma_f32 v6, |v5|, s28, v15
	v_fma_f32 v6, |v5|, v6, s29
	v_fma_f32 v6, |v5|, v6, s30
	v_fma_f32 v6, |v5|, v6, s31
	v_fma_f32 v6, |v5|, v6, s33
	v_fma_f32 v6, |v5|, v6, s34
	v_fma_f32 v6, |v5|, v6, |v5|
	v_mul_f32_e32 v10, 0xbfb8aa3b, v6
	v_fma_f32 v12, v6, s35, -v10
	v_rndne_f32_e32 v18, v10
	v_fmac_f32_e32 v12, 0xb2a5705f, v6
	v_sub_f32_e32 v10, v10, v18
	v_add_f32_e32 v10, v10, v12
	v_cvt_i32_f32_e32 v12, v18
	v_exp_f32_e32 v10, v10
	v_cmp_nlt_f32_e32 vcc, s36, v6
	v_ldexp_f32 v10, v10, v12
	s_nop 0
	v_cndmask_b32_e32 v10, 0, v10, vcc
	v_cmp_ngt_f32_e32 vcc, s37, v6
	s_nop 1
	v_cndmask_b32_e32 v6, v16, v10, vcc
	v_sub_f32_e32 v6, 1.0, v6
.LBB424_19:                             ;   in Loop: Header=BB424_9 Depth=1
	s_andn2_saveexec_b64 s[14:15], s[14:15]
; %bb.20:                               ;   in Loop: Header=BB424_9 Depth=1
	v_mul_f32_e32 v6, v5, v5
	v_fmamk_f32 v10, v6, 0xba1345e1, v14
	v_fmaak_f32 v10, v6, v10, 0xbcdac9b8
	v_fmaak_f32 v10, v6, v10, 0x3de703be
	v_fmaak_f32 v10, v6, v10, 0xbec09330
	v_fmaak_f32 v6, v6, v10, 0x3e0375d0
	v_fma_f32 v6, |v5|, v6, |v5|
; %bb.21:                               ;   in Loop: Header=BB424_9 Depth=1
	s_or_b64 exec, exec, s[14:15]
	v_cvt_f32_f16_sdwa v10, v13 dst_sel:DWORD dst_unused:UNUSED_PAD src0_sel:WORD_1
                                        ; implicit-def: $vgpr12
	v_add_f32_e32 v7, v7, v10
	v_mul_f32_e32 v10, 0x3f3504f3, v7
	v_cmp_nlt_f32_e64 s[14:15], |v10|, 1.0
	s_and_saveexec_b64 s[40:41], s[14:15]
	s_xor_b64 s[14:15], exec, s[40:41]
	s_cbranch_execz .LBB424_23
; %bb.22:                               ;   in Loop: Header=BB424_9 Depth=1
	v_fma_f32 v12, |v10|, s28, v15
	v_fma_f32 v12, |v10|, v12, s29
	;; [unrolled: 1-line block ×6, first 2 shown]
	v_fma_f32 v12, |v10|, v12, |v10|
	v_mul_f32_e32 v13, 0xbfb8aa3b, v12
	v_fma_f32 v18, v12, s35, -v13
	v_rndne_f32_e32 v19, v13
	v_fmac_f32_e32 v18, 0xb2a5705f, v12
	v_sub_f32_e32 v13, v13, v19
	v_add_f32_e32 v13, v13, v18
	v_cvt_i32_f32_e32 v18, v19
	v_exp_f32_e32 v13, v13
	v_cmp_nlt_f32_e32 vcc, s36, v12
	v_ldexp_f32 v13, v13, v18
	s_nop 0
	v_cndmask_b32_e32 v13, 0, v13, vcc
	v_cmp_ngt_f32_e32 vcc, s37, v12
	s_nop 1
	v_cndmask_b32_e32 v12, v16, v13, vcc
	v_sub_f32_e32 v12, 1.0, v12
.LBB424_23:                             ;   in Loop: Header=BB424_9 Depth=1
	s_andn2_saveexec_b64 s[14:15], s[14:15]
	s_cbranch_execz .LBB424_8
; %bb.24:                               ;   in Loop: Header=BB424_9 Depth=1
	v_mul_f32_e32 v12, v10, v10
	v_fmamk_f32 v13, v12, 0xba1345e1, v14
	v_fmaak_f32 v13, v12, v13, 0xbcdac9b8
	v_fmaak_f32 v13, v12, v13, 0x3de703be
	;; [unrolled: 1-line block ×4, first 2 shown]
	v_fma_f32 v12, |v10|, v12, |v10|
	s_branch .LBB424_8
.LBB424_25:
	s_endpgm
	.section	.rodata,"a",@progbits
	.p2align	6, 0x0
	.amdhsa_kernel _ZN5aiter23act_and_mul_bias_kernelIDF16_DF16_sfTnPFfRKT2_EXadL_ZNS_11gelu_kernelIfEEfRKT_EELi4EEEvPT0_PS8_PKT1_PS2_il
		.amdhsa_group_segment_fixed_size 0
		.amdhsa_private_segment_fixed_size 0
		.amdhsa_kernarg_size 304
		.amdhsa_user_sgpr_count 2
		.amdhsa_user_sgpr_dispatch_ptr 0
		.amdhsa_user_sgpr_queue_ptr 0
		.amdhsa_user_sgpr_kernarg_segment_ptr 1
		.amdhsa_user_sgpr_dispatch_id 0
		.amdhsa_user_sgpr_kernarg_preload_length 0
		.amdhsa_user_sgpr_kernarg_preload_offset 0
		.amdhsa_user_sgpr_private_segment_size 0
		.amdhsa_uses_dynamic_stack 0
		.amdhsa_enable_private_segment 0
		.amdhsa_system_sgpr_workgroup_id_x 1
		.amdhsa_system_sgpr_workgroup_id_y 0
		.amdhsa_system_sgpr_workgroup_id_z 0
		.amdhsa_system_sgpr_workgroup_info 0
		.amdhsa_system_vgpr_workitem_id 0
		.amdhsa_next_free_vgpr 24
		.amdhsa_next_free_sgpr 42
		.amdhsa_accum_offset 24
		.amdhsa_reserve_vcc 1
		.amdhsa_float_round_mode_32 0
		.amdhsa_float_round_mode_16_64 0
		.amdhsa_float_denorm_mode_32 3
		.amdhsa_float_denorm_mode_16_64 3
		.amdhsa_dx10_clamp 1
		.amdhsa_ieee_mode 1
		.amdhsa_fp16_overflow 0
		.amdhsa_tg_split 0
		.amdhsa_exception_fp_ieee_invalid_op 0
		.amdhsa_exception_fp_denorm_src 0
		.amdhsa_exception_fp_ieee_div_zero 0
		.amdhsa_exception_fp_ieee_overflow 0
		.amdhsa_exception_fp_ieee_underflow 0
		.amdhsa_exception_fp_ieee_inexact 0
		.amdhsa_exception_int_div_zero 0
	.end_amdhsa_kernel
	.section	.text._ZN5aiter23act_and_mul_bias_kernelIDF16_DF16_sfTnPFfRKT2_EXadL_ZNS_11gelu_kernelIfEEfRKT_EELi4EEEvPT0_PS8_PKT1_PS2_il,"axG",@progbits,_ZN5aiter23act_and_mul_bias_kernelIDF16_DF16_sfTnPFfRKT2_EXadL_ZNS_11gelu_kernelIfEEfRKT_EELi4EEEvPT0_PS8_PKT1_PS2_il,comdat
.Lfunc_end424:
	.size	_ZN5aiter23act_and_mul_bias_kernelIDF16_DF16_sfTnPFfRKT2_EXadL_ZNS_11gelu_kernelIfEEfRKT_EELi4EEEvPT0_PS8_PKT1_PS2_il, .Lfunc_end424-_ZN5aiter23act_and_mul_bias_kernelIDF16_DF16_sfTnPFfRKT2_EXadL_ZNS_11gelu_kernelIfEEfRKT_EELi4EEEvPT0_PS8_PKT1_PS2_il
                                        ; -- End function
	.section	.AMDGPU.csdata,"",@progbits
; Kernel info:
; codeLenInByte = 1828
; NumSgprs: 48
; NumVgprs: 24
; NumAgprs: 0
; TotalNumVgprs: 24
; ScratchSize: 0
; MemoryBound: 0
; FloatMode: 240
; IeeeMode: 1
; LDSByteSize: 0 bytes/workgroup (compile time only)
; SGPRBlocks: 5
; VGPRBlocks: 2
; NumSGPRsForWavesPerEU: 48
; NumVGPRsForWavesPerEU: 24
; AccumOffset: 24
; Occupancy: 8
; WaveLimiterHint : 0
; COMPUTE_PGM_RSRC2:SCRATCH_EN: 0
; COMPUTE_PGM_RSRC2:USER_SGPR: 2
; COMPUTE_PGM_RSRC2:TRAP_HANDLER: 0
; COMPUTE_PGM_RSRC2:TGID_X_EN: 1
; COMPUTE_PGM_RSRC2:TGID_Y_EN: 0
; COMPUTE_PGM_RSRC2:TGID_Z_EN: 0
; COMPUTE_PGM_RSRC2:TIDIG_COMP_CNT: 0
; COMPUTE_PGM_RSRC3_GFX90A:ACCUM_OFFSET: 5
; COMPUTE_PGM_RSRC3_GFX90A:TG_SPLIT: 0
	.section	.text._ZN5aiter23act_and_mul_bias_kernelIDF16_DF16_sfTnPFfRKT2_EXadL_ZNS_11gelu_kernelIfEEfRKT_EELi2EEEvPT0_PS8_PKT1_PS2_il,"axG",@progbits,_ZN5aiter23act_and_mul_bias_kernelIDF16_DF16_sfTnPFfRKT2_EXadL_ZNS_11gelu_kernelIfEEfRKT_EELi2EEEvPT0_PS8_PKT1_PS2_il,comdat
	.protected	_ZN5aiter23act_and_mul_bias_kernelIDF16_DF16_sfTnPFfRKT2_EXadL_ZNS_11gelu_kernelIfEEfRKT_EELi2EEEvPT0_PS8_PKT1_PS2_il ; -- Begin function _ZN5aiter23act_and_mul_bias_kernelIDF16_DF16_sfTnPFfRKT2_EXadL_ZNS_11gelu_kernelIfEEfRKT_EELi2EEEvPT0_PS8_PKT1_PS2_il
	.globl	_ZN5aiter23act_and_mul_bias_kernelIDF16_DF16_sfTnPFfRKT2_EXadL_ZNS_11gelu_kernelIfEEfRKT_EELi2EEEvPT0_PS8_PKT1_PS2_il
	.p2align	8
	.type	_ZN5aiter23act_and_mul_bias_kernelIDF16_DF16_sfTnPFfRKT2_EXadL_ZNS_11gelu_kernelIfEEfRKT_EELi2EEEvPT0_PS8_PKT1_PS2_il,@function
_ZN5aiter23act_and_mul_bias_kernelIDF16_DF16_sfTnPFfRKT2_EXadL_ZNS_11gelu_kernelIfEEfRKT_EELi2EEEvPT0_PS8_PKT1_PS2_il: ; @_ZN5aiter23act_and_mul_bias_kernelIDF16_DF16_sfTnPFfRKT2_EXadL_ZNS_11gelu_kernelIfEEfRKT_EELi2EEEvPT0_PS8_PKT1_PS2_il
; %bb.0:
	s_load_dword s24, s[0:1], 0x20
	s_load_dwordx2 s[4:5], s[0:1], 0x10
	s_load_dwordx2 s[6:7], s[0:1], 0x28
	s_mov_b32 s3, 0
	s_lshl_b64 s[8:9], s[2:3], 1
	s_waitcnt lgkmcnt(0)
	s_ashr_i32 s25, s24, 31
	s_add_u32 s4, s4, s8
	s_addc_u32 s5, s5, s9
	v_mov_b32_e32 v1, 0
	global_load_ushort v1, v1, s[4:5]
	s_mul_hi_u32 s3, s24, s2
	v_mov_b64_e32 v[2:3], s[6:7]
	s_mul_i32 s6, s25, s2
	s_add_i32 s7, s24, 1
	s_add_i32 s9, s3, s6
	s_lshr_b32 s3, s7, 31
	s_load_dwordx2 s[4:5], s[0:1], 0x0
	s_add_i32 s7, s7, s3
	s_lshl_b32 s3, s7, 1
	s_mul_i32 s8, s24, s2
	s_and_b32 s6, s3, -4
	s_lshl_b64 s[12:13], s[8:9], 1
	s_mov_b64 s[10:11], -1
	s_waitcnt vmcnt(0)
	v_readfirstlane_b32 s3, v1
	s_sext_i32_i16 s8, s3
	s_ashr_i32 s9, s8, 31
	s_waitcnt lgkmcnt(0)
	s_add_u32 s4, s4, s12
	s_addc_u32 s3, s5, s13
	s_and_b32 s5, s3, 0xffff
	s_cmp_gt_i32 s8, -1
	v_cmp_lt_i64_e32 vcc, s[8:9], v[2:3]
	s_cselect_b64 s[12:13], -1, 0
	s_and_b64 s[12:13], s[12:13], vcc
	s_and_b64 vcc, exec, s[12:13]
	v_lshlrev_b32_e32 v2, 1, v0
	s_cbranch_vccnz .LBB425_5
; %bb.1:
	v_cmp_gt_i32_e32 vcc, s24, v2
	s_and_saveexec_b64 s[10:11], vcc
	s_cbranch_execz .LBB425_4
; %bb.2:
	s_load_dword s3, s[0:1], 0x3c
	v_mov_b32_e32 v3, 0
	s_mov_b32 s13, 0
	v_lshlrev_b32_e32 v4, 2, v0
	s_mov_b64 s[14:15], 0
	s_waitcnt lgkmcnt(0)
	s_and_b32 s3, s3, 0xffff
	s_lshl_b32 s12, s3, 1
	s_lshl_b32 s3, s3, 2
	s_mov_b32 s7, 0x20000
	v_mov_b64_e32 v[0:1], v[2:3]
.LBB425_3:                              ; =>This Inner Loop Header: Depth=1
	v_lshl_add_u64 v[0:1], s[12:13], 0, v[0:1]
	v_cmp_le_i64_e32 vcc, s[24:25], v[0:1]
	buffer_store_dword v3, v4, s[4:7], 0 offen
	s_or_b64 s[14:15], vcc, s[14:15]
	v_add_u32_e32 v4, s3, v4
	s_andn2_b64 exec, exec, s[14:15]
	s_cbranch_execnz .LBB425_3
.LBB425_4:
	s_or_b64 exec, exec, s[10:11]
	s_mov_b64 s[10:11], 0
.LBB425_5:
	s_andn2_b64 vcc, exec, s[10:11]
	s_cbranch_vccnz .LBB425_13
; %bb.6:
	v_cmp_gt_i32_e32 vcc, s24, v2
	s_and_saveexec_b64 s[10:11], vcc
	s_cbranch_execz .LBB425_13
; %bb.7:
	s_load_dwordx2 s[10:11], s[0:1], 0x18
	s_load_dwordx2 s[14:15], s[0:1], 0x8
	s_mul_hi_i32 s9, s24, s8
	s_mul_i32 s8, s24, s8
	s_lshl_b64 s[8:9], s[8:9], 3
	s_waitcnt lgkmcnt(0)
	s_add_u32 s8, s10, s8
	s_addc_u32 s3, s11, s9
	s_lshl_b64 s[10:11], s[24:25], 2
	s_add_u32 s12, s8, s10
	s_addc_u32 s13, s3, s11
	s_and_b32 s9, s3, 0xffff
	s_mul_i32 s3, s2, s25
	s_mul_hi_u32 s16, s2, s24
	s_add_i32 s3, s16, s3
	s_mul_i32 s2, s2, s24
	s_lshl_b32 s10, s24, 2
	s_and_b32 s13, s13, 0xffff
	s_lshl_b64 s[2:3], s[2:3], 2
	s_add_u32 s16, s14, s2
	s_addc_u32 s14, s15, s3
	s_lshl_b64 s[2:3], s[24:25], 1
	s_add_u32 s20, s16, s2
	s_addc_u32 s2, s14, s3
	s_and_b32 s17, s14, 0xffff
	s_and_b32 s21, s2, 0xffff
	s_mov_b32 s7, 0x20000
	s_add_u32 s0, s0, 48
	s_mov_b32 s11, s7
	s_mov_b64 s[22:23], s[6:7]
	v_mov_b32_e32 v3, 0
	s_addc_u32 s1, s1, 0
	s_mov_b64 s[2:3], 0
	s_mov_b32 s18, s6
	s_mov_b32 s19, s7
	s_mov_b32 s27, 0
	s_mov_b32 s28, 0x3f3504f3
	s_mov_b32 s29, 0x378e98ab
	s_mov_b32 s30, 0x3b7cd369
	s_mov_b32 s31, 0xbcc618b2
	s_mov_b32 s33, 0x3dda74e4
	s_mov_b32 s34, 0x3f228afd
	s_mov_b32 s35, 0x3e03c728
	s_mov_b32 s36, 0xbfb8aa3b
	s_mov_b32 s37, 0x42ce8ed0
	s_mov_b32 s38, 0xc2b17218
	v_mov_b32_e32 v10, 0x3ba10414
	v_mov_b32_e32 v11, 0xb9c68948
	;; [unrolled: 1-line block ×3, first 2 shown]
	s_brev_b32 s39, -2
                                        ; implicit-def: $vgpr0
                                        ; implicit-def: $vgpr0
	;; [unrolled: 1-line block ×4, first 2 shown]
	s_branch .LBB425_9
.LBB425_8:                              ;   in Loop: Header=BB425_9 Depth=1
	s_or_b64 exec, exec, s[14:15]
	v_fma_f32 v8, |v1|, s29, v11
	v_fma_f32 v8, |v1|, v8, s30
	;; [unrolled: 1-line block ×6, first 2 shown]
	v_fma_f32 v8, |v1|, v8, |v1|
	s_waitcnt vmcnt(1)
	v_cvt_f32_f16_sdwa v17, v14 dst_sel:DWORD dst_unused:UNUSED_PAD src0_sel:WORD_1
	v_cvt_f32_f16_e32 v16, v14
	v_mul_f32_e32 v14, 0xbfb8aa3b, v8
	v_fma_f32 v18, v8, s36, -v14
	v_rndne_f32_e32 v19, v14
	v_fmac_f32_e32 v18, 0xb2a5705f, v8
	v_sub_f32_e32 v14, v14, v19
	v_add_f32_e32 v14, v14, v18
	v_exp_f32_e32 v14, v14
	v_cvt_i32_f32_e32 v18, v19
	v_cmp_nlt_f32_e32 vcc, s37, v8
	v_bfi_b32 v0, s39, v15, v0
	v_mul_f32_e32 v5, 0.5, v5
	v_ldexp_f32 v14, v14, v18
	v_cndmask_b32_e32 v14, 0, v14, vcc
	v_cmp_ngt_f32_e32 vcc, s38, v8
	v_mul_f32_e32 v4, 0.5, v4
	s_waitcnt vmcnt(0)
	v_pk_add_f32 v[6:7], v[6:7], v[16:17]
	v_cndmask_b32_e32 v8, v12, v14, vcc
	v_fmamk_f32 v14, v9, 0xba1345e1, v10
	v_fmaak_f32 v14, v9, v14, 0xbcdac9b8
	v_fmaak_f32 v14, v9, v14, 0x3de703be
	;; [unrolled: 1-line block ×4, first 2 shown]
	v_sub_f32_e32 v8, 1.0, v8
	v_fma_f32 v9, |v1|, v9, |v1|
	v_cmp_lt_f32_e64 vcc, |v1|, 1.0
	s_nop 1
	v_cndmask_b32_e32 v8, v8, v9, vcc
	v_bfi_b32 v1, s39, v8, v1
	v_pk_add_f32 v[0:1], v[0:1], 1.0 op_sel_hi:[1,0]
	s_nop 0
	v_pk_mul_f32 v[0:1], v[4:5], v[0:1]
	s_nop 0
	;;#ASMSTART
	v_pk_mul_f32 v[0:1], v[0:1], v[6:7]
	;;#ASMEND
	s_load_dword s14, s[0:1], 0xc
	v_cvt_f16_f32_e32 v0, v0
	v_cvt_f16_f32_e32 v1, v1
	s_waitcnt lgkmcnt(0)
	s_and_b32 s14, s14, 0xffff
	s_lshl_b32 s26, s14, 1
	v_lshl_add_u64 v[2:3], s[26:27], 0, v[2:3]
	v_cmp_le_i64_e32 vcc, s[24:25], v[2:3]
	v_pack_b32_f16 v0, v0, v1
	s_or_b64 s[2:3], vcc, s[2:3]
	buffer_store_dword v0, v13, s[4:7], 0 offen
	s_andn2_b64 exec, exec, s[2:3]
	s_cbranch_execz .LBB425_13
.LBB425_9:                              ; =>This Inner Loop Header: Depth=1
	v_lshlrev_b32_e32 v13, 1, v2
	buffer_load_dword v5, v13, s[16:19], 0 offen
	v_lshlrev_b32_e32 v4, 2, v2
	buffer_load_dwordx2 v[0:1], v4, s[8:11], 0 offen
	s_mov_b32 s14, s10
	s_mov_b32 s15, s11
	buffer_load_dword v14, v13, s[20:23], 0 offen
	buffer_load_dwordx2 v[6:7], v4, s[12:15], 0 offen
                                        ; implicit-def: $vgpr15
	s_waitcnt vmcnt(3)
	v_cvt_f32_f16_e32 v4, v5
	v_cvt_f32_f16_sdwa v5, v5 dst_sel:DWORD dst_unused:UNUSED_PAD src0_sel:WORD_1
	s_waitcnt vmcnt(2)
	v_pk_add_f32 v[4:5], v[0:1], v[4:5]
	s_nop 0
	v_pk_mul_f32 v[0:1], v[4:5], s[28:29] op_sel_hi:[1,0]
	s_nop 0
	v_cmp_nlt_f32_e64 s[14:15], |v0|, 1.0
	s_and_saveexec_b64 s[40:41], s[14:15]
	s_xor_b64 s[14:15], exec, s[40:41]
	s_cbranch_execz .LBB425_11
; %bb.10:                               ;   in Loop: Header=BB425_9 Depth=1
	v_fma_f32 v8, |v0|, s29, v11
	v_fma_f32 v8, |v0|, v8, s30
	;; [unrolled: 1-line block ×6, first 2 shown]
	v_fma_f32 v8, |v0|, v8, |v0|
	v_mul_f32_e32 v9, 0xbfb8aa3b, v8
	v_fma_f32 v15, v8, s36, -v9
	v_rndne_f32_e32 v16, v9
	v_fmac_f32_e32 v15, 0xb2a5705f, v8
	v_sub_f32_e32 v9, v9, v16
	v_add_f32_e32 v9, v9, v15
	v_cvt_i32_f32_e32 v15, v16
	v_exp_f32_e32 v9, v9
	v_cmp_nlt_f32_e32 vcc, s37, v8
	v_ldexp_f32 v9, v9, v15
	s_nop 0
	v_cndmask_b32_e32 v9, 0, v9, vcc
	v_cmp_ngt_f32_e32 vcc, s38, v8
	s_nop 1
	v_cndmask_b32_e32 v8, v12, v9, vcc
	v_sub_f32_e32 v15, 1.0, v8
.LBB425_11:                             ;   in Loop: Header=BB425_9 Depth=1
	s_or_saveexec_b64 s[14:15], s[14:15]
	v_pk_mul_f32 v[8:9], v[0:1], v[0:1]
	s_xor_b64 exec, exec, s[14:15]
	s_cbranch_execz .LBB425_8
; %bb.12:                               ;   in Loop: Header=BB425_9 Depth=1
	v_fmamk_f32 v15, v8, 0xba1345e1, v10
	v_fmaak_f32 v15, v8, v15, 0xbcdac9b8
	v_fmaak_f32 v15, v8, v15, 0x3de703be
	;; [unrolled: 1-line block ×4, first 2 shown]
	v_fma_f32 v15, |v0|, v8, |v0|
	s_branch .LBB425_8
.LBB425_13:
	s_endpgm
	.section	.rodata,"a",@progbits
	.p2align	6, 0x0
	.amdhsa_kernel _ZN5aiter23act_and_mul_bias_kernelIDF16_DF16_sfTnPFfRKT2_EXadL_ZNS_11gelu_kernelIfEEfRKT_EELi2EEEvPT0_PS8_PKT1_PS2_il
		.amdhsa_group_segment_fixed_size 0
		.amdhsa_private_segment_fixed_size 0
		.amdhsa_kernarg_size 304
		.amdhsa_user_sgpr_count 2
		.amdhsa_user_sgpr_dispatch_ptr 0
		.amdhsa_user_sgpr_queue_ptr 0
		.amdhsa_user_sgpr_kernarg_segment_ptr 1
		.amdhsa_user_sgpr_dispatch_id 0
		.amdhsa_user_sgpr_kernarg_preload_length 0
		.amdhsa_user_sgpr_kernarg_preload_offset 0
		.amdhsa_user_sgpr_private_segment_size 0
		.amdhsa_uses_dynamic_stack 0
		.amdhsa_enable_private_segment 0
		.amdhsa_system_sgpr_workgroup_id_x 1
		.amdhsa_system_sgpr_workgroup_id_y 0
		.amdhsa_system_sgpr_workgroup_id_z 0
		.amdhsa_system_sgpr_workgroup_info 0
		.amdhsa_system_vgpr_workitem_id 0
		.amdhsa_next_free_vgpr 20
		.amdhsa_next_free_sgpr 42
		.amdhsa_accum_offset 20
		.amdhsa_reserve_vcc 1
		.amdhsa_float_round_mode_32 0
		.amdhsa_float_round_mode_16_64 0
		.amdhsa_float_denorm_mode_32 3
		.amdhsa_float_denorm_mode_16_64 3
		.amdhsa_dx10_clamp 1
		.amdhsa_ieee_mode 1
		.amdhsa_fp16_overflow 0
		.amdhsa_tg_split 0
		.amdhsa_exception_fp_ieee_invalid_op 0
		.amdhsa_exception_fp_denorm_src 0
		.amdhsa_exception_fp_ieee_div_zero 0
		.amdhsa_exception_fp_ieee_overflow 0
		.amdhsa_exception_fp_ieee_underflow 0
		.amdhsa_exception_fp_ieee_inexact 0
		.amdhsa_exception_int_div_zero 0
	.end_amdhsa_kernel
	.section	.text._ZN5aiter23act_and_mul_bias_kernelIDF16_DF16_sfTnPFfRKT2_EXadL_ZNS_11gelu_kernelIfEEfRKT_EELi2EEEvPT0_PS8_PKT1_PS2_il,"axG",@progbits,_ZN5aiter23act_and_mul_bias_kernelIDF16_DF16_sfTnPFfRKT2_EXadL_ZNS_11gelu_kernelIfEEfRKT_EELi2EEEvPT0_PS8_PKT1_PS2_il,comdat
.Lfunc_end425:
	.size	_ZN5aiter23act_and_mul_bias_kernelIDF16_DF16_sfTnPFfRKT2_EXadL_ZNS_11gelu_kernelIfEEfRKT_EELi2EEEvPT0_PS8_PKT1_PS2_il, .Lfunc_end425-_ZN5aiter23act_and_mul_bias_kernelIDF16_DF16_sfTnPFfRKT2_EXadL_ZNS_11gelu_kernelIfEEfRKT_EELi2EEEvPT0_PS8_PKT1_PS2_il
                                        ; -- End function
	.section	.AMDGPU.csdata,"",@progbits
; Kernel info:
; codeLenInByte = 1272
; NumSgprs: 48
; NumVgprs: 20
; NumAgprs: 0
; TotalNumVgprs: 20
; ScratchSize: 0
; MemoryBound: 0
; FloatMode: 240
; IeeeMode: 1
; LDSByteSize: 0 bytes/workgroup (compile time only)
; SGPRBlocks: 5
; VGPRBlocks: 2
; NumSGPRsForWavesPerEU: 48
; NumVGPRsForWavesPerEU: 20
; AccumOffset: 20
; Occupancy: 8
; WaveLimiterHint : 0
; COMPUTE_PGM_RSRC2:SCRATCH_EN: 0
; COMPUTE_PGM_RSRC2:USER_SGPR: 2
; COMPUTE_PGM_RSRC2:TRAP_HANDLER: 0
; COMPUTE_PGM_RSRC2:TGID_X_EN: 1
; COMPUTE_PGM_RSRC2:TGID_Y_EN: 0
; COMPUTE_PGM_RSRC2:TGID_Z_EN: 0
; COMPUTE_PGM_RSRC2:TIDIG_COMP_CNT: 0
; COMPUTE_PGM_RSRC3_GFX90A:ACCUM_OFFSET: 4
; COMPUTE_PGM_RSRC3_GFX90A:TG_SPLIT: 0
	.section	.text._ZN5aiter23act_and_mul_bias_kernelIDF16_DF16_sfTnPFfRKT2_EXadL_ZNS_11gelu_kernelIfEEfRKT_EELi1EEEvPT0_PS8_PKT1_PS2_il,"axG",@progbits,_ZN5aiter23act_and_mul_bias_kernelIDF16_DF16_sfTnPFfRKT2_EXadL_ZNS_11gelu_kernelIfEEfRKT_EELi1EEEvPT0_PS8_PKT1_PS2_il,comdat
	.protected	_ZN5aiter23act_and_mul_bias_kernelIDF16_DF16_sfTnPFfRKT2_EXadL_ZNS_11gelu_kernelIfEEfRKT_EELi1EEEvPT0_PS8_PKT1_PS2_il ; -- Begin function _ZN5aiter23act_and_mul_bias_kernelIDF16_DF16_sfTnPFfRKT2_EXadL_ZNS_11gelu_kernelIfEEfRKT_EELi1EEEvPT0_PS8_PKT1_PS2_il
	.globl	_ZN5aiter23act_and_mul_bias_kernelIDF16_DF16_sfTnPFfRKT2_EXadL_ZNS_11gelu_kernelIfEEfRKT_EELi1EEEvPT0_PS8_PKT1_PS2_il
	.p2align	8
	.type	_ZN5aiter23act_and_mul_bias_kernelIDF16_DF16_sfTnPFfRKT2_EXadL_ZNS_11gelu_kernelIfEEfRKT_EELi1EEEvPT0_PS8_PKT1_PS2_il,@function
_ZN5aiter23act_and_mul_bias_kernelIDF16_DF16_sfTnPFfRKT2_EXadL_ZNS_11gelu_kernelIfEEfRKT_EELi1EEEvPT0_PS8_PKT1_PS2_il: ; @_ZN5aiter23act_and_mul_bias_kernelIDF16_DF16_sfTnPFfRKT2_EXadL_ZNS_11gelu_kernelIfEEfRKT_EELi1EEEvPT0_PS8_PKT1_PS2_il
; %bb.0:
	s_load_dword s20, s[0:1], 0x20
	s_load_dwordx2 s[4:5], s[0:1], 0x10
	s_load_dwordx2 s[6:7], s[0:1], 0x28
	s_mov_b32 s3, 0
	s_lshl_b64 s[8:9], s[2:3], 1
	s_waitcnt lgkmcnt(0)
	s_ashr_i32 s21, s20, 31
	s_add_u32 s4, s4, s8
	s_addc_u32 s5, s5, s9
	v_mov_b32_e32 v1, 0
	global_load_ushort v1, v1, s[4:5]
	s_mul_hi_u32 s3, s20, s2
	v_mov_b64_e32 v[2:3], s[6:7]
	s_mul_i32 s6, s21, s2
	s_add_i32 s7, s20, 1
	s_add_i32 s9, s3, s6
	s_lshr_b32 s3, s7, 31
	s_load_dwordx2 s[4:5], s[0:1], 0x0
	s_add_i32 s7, s7, s3
	s_lshl_b32 s3, s7, 1
	s_and_b32 s10, s3, -4
	s_mul_i32 s8, s20, s2
	s_lshl_b64 s[8:9], s[8:9], 1
	s_mov_b64 s[12:13], -1
	s_waitcnt vmcnt(0)
	v_readfirstlane_b32 s3, v1
	s_sext_i32_i16 s6, s3
	s_ashr_i32 s7, s6, 31
	s_waitcnt lgkmcnt(0)
	s_add_u32 s8, s4, s8
	s_addc_u32 s3, s5, s9
	s_and_b32 s9, s3, 0xffff
	s_cmp_gt_i32 s6, -1
	v_cmp_lt_i64_e32 vcc, s[6:7], v[2:3]
	s_cselect_b64 s[4:5], -1, 0
	s_and_b64 s[4:5], s[4:5], vcc
	s_and_b64 vcc, exec, s[4:5]
	v_cmp_gt_i32_e64 s[4:5], s20, v0
	s_cbranch_vccnz .LBB426_5
; %bb.1:
	s_and_saveexec_b64 s[12:13], s[4:5]
	s_cbranch_execz .LBB426_4
; %bb.2:
	s_load_dword s3, s[0:1], 0x3c
	v_mov_b32_e32 v1, 0
	s_mov_b32 s5, 0
	v_lshlrev_b32_e32 v4, 1, v0
	s_mov_b64 s[14:15], 0
	s_waitcnt lgkmcnt(0)
	s_and_b32 s4, s3, 0xffff
	s_lshl_b32 s3, s4, 1
	s_mov_b32 s11, 0x20000
	v_mov_b64_e32 v[2:3], v[0:1]
.LBB426_3:                              ; =>This Inner Loop Header: Depth=1
	v_lshl_add_u64 v[2:3], v[2:3], 0, s[4:5]
	v_cmp_le_i64_e32 vcc, s[20:21], v[2:3]
	buffer_store_short v1, v4, s[8:11], 0 offen
	s_or_b64 s[14:15], vcc, s[14:15]
	v_add_u32_e32 v4, s3, v4
	s_andn2_b64 exec, exec, s[14:15]
	s_cbranch_execnz .LBB426_3
.LBB426_4:
	s_or_b64 exec, exec, s[12:13]
	s_mov_b64 s[12:13], 0
.LBB426_5:
	s_andn2_b64 vcc, exec, s[12:13]
	s_cbranch_vccnz .LBB426_13
; %bb.6:
	v_cmp_gt_i32_e32 vcc, s20, v0
	s_and_saveexec_b64 s[4:5], vcc
	s_cbranch_execz .LBB426_13
; %bb.7:
	s_load_dwordx2 s[12:13], s[0:1], 0x8
	s_load_dwordx2 s[4:5], s[0:1], 0x18
	s_mul_hi_i32 s7, s20, s6
	s_mul_i32 s6, s20, s6
	s_lshl_b64 s[6:7], s[6:7], 3
	s_load_dword s14, s[0:1], 0x3c
	s_waitcnt lgkmcnt(0)
	s_add_u32 s4, s4, s6
	s_addc_u32 s3, s5, s7
	s_lshl_b64 s[0:1], s[20:21], 2
	s_add_u32 s0, s4, s0
	s_addc_u32 s1, s3, s1
	s_and_b32 s5, s3, 0xffff
	s_mul_i32 s3, s2, s21
	s_mul_hi_u32 s15, s2, s20
	s_add_i32 s3, s15, s3
	s_mul_i32 s2, s2, s20
	s_lshl_b32 s6, s20, 2
	s_and_b32 s1, s1, 0xffff
	s_lshl_b64 s[2:3], s[2:3], 2
	s_add_u32 s12, s12, s2
	s_addc_u32 s13, s13, s3
	s_lshl_b64 s[2:3], s[20:21], 1
	s_add_u32 s16, s12, s2
	s_mov_b32 s11, 0x20000
	s_addc_u32 s2, s13, s3
	s_and_b32 s22, s14, 0xffff
                                        ; implicit-def: $vgpr5
                                        ; implicit-def: $vgpr5
	;; [unrolled: 1-line block ×4, first 2 shown]
	s_mov_b32 s7, s11
	s_and_b32 s13, s13, 0xffff
	s_mov_b64 s[18:19], s[10:11]
	s_and_b32 s17, s2, 0xffff
	s_mov_b32 s23, 0
	v_mov_b32_e32 v1, 0
	v_lshlrev_b32_e32 v2, 2, v0
	s_lshl_b32 s26, s22, 2
	v_lshlrev_b32_e32 v3, 1, v0
	s_lshl_b32 s27, s22, 1
	s_mov_b64 s[24:25], 0
	s_mov_b32 s14, s10
	s_mov_b32 s15, s11
	;; [unrolled: 1-line block ×11, first 2 shown]
	v_mov_b32_e32 v4, 0x3ba10414
	s_brev_b32 s38, -2
	v_mov_b32_e32 v5, 0xb9c68948
	v_mov_b32_e32 v6, 0x7f800000
	s_branch .LBB426_9
.LBB426_8:                              ;   in Loop: Header=BB426_9 Depth=1
	s_or_b64 exec, exec, s[2:3]
	v_cvt_f32_f16_e32 v7, v7
	v_bfi_b32 v10, s38, v11, v10
	v_mul_f32_e32 v9, 0.5, v9
	v_add_f32_e32 v10, 1.0, v10
	s_waitcnt vmcnt(0)
	v_add_f32_e32 v7, v7, v8
	v_mul_f32_e32 v8, v9, v10
	v_lshl_add_u64 v[0:1], v[0:1], 0, s[22:23]
	v_fma_mixlo_f16 v7, v7, v8, 0
	v_cmp_le_i64_e32 vcc, s[20:21], v[0:1]
	buffer_store_short v7, v3, s[8:11], 0 offen
	v_add_u32_e32 v2, s26, v2
	s_or_b64 s[24:25], vcc, s[24:25]
	v_add_u32_e32 v3, s27, v3
	s_andn2_b64 exec, exec, s[24:25]
	s_cbranch_execz .LBB426_13
.LBB426_9:                              ; =>This Inner Loop Header: Depth=1
	buffer_load_ushort v9, v3, s[12:15], 0 offen
	buffer_load_ushort v7, v3, s[16:19], 0 offen
	buffer_load_dword v10, v2, s[4:7], 0 offen
	s_mov_b32 s2, s6
	s_mov_b32 s3, s7
	buffer_load_dword v8, v2, s[0:3], 0 offen
                                        ; implicit-def: $vgpr11
	s_waitcnt vmcnt(3)
	v_cvt_f32_f16_e32 v9, v9
	s_waitcnt vmcnt(1)
	v_add_f32_e32 v9, v9, v10
	v_mul_f32_e32 v10, 0x3f3504f3, v9
	v_cmp_nlt_f32_e64 s[2:3], |v10|, 1.0
	s_and_saveexec_b64 s[40:41], s[2:3]
	s_xor_b64 s[2:3], exec, s[40:41]
	s_cbranch_execz .LBB426_11
; %bb.10:                               ;   in Loop: Header=BB426_9 Depth=1
	v_fma_f32 v11, |v10|, s28, v5
	v_fma_f32 v11, |v10|, v11, s29
	;; [unrolled: 1-line block ×6, first 2 shown]
	v_fma_f32 v11, |v10|, v11, |v10|
	v_mul_f32_e32 v12, 0xbfb8aa3b, v11
	v_fma_f32 v13, v11, s35, -v12
	v_rndne_f32_e32 v14, v12
	v_fmac_f32_e32 v13, 0xb2a5705f, v11
	v_sub_f32_e32 v12, v12, v14
	v_add_f32_e32 v12, v12, v13
	v_cvt_i32_f32_e32 v13, v14
	v_exp_f32_e32 v12, v12
	v_cmp_nlt_f32_e32 vcc, s36, v11
	v_ldexp_f32 v12, v12, v13
	s_nop 0
	v_cndmask_b32_e32 v12, 0, v12, vcc
	v_cmp_ngt_f32_e32 vcc, s37, v11
	s_nop 1
	v_cndmask_b32_e32 v11, v6, v12, vcc
	v_sub_f32_e32 v11, 1.0, v11
.LBB426_11:                             ;   in Loop: Header=BB426_9 Depth=1
	s_andn2_saveexec_b64 s[2:3], s[2:3]
	s_cbranch_execz .LBB426_8
; %bb.12:                               ;   in Loop: Header=BB426_9 Depth=1
	v_mul_f32_e32 v11, v10, v10
	v_fmamk_f32 v12, v11, 0xba1345e1, v4
	v_fmaak_f32 v12, v11, v12, 0xbcdac9b8
	v_fmaak_f32 v12, v11, v12, 0x3de703be
	;; [unrolled: 1-line block ×4, first 2 shown]
	v_fma_f32 v11, |v10|, v11, |v10|
	s_branch .LBB426_8
.LBB426_13:
	s_endpgm
	.section	.rodata,"a",@progbits
	.p2align	6, 0x0
	.amdhsa_kernel _ZN5aiter23act_and_mul_bias_kernelIDF16_DF16_sfTnPFfRKT2_EXadL_ZNS_11gelu_kernelIfEEfRKT_EELi1EEEvPT0_PS8_PKT1_PS2_il
		.amdhsa_group_segment_fixed_size 0
		.amdhsa_private_segment_fixed_size 0
		.amdhsa_kernarg_size 304
		.amdhsa_user_sgpr_count 2
		.amdhsa_user_sgpr_dispatch_ptr 0
		.amdhsa_user_sgpr_queue_ptr 0
		.amdhsa_user_sgpr_kernarg_segment_ptr 1
		.amdhsa_user_sgpr_dispatch_id 0
		.amdhsa_user_sgpr_kernarg_preload_length 0
		.amdhsa_user_sgpr_kernarg_preload_offset 0
		.amdhsa_user_sgpr_private_segment_size 0
		.amdhsa_uses_dynamic_stack 0
		.amdhsa_enable_private_segment 0
		.amdhsa_system_sgpr_workgroup_id_x 1
		.amdhsa_system_sgpr_workgroup_id_y 0
		.amdhsa_system_sgpr_workgroup_id_z 0
		.amdhsa_system_sgpr_workgroup_info 0
		.amdhsa_system_vgpr_workitem_id 0
		.amdhsa_next_free_vgpr 15
		.amdhsa_next_free_sgpr 42
		.amdhsa_accum_offset 16
		.amdhsa_reserve_vcc 1
		.amdhsa_float_round_mode_32 0
		.amdhsa_float_round_mode_16_64 0
		.amdhsa_float_denorm_mode_32 3
		.amdhsa_float_denorm_mode_16_64 3
		.amdhsa_dx10_clamp 1
		.amdhsa_ieee_mode 1
		.amdhsa_fp16_overflow 0
		.amdhsa_tg_split 0
		.amdhsa_exception_fp_ieee_invalid_op 0
		.amdhsa_exception_fp_denorm_src 0
		.amdhsa_exception_fp_ieee_div_zero 0
		.amdhsa_exception_fp_ieee_overflow 0
		.amdhsa_exception_fp_ieee_underflow 0
		.amdhsa_exception_fp_ieee_inexact 0
		.amdhsa_exception_int_div_zero 0
	.end_amdhsa_kernel
	.section	.text._ZN5aiter23act_and_mul_bias_kernelIDF16_DF16_sfTnPFfRKT2_EXadL_ZNS_11gelu_kernelIfEEfRKT_EELi1EEEvPT0_PS8_PKT1_PS2_il,"axG",@progbits,_ZN5aiter23act_and_mul_bias_kernelIDF16_DF16_sfTnPFfRKT2_EXadL_ZNS_11gelu_kernelIfEEfRKT_EELi1EEEvPT0_PS8_PKT1_PS2_il,comdat
.Lfunc_end426:
	.size	_ZN5aiter23act_and_mul_bias_kernelIDF16_DF16_sfTnPFfRKT2_EXadL_ZNS_11gelu_kernelIfEEfRKT_EELi1EEEvPT0_PS8_PKT1_PS2_il, .Lfunc_end426-_ZN5aiter23act_and_mul_bias_kernelIDF16_DF16_sfTnPFfRKT2_EXadL_ZNS_11gelu_kernelIfEEfRKT_EELi1EEEvPT0_PS8_PKT1_PS2_il
                                        ; -- End function
	.section	.AMDGPU.csdata,"",@progbits
; Kernel info:
; codeLenInByte = 980
; NumSgprs: 48
; NumVgprs: 15
; NumAgprs: 0
; TotalNumVgprs: 15
; ScratchSize: 0
; MemoryBound: 0
; FloatMode: 240
; IeeeMode: 1
; LDSByteSize: 0 bytes/workgroup (compile time only)
; SGPRBlocks: 5
; VGPRBlocks: 1
; NumSGPRsForWavesPerEU: 48
; NumVGPRsForWavesPerEU: 15
; AccumOffset: 16
; Occupancy: 8
; WaveLimiterHint : 0
; COMPUTE_PGM_RSRC2:SCRATCH_EN: 0
; COMPUTE_PGM_RSRC2:USER_SGPR: 2
; COMPUTE_PGM_RSRC2:TRAP_HANDLER: 0
; COMPUTE_PGM_RSRC2:TGID_X_EN: 1
; COMPUTE_PGM_RSRC2:TGID_Y_EN: 0
; COMPUTE_PGM_RSRC2:TGID_Z_EN: 0
; COMPUTE_PGM_RSRC2:TIDIG_COMP_CNT: 0
; COMPUTE_PGM_RSRC3_GFX90A:ACCUM_OFFSET: 3
; COMPUTE_PGM_RSRC3_GFX90A:TG_SPLIT: 0
	.section	.text._ZN5aiter23act_and_mul_bias_kernelIttsfTnPFfRKT2_EXadL_ZNS_11gelu_kernelIfEEfRKT_EELi32EEEvPT0_PS8_PKT1_PS2_il,"axG",@progbits,_ZN5aiter23act_and_mul_bias_kernelIttsfTnPFfRKT2_EXadL_ZNS_11gelu_kernelIfEEfRKT_EELi32EEEvPT0_PS8_PKT1_PS2_il,comdat
	.protected	_ZN5aiter23act_and_mul_bias_kernelIttsfTnPFfRKT2_EXadL_ZNS_11gelu_kernelIfEEfRKT_EELi32EEEvPT0_PS8_PKT1_PS2_il ; -- Begin function _ZN5aiter23act_and_mul_bias_kernelIttsfTnPFfRKT2_EXadL_ZNS_11gelu_kernelIfEEfRKT_EELi32EEEvPT0_PS8_PKT1_PS2_il
	.globl	_ZN5aiter23act_and_mul_bias_kernelIttsfTnPFfRKT2_EXadL_ZNS_11gelu_kernelIfEEfRKT_EELi32EEEvPT0_PS8_PKT1_PS2_il
	.p2align	8
	.type	_ZN5aiter23act_and_mul_bias_kernelIttsfTnPFfRKT2_EXadL_ZNS_11gelu_kernelIfEEfRKT_EELi32EEEvPT0_PS8_PKT1_PS2_il,@function
_ZN5aiter23act_and_mul_bias_kernelIttsfTnPFfRKT2_EXadL_ZNS_11gelu_kernelIfEEfRKT_EELi32EEEvPT0_PS8_PKT1_PS2_il: ; @_ZN5aiter23act_and_mul_bias_kernelIttsfTnPFfRKT2_EXadL_ZNS_11gelu_kernelIfEEfRKT_EELi32EEEvPT0_PS8_PKT1_PS2_il
; %bb.0:
	s_load_dword s24, s[0:1], 0x20
	s_load_dwordx2 s[4:5], s[0:1], 0x10
	s_load_dwordx2 s[6:7], s[0:1], 0x28
	s_mov_b32 s3, 0
	s_lshl_b64 s[8:9], s[2:3], 1
	s_waitcnt lgkmcnt(0)
	s_ashr_i32 s25, s24, 31
	s_add_u32 s4, s4, s8
	s_addc_u32 s5, s5, s9
	v_mov_b32_e32 v1, 0
	global_load_ushort v1, v1, s[4:5]
	s_mul_hi_u32 s3, s24, s2
	v_mov_b64_e32 v[2:3], s[6:7]
	s_mul_i32 s6, s25, s2
	s_add_i32 s7, s24, 1
	s_add_i32 s9, s3, s6
	s_lshr_b32 s3, s7, 31
	s_load_dwordx2 s[4:5], s[0:1], 0x0
	s_add_i32 s7, s7, s3
	s_lshl_b32 s3, s7, 1
	s_mul_i32 s8, s24, s2
	s_and_b32 s6, s3, -4
	s_lshl_b64 s[12:13], s[8:9], 1
	s_mov_b64 s[10:11], -1
	v_lshlrev_b32_e32 v96, 5, v0
	s_waitcnt vmcnt(0)
	v_readfirstlane_b32 s3, v1
	s_sext_i32_i16 s8, s3
	s_ashr_i32 s9, s8, 31
	s_waitcnt lgkmcnt(0)
	s_add_u32 s4, s4, s12
	s_addc_u32 s3, s5, s13
	s_and_b32 s5, s3, 0xffff
	s_cmp_gt_i32 s8, -1
	v_cmp_lt_i64_e32 vcc, s[8:9], v[2:3]
	s_cselect_b64 s[12:13], -1, 0
	s_and_b64 s[12:13], s[12:13], vcc
	s_and_b64 vcc, exec, s[12:13]
	s_cbranch_vccnz .LBB427_5
; %bb.1:
	v_cmp_gt_i32_e32 vcc, s24, v96
	s_and_saveexec_b64 s[10:11], vcc
	s_cbranch_execz .LBB427_4
; %bb.2:
	s_load_dword s3, s[0:1], 0x3c
	s_mov_b32 s13, 0
	s_mov_b32 s16, s13
	;; [unrolled: 1-line block ×3, first 2 shown]
	v_mov_b32_e32 v97, 0
	v_lshlrev_b32_e32 v6, 6, v0
	s_waitcnt lgkmcnt(0)
	s_and_b32 s3, s3, 0xffff
	s_mov_b32 s18, s13
	s_mov_b32 s19, s13
	v_mov_b64_e32 v[0:1], s[16:17]
	s_lshl_b32 s12, s3, 5
	s_lshl_b32 s3, s3, 6
	s_mov_b64 s[14:15], 0
	s_mov_b32 s7, 0x20000
	v_mov_b64_e32 v[2:3], s[18:19]
	v_mov_b64_e32 v[4:5], v[96:97]
.LBB427_3:                              ; =>This Inner Loop Header: Depth=1
	v_lshl_add_u64 v[4:5], s[12:13], 0, v[4:5]
	v_cmp_le_i64_e32 vcc, s[24:25], v[4:5]
	buffer_store_dwordx4 v[0:3], v6, s[4:7], 0 offen
	buffer_store_dwordx4 v[0:3], v6, s[4:7], 16 offen
	;; [unrolled: 1-line block ×4, first 2 shown]
	s_or_b64 s[14:15], vcc, s[14:15]
	v_add_u32_e32 v6, s3, v6
	s_andn2_b64 exec, exec, s[14:15]
	s_cbranch_execnz .LBB427_3
.LBB427_4:
	s_or_b64 exec, exec, s[10:11]
	s_mov_b64 s[10:11], 0
.LBB427_5:
	s_andn2_b64 vcc, exec, s[10:11]
	s_cbranch_vccnz .LBB427_137
; %bb.6:
	v_cmp_gt_i32_e32 vcc, s24, v96
	s_and_saveexec_b64 s[10:11], vcc
	s_cbranch_execz .LBB427_137
; %bb.7:
	s_load_dwordx2 s[10:11], s[0:1], 0x18
	s_load_dwordx2 s[14:15], s[0:1], 0x8
	s_mul_hi_i32 s9, s24, s8
	s_mul_i32 s8, s24, s8
	s_lshl_b64 s[8:9], s[8:9], 3
	s_waitcnt lgkmcnt(0)
	s_add_u32 s8, s10, s8
	s_addc_u32 s3, s11, s9
	s_lshl_b64 s[10:11], s[24:25], 2
	s_add_u32 s12, s8, s10
	s_addc_u32 s13, s3, s11
	s_and_b32 s9, s3, 0xffff
	s_mul_i32 s3, s2, s25
	s_mul_hi_u32 s16, s2, s24
	s_add_i32 s3, s16, s3
	s_mul_i32 s2, s2, s24
	s_lshl_b32 s10, s24, 2
	s_and_b32 s13, s13, 0xffff
	s_lshl_b64 s[2:3], s[2:3], 2
	s_add_u32 s16, s14, s2
	s_addc_u32 s14, s15, s3
	s_lshl_b64 s[2:3], s[24:25], 1
	s_add_u32 s20, s16, s2
	s_addc_u32 s2, s14, s3
	s_and_b32 s17, s14, 0xffff
	s_and_b32 s21, s2, 0xffff
	s_mov_b32 s7, 0x20000
	s_add_u32 s0, s0, 48
	s_mov_b32 s11, s7
	s_mov_b64 s[22:23], s[6:7]
	v_mov_b32_e32 v97, 0
	s_addc_u32 s1, s1, 0
	s_mov_b64 s[2:3], 0
	s_mov_b32 s18, s6
	s_mov_b32 s19, s7
	;; [unrolled: 1-line block ×3, first 2 shown]
	s_movk_i32 s28, 0x50
	s_movk_i32 s29, 0x60
	;; [unrolled: 1-line block ×3, first 2 shown]
	s_mov_b32 s31, 0x378e98ab
	s_mov_b32 s33, 0x3b7cd369
	s_mov_b32 s34, 0xbcc618b2
	s_mov_b32 s35, 0x3dda74e4
	s_mov_b32 s36, 0x3f228afd
	s_mov_b32 s37, 0x3e03c728
	s_mov_b32 s38, 0xbfb8aa3b
	s_mov_b32 s39, 0x42ce8ed0
	s_mov_b32 s40, 0xc2b17218
	v_mov_b32_e32 v98, 0x3ba10414
	s_brev_b32 s41, -2
	s_mov_b32 s42, 0x7060302
	v_mov_b32_e32 v99, 0xb9c68948
	v_mov_b32_e32 v100, 0x7f800000
                                        ; implicit-def: $vgpr0
                                        ; implicit-def: $vgpr0
	;; [unrolled: 1-line block ×4, first 2 shown]
	s_branch .LBB427_9
.LBB427_8:                              ;   in Loop: Header=BB427_9 Depth=1
	s_or_b64 exec, exec, s[14:15]
	v_bfi_b32 v8, s41, v9, v8
	v_mul_f32_e32 v2, 0.5, v2
	v_add_f32_e32 v8, 1.0, v8
	v_mul_f32_e32 v2, v2, v8
	v_and_b32_e32 v8, 0xffff0000, v3
	v_add_f32_e32 v7, v7, v8
	v_lshlrev_b32_e32 v3, 16, v3
	v_bfi_b32 v8, s41, v12, v11
	v_add_f32_e32 v6, v6, v3
	v_mul_f32_e32 v3, 0.5, v10
	v_add_f32_e32 v8, 1.0, v8
	v_mul_f32_e32 v3, v3, v8
	;;#ASMSTART
	v_pk_mul_f32 v[2:3], v[2:3], v[6:7]
	;;#ASMEND
	s_load_dword s14, s[0:1], 0xc
	v_perm_b32 v9, v75, v74, s42
	v_perm_b32 v8, v77, v76, s42
	;; [unrolled: 1-line block ×4, first 2 shown]
	s_waitcnt lgkmcnt(0)
	s_and_b32 s14, s14, 0xffff
	s_lshl_b32 s26, s14, 5
	v_lshl_add_u64 v[96:97], s[26:27], 0, v[96:97]
	buffer_store_dwordx4 v[6:9], v101, s[4:7], 0 offen
	v_cmp_le_i64_e32 vcc, s[24:25], v[96:97]
	v_perm_b32 v3, v3, v2, s42
	v_perm_b32 v9, v51, v50, s42
	v_perm_b32 v8, v53, v52, s42
	v_perm_b32 v7, v49, v48, s42
	v_perm_b32 v6, v65, v64, s42
	buffer_store_dwordx4 v[6:9], v101, s[4:7], 16 offen
	v_perm_b32 v2, v5, v4, s42
	v_perm_b32 v1, v1, v0, s42
	;; [unrolled: 1-line block ×7, first 2 shown]
	s_or_b64 s[2:3], vcc, s[2:3]
	buffer_store_dwordx4 v[6:9], v101, s[4:7], 32 offen
	buffer_store_dwordx4 v[0:3], v101, s[4:7], 48 offen
	s_andn2_b64 exec, exec, s[2:3]
	s_cbranch_execz .LBB427_137
.LBB427_9:                              ; =>This Inner Loop Header: Depth=1
	v_lshlrev_b32_e32 v101, 1, v96
	v_lshlrev_b32_e32 v4, 2, v96
	s_mov_b32 s14, s10
	s_mov_b32 s15, s11
	buffer_load_dwordx4 v[80:83], v101, s[16:19], 0 offen
	buffer_load_dwordx4 v[56:59], v101, s[16:19], 16 offen
	;; [unrolled: 1-line block ×23, first 2 shown]
	s_nop 0
	buffer_load_dwordx4 v[4:7], v4, s[12:15], s30 offen
                                        ; implicit-def: $vgpr103
	s_waitcnt vmcnt(23)
	v_lshlrev_b32_e32 v102, 16, v80
	s_waitcnt vmcnt(15)
	v_add_f32_e32 v92, v92, v102
	v_mul_f32_e32 v102, 0x3f3504f3, v92
	v_cmp_nlt_f32_e64 s[14:15], |v102|, 1.0
	s_and_saveexec_b64 s[44:45], s[14:15]
	s_xor_b64 s[14:15], exec, s[44:45]
	s_cbranch_execz .LBB427_11
; %bb.10:                               ;   in Loop: Header=BB427_9 Depth=1
	v_fma_f32 v103, |v102|, s31, v99
	v_fma_f32 v103, |v102|, v103, s33
	;; [unrolled: 1-line block ×6, first 2 shown]
	v_fma_f32 v103, |v102|, v103, |v102|
	v_mul_f32_e32 v104, 0xbfb8aa3b, v103
	v_fma_f32 v105, v103, s38, -v104
	v_rndne_f32_e32 v106, v104
	v_fmac_f32_e32 v105, 0xb2a5705f, v103
	v_sub_f32_e32 v104, v104, v106
	v_add_f32_e32 v104, v104, v105
	v_cvt_i32_f32_e32 v105, v106
	v_exp_f32_e32 v104, v104
	v_cmp_nlt_f32_e32 vcc, s39, v103
	v_ldexp_f32 v104, v104, v105
	s_nop 0
	v_cndmask_b32_e32 v104, 0, v104, vcc
	v_cmp_ngt_f32_e32 vcc, s40, v103
	s_nop 1
	v_cndmask_b32_e32 v103, v100, v104, vcc
	v_sub_f32_e32 v103, 1.0, v103
.LBB427_11:                             ;   in Loop: Header=BB427_9 Depth=1
	s_andn2_saveexec_b64 s[14:15], s[14:15]
; %bb.12:                               ;   in Loop: Header=BB427_9 Depth=1
	v_mul_f32_e32 v103, v102, v102
	v_fmamk_f32 v104, v103, 0xba1345e1, v98
	v_fmaak_f32 v104, v103, v104, 0xbcdac9b8
	v_fmaak_f32 v104, v103, v104, 0x3de703be
	;; [unrolled: 1-line block ×4, first 2 shown]
	v_fma_f32 v103, |v102|, v103, |v102|
; %bb.13:                               ;   in Loop: Header=BB427_9 Depth=1
	s_or_b64 exec, exec, s[14:15]
	v_and_b32_e32 v80, 0xffff0000, v80
	v_add_f32_e32 v80, v93, v80
	v_mul_f32_e32 v93, 0x3f3504f3, v80
	v_cmp_nlt_f32_e64 s[14:15], |v93|, 1.0
                                        ; implicit-def: $vgpr104
	s_and_saveexec_b64 s[44:45], s[14:15]
	s_xor_b64 s[14:15], exec, s[44:45]
	s_cbranch_execz .LBB427_15
; %bb.14:                               ;   in Loop: Header=BB427_9 Depth=1
	v_fma_f32 v104, |v93|, s31, v99
	v_fma_f32 v104, |v93|, v104, s33
	;; [unrolled: 1-line block ×6, first 2 shown]
	v_fma_f32 v104, |v93|, v104, |v93|
	v_mul_f32_e32 v105, 0xbfb8aa3b, v104
	v_fma_f32 v106, v104, s38, -v105
	v_rndne_f32_e32 v107, v105
	v_fmac_f32_e32 v106, 0xb2a5705f, v104
	v_sub_f32_e32 v105, v105, v107
	v_add_f32_e32 v105, v105, v106
	v_cvt_i32_f32_e32 v106, v107
	v_exp_f32_e32 v105, v105
	v_cmp_nlt_f32_e32 vcc, s39, v104
	v_ldexp_f32 v105, v105, v106
	s_nop 0
	v_cndmask_b32_e32 v105, 0, v105, vcc
	v_cmp_ngt_f32_e32 vcc, s40, v104
	s_nop 1
	v_cndmask_b32_e32 v104, v100, v105, vcc
	v_sub_f32_e32 v104, 1.0, v104
.LBB427_15:                             ;   in Loop: Header=BB427_9 Depth=1
	s_andn2_saveexec_b64 s[14:15], s[14:15]
; %bb.16:                               ;   in Loop: Header=BB427_9 Depth=1
	v_mul_f32_e32 v104, v93, v93
	v_fmamk_f32 v105, v104, 0xba1345e1, v98
	v_fmaak_f32 v105, v104, v105, 0xbcdac9b8
	v_fmaak_f32 v105, v104, v105, 0x3de703be
	;; [unrolled: 1-line block ×4, first 2 shown]
	v_fma_f32 v104, |v93|, v104, |v93|
; %bb.17:                               ;   in Loop: Header=BB427_9 Depth=1
	s_or_b64 exec, exec, s[14:15]
	v_bfi_b32 v102, s41, v103, v102
	v_mul_f32_e32 v92, 0.5, v92
	v_add_f32_e32 v102, 1.0, v102
	v_mul_f32_e32 v92, v92, v102
	v_and_b32_e32 v102, 0xffff0000, v72
	v_lshlrev_b32_e32 v72, 16, v72
	s_waitcnt vmcnt(7)
	v_add_f32_e32 v88, v88, v72
	v_mul_f32_e32 v72, 0.5, v80
	v_bfi_b32 v80, s41, v104, v93
	v_add_f32_e32 v80, 1.0, v80
	v_mul_f32_e32 v93, v72, v80
	v_lshlrev_b32_e32 v72, 16, v81
	v_add_f32_e32 v72, v94, v72
	v_mul_f32_e32 v80, 0x3f3504f3, v72
	v_add_f32_e32 v89, v89, v102
	v_cmp_nlt_f32_e64 s[14:15], |v80|, 1.0
	;;#ASMSTART
	v_pk_mul_f32 v[88:89], v[92:93], v[88:89]
	;;#ASMEND
                                        ; implicit-def: $vgpr92
	s_and_saveexec_b64 s[44:45], s[14:15]
	s_xor_b64 s[14:15], exec, s[44:45]
	s_cbranch_execz .LBB427_19
; %bb.18:                               ;   in Loop: Header=BB427_9 Depth=1
	v_fma_f32 v92, |v80|, s31, v99
	v_fma_f32 v92, |v80|, v92, s33
	;; [unrolled: 1-line block ×6, first 2 shown]
	v_fma_f32 v92, |v80|, v92, |v80|
	v_mul_f32_e32 v93, 0xbfb8aa3b, v92
	v_fma_f32 v94, v92, s38, -v93
	v_rndne_f32_e32 v102, v93
	v_fmac_f32_e32 v94, 0xb2a5705f, v92
	v_sub_f32_e32 v93, v93, v102
	v_add_f32_e32 v93, v93, v94
	v_cvt_i32_f32_e32 v94, v102
	v_exp_f32_e32 v93, v93
	v_cmp_nlt_f32_e32 vcc, s39, v92
	v_ldexp_f32 v93, v93, v94
	s_nop 0
	v_cndmask_b32_e32 v93, 0, v93, vcc
	v_cmp_ngt_f32_e32 vcc, s40, v92
	s_nop 1
	v_cndmask_b32_e32 v92, v100, v93, vcc
	v_sub_f32_e32 v92, 1.0, v92
.LBB427_19:                             ;   in Loop: Header=BB427_9 Depth=1
	s_andn2_saveexec_b64 s[14:15], s[14:15]
; %bb.20:                               ;   in Loop: Header=BB427_9 Depth=1
	v_mul_f32_e32 v92, v80, v80
	v_fmamk_f32 v93, v92, 0xba1345e1, v98
	v_fmaak_f32 v93, v92, v93, 0xbcdac9b8
	v_fmaak_f32 v93, v92, v93, 0x3de703be
	;; [unrolled: 1-line block ×4, first 2 shown]
	v_fma_f32 v92, |v80|, v92, |v80|
; %bb.21:                               ;   in Loop: Header=BB427_9 Depth=1
	s_or_b64 exec, exec, s[14:15]
	v_and_b32_e32 v81, 0xffff0000, v81
	v_add_f32_e32 v81, v95, v81
	v_mul_f32_e32 v93, 0x3f3504f3, v81
	v_cmp_nlt_f32_e64 s[14:15], |v93|, 1.0
                                        ; implicit-def: $vgpr94
	s_and_saveexec_b64 s[44:45], s[14:15]
	s_xor_b64 s[14:15], exec, s[44:45]
	s_cbranch_execz .LBB427_23
; %bb.22:                               ;   in Loop: Header=BB427_9 Depth=1
	v_fma_f32 v94, |v93|, s31, v99
	v_fma_f32 v94, |v93|, v94, s33
	;; [unrolled: 1-line block ×6, first 2 shown]
	v_fma_f32 v94, |v93|, v94, |v93|
	v_mul_f32_e32 v95, 0xbfb8aa3b, v94
	v_fma_f32 v102, v94, s38, -v95
	v_rndne_f32_e32 v103, v95
	v_fmac_f32_e32 v102, 0xb2a5705f, v94
	v_sub_f32_e32 v95, v95, v103
	v_add_f32_e32 v95, v95, v102
	v_cvt_i32_f32_e32 v102, v103
	v_exp_f32_e32 v95, v95
	v_cmp_nlt_f32_e32 vcc, s39, v94
	v_ldexp_f32 v95, v95, v102
	s_nop 0
	v_cndmask_b32_e32 v95, 0, v95, vcc
	v_cmp_ngt_f32_e32 vcc, s40, v94
	s_nop 1
	v_cndmask_b32_e32 v94, v100, v95, vcc
	v_sub_f32_e32 v94, 1.0, v94
.LBB427_23:                             ;   in Loop: Header=BB427_9 Depth=1
	s_andn2_saveexec_b64 s[14:15], s[14:15]
; %bb.24:                               ;   in Loop: Header=BB427_9 Depth=1
	v_mul_f32_e32 v94, v93, v93
	v_fmamk_f32 v95, v94, 0xba1345e1, v98
	v_fmaak_f32 v95, v94, v95, 0xbcdac9b8
	v_fmaak_f32 v95, v94, v95, 0x3de703be
	;; [unrolled: 1-line block ×4, first 2 shown]
	v_fma_f32 v94, |v93|, v94, |v93|
; %bb.25:                               ;   in Loop: Header=BB427_9 Depth=1
	s_or_b64 exec, exec, s[14:15]
	v_bfi_b32 v80, s41, v92, v80
	v_mul_f32_e32 v72, 0.5, v72
	v_add_f32_e32 v80, 1.0, v80
	v_mul_f32_e32 v72, v72, v80
	v_and_b32_e32 v80, 0xffff0000, v73
	v_add_f32_e32 v91, v91, v80
	v_lshlrev_b32_e32 v73, 16, v73
	v_bfi_b32 v80, s41, v94, v93
	v_add_f32_e32 v90, v90, v73
	v_mul_f32_e32 v73, 0.5, v81
	v_add_f32_e32 v80, 1.0, v80
	v_mul_f32_e32 v73, v73, v80
	v_lshlrev_b32_e32 v80, 16, v82
	v_add_f32_e32 v80, v84, v80
	v_mul_f32_e32 v81, 0x3f3504f3, v80
	v_cmp_nlt_f32_e64 s[14:15], |v81|, 1.0
	;;#ASMSTART
	v_pk_mul_f32 v[72:73], v[72:73], v[90:91]
	;;#ASMEND
                                        ; implicit-def: $vgpr84
	s_and_saveexec_b64 s[44:45], s[14:15]
	s_xor_b64 s[14:15], exec, s[44:45]
	s_cbranch_execz .LBB427_27
; %bb.26:                               ;   in Loop: Header=BB427_9 Depth=1
	v_fma_f32 v84, |v81|, s31, v99
	v_fma_f32 v84, |v81|, v84, s33
	;; [unrolled: 1-line block ×6, first 2 shown]
	v_fma_f32 v84, |v81|, v84, |v81|
	v_mul_f32_e32 v90, 0xbfb8aa3b, v84
	v_fma_f32 v91, v84, s38, -v90
	v_rndne_f32_e32 v92, v90
	v_fmac_f32_e32 v91, 0xb2a5705f, v84
	v_sub_f32_e32 v90, v90, v92
	v_add_f32_e32 v90, v90, v91
	v_cvt_i32_f32_e32 v91, v92
	v_exp_f32_e32 v90, v90
	v_cmp_nlt_f32_e32 vcc, s39, v84
	v_ldexp_f32 v90, v90, v91
	s_nop 0
	v_cndmask_b32_e32 v90, 0, v90, vcc
	v_cmp_ngt_f32_e32 vcc, s40, v84
	s_nop 1
	v_cndmask_b32_e32 v84, v100, v90, vcc
	v_sub_f32_e32 v84, 1.0, v84
.LBB427_27:                             ;   in Loop: Header=BB427_9 Depth=1
	s_andn2_saveexec_b64 s[14:15], s[14:15]
; %bb.28:                               ;   in Loop: Header=BB427_9 Depth=1
	v_mul_f32_e32 v84, v81, v81
	v_fmamk_f32 v90, v84, 0xba1345e1, v98
	v_fmaak_f32 v90, v84, v90, 0xbcdac9b8
	v_fmaak_f32 v90, v84, v90, 0x3de703be
	;; [unrolled: 1-line block ×4, first 2 shown]
	v_fma_f32 v84, |v81|, v84, |v81|
; %bb.29:                               ;   in Loop: Header=BB427_9 Depth=1
	s_or_b64 exec, exec, s[14:15]
	v_and_b32_e32 v82, 0xffff0000, v82
	v_add_f32_e32 v82, v85, v82
	v_mul_f32_e32 v85, 0x3f3504f3, v82
	v_cmp_nlt_f32_e64 s[14:15], |v85|, 1.0
                                        ; implicit-def: $vgpr90
	s_and_saveexec_b64 s[44:45], s[14:15]
	s_xor_b64 s[14:15], exec, s[44:45]
	s_cbranch_execz .LBB427_31
; %bb.30:                               ;   in Loop: Header=BB427_9 Depth=1
	v_fma_f32 v90, |v85|, s31, v99
	v_fma_f32 v90, |v85|, v90, s33
	;; [unrolled: 1-line block ×6, first 2 shown]
	v_fma_f32 v90, |v85|, v90, |v85|
	v_mul_f32_e32 v91, 0xbfb8aa3b, v90
	v_fma_f32 v92, v90, s38, -v91
	v_rndne_f32_e32 v93, v91
	v_fmac_f32_e32 v92, 0xb2a5705f, v90
	v_sub_f32_e32 v91, v91, v93
	v_add_f32_e32 v91, v91, v92
	v_cvt_i32_f32_e32 v92, v93
	v_exp_f32_e32 v91, v91
	v_cmp_nlt_f32_e32 vcc, s39, v90
	v_ldexp_f32 v91, v91, v92
	s_nop 0
	v_cndmask_b32_e32 v91, 0, v91, vcc
	v_cmp_ngt_f32_e32 vcc, s40, v90
	s_nop 1
	v_cndmask_b32_e32 v90, v100, v91, vcc
	v_sub_f32_e32 v90, 1.0, v90
.LBB427_31:                             ;   in Loop: Header=BB427_9 Depth=1
	s_andn2_saveexec_b64 s[14:15], s[14:15]
; %bb.32:                               ;   in Loop: Header=BB427_9 Depth=1
	v_mul_f32_e32 v90, v85, v85
	v_fmamk_f32 v91, v90, 0xba1345e1, v98
	v_fmaak_f32 v91, v90, v91, 0xbcdac9b8
	v_fmaak_f32 v91, v90, v91, 0x3de703be
	;; [unrolled: 1-line block ×4, first 2 shown]
	v_fma_f32 v90, |v85|, v90, |v85|
; %bb.33:                               ;   in Loop: Header=BB427_9 Depth=1
	s_or_b64 exec, exec, s[14:15]
	v_bfi_b32 v81, s41, v84, v81
	v_mul_f32_e32 v80, 0.5, v80
	v_add_f32_e32 v81, 1.0, v81
	v_mul_f32_e32 v80, v80, v81
	v_and_b32_e32 v81, 0xffff0000, v74
	s_waitcnt vmcnt(6)
	v_add_f32_e32 v77, v77, v81
	v_lshlrev_b32_e32 v74, 16, v74
	v_bfi_b32 v81, s41, v90, v85
	v_add_f32_e32 v76, v76, v74
	v_mul_f32_e32 v74, 0.5, v82
	v_add_f32_e32 v81, 1.0, v81
	v_mul_f32_e32 v81, v74, v81
	v_lshlrev_b32_e32 v74, 16, v83
	v_add_f32_e32 v74, v86, v74
	;;#ASMSTART
	v_pk_mul_f32 v[76:77], v[80:81], v[76:77]
	;;#ASMEND
	v_mul_f32_e32 v80, 0x3f3504f3, v74
	v_cmp_nlt_f32_e64 s[14:15], |v80|, 1.0
                                        ; implicit-def: $vgpr81
	s_and_saveexec_b64 s[44:45], s[14:15]
	s_xor_b64 s[14:15], exec, s[44:45]
	s_cbranch_execz .LBB427_35
; %bb.34:                               ;   in Loop: Header=BB427_9 Depth=1
	v_fma_f32 v81, |v80|, s31, v99
	v_fma_f32 v81, |v80|, v81, s33
	;; [unrolled: 1-line block ×6, first 2 shown]
	v_fma_f32 v81, |v80|, v81, |v80|
	v_mul_f32_e32 v82, 0xbfb8aa3b, v81
	v_fma_f32 v84, v81, s38, -v82
	v_rndne_f32_e32 v85, v82
	v_fmac_f32_e32 v84, 0xb2a5705f, v81
	v_sub_f32_e32 v82, v82, v85
	v_add_f32_e32 v82, v82, v84
	v_cvt_i32_f32_e32 v84, v85
	v_exp_f32_e32 v82, v82
	v_cmp_nlt_f32_e32 vcc, s39, v81
	v_ldexp_f32 v82, v82, v84
	s_nop 0
	v_cndmask_b32_e32 v82, 0, v82, vcc
	v_cmp_ngt_f32_e32 vcc, s40, v81
	s_nop 1
	v_cndmask_b32_e32 v81, v100, v82, vcc
	v_sub_f32_e32 v81, 1.0, v81
.LBB427_35:                             ;   in Loop: Header=BB427_9 Depth=1
	s_andn2_saveexec_b64 s[14:15], s[14:15]
; %bb.36:                               ;   in Loop: Header=BB427_9 Depth=1
	v_mul_f32_e32 v81, v80, v80
	v_fmamk_f32 v82, v81, 0xba1345e1, v98
	v_fmaak_f32 v82, v81, v82, 0xbcdac9b8
	v_fmaak_f32 v82, v81, v82, 0x3de703be
	;; [unrolled: 1-line block ×4, first 2 shown]
	v_fma_f32 v81, |v80|, v81, |v80|
; %bb.37:                               ;   in Loop: Header=BB427_9 Depth=1
	s_or_b64 exec, exec, s[14:15]
	v_and_b32_e32 v82, 0xffff0000, v83
	v_add_f32_e32 v82, v87, v82
	v_mul_f32_e32 v83, 0x3f3504f3, v82
	v_cmp_nlt_f32_e64 s[14:15], |v83|, 1.0
                                        ; implicit-def: $vgpr84
	s_and_saveexec_b64 s[44:45], s[14:15]
	s_xor_b64 s[14:15], exec, s[44:45]
	s_cbranch_execz .LBB427_39
; %bb.38:                               ;   in Loop: Header=BB427_9 Depth=1
	v_fma_f32 v84, |v83|, s31, v99
	v_fma_f32 v84, |v83|, v84, s33
	;; [unrolled: 1-line block ×6, first 2 shown]
	v_fma_f32 v84, |v83|, v84, |v83|
	v_mul_f32_e32 v85, 0xbfb8aa3b, v84
	v_fma_f32 v86, v84, s38, -v85
	v_rndne_f32_e32 v87, v85
	v_fmac_f32_e32 v86, 0xb2a5705f, v84
	v_sub_f32_e32 v85, v85, v87
	v_add_f32_e32 v85, v85, v86
	v_cvt_i32_f32_e32 v86, v87
	v_exp_f32_e32 v85, v85
	v_cmp_nlt_f32_e32 vcc, s39, v84
	v_ldexp_f32 v85, v85, v86
	s_nop 0
	v_cndmask_b32_e32 v85, 0, v85, vcc
	v_cmp_ngt_f32_e32 vcc, s40, v84
	s_nop 1
	v_cndmask_b32_e32 v84, v100, v85, vcc
	v_sub_f32_e32 v84, 1.0, v84
.LBB427_39:                             ;   in Loop: Header=BB427_9 Depth=1
	s_andn2_saveexec_b64 s[14:15], s[14:15]
; %bb.40:                               ;   in Loop: Header=BB427_9 Depth=1
	v_mul_f32_e32 v84, v83, v83
	v_fmamk_f32 v85, v84, 0xba1345e1, v98
	v_fmaak_f32 v85, v84, v85, 0xbcdac9b8
	v_fmaak_f32 v85, v84, v85, 0x3de703be
	;; [unrolled: 1-line block ×4, first 2 shown]
	v_fma_f32 v84, |v83|, v84, |v83|
; %bb.41:                               ;   in Loop: Header=BB427_9 Depth=1
	s_or_b64 exec, exec, s[14:15]
	v_bfi_b32 v80, s41, v81, v80
	v_mul_f32_e32 v74, 0.5, v74
	v_add_f32_e32 v80, 1.0, v80
	v_mul_f32_e32 v74, v74, v80
	v_and_b32_e32 v80, 0xffff0000, v75
	v_add_f32_e32 v79, v79, v80
	v_lshlrev_b32_e32 v75, 16, v75
	v_bfi_b32 v80, s41, v84, v83
	v_add_f32_e32 v78, v78, v75
	v_mul_f32_e32 v75, 0.5, v82
	v_add_f32_e32 v80, 1.0, v80
	v_mul_f32_e32 v75, v75, v80
	;;#ASMSTART
	v_pk_mul_f32 v[74:75], v[74:75], v[78:79]
	;;#ASMEND
	v_lshlrev_b32_e32 v78, 16, v56
	v_add_f32_e32 v68, v68, v78
	v_mul_f32_e32 v78, 0x3f3504f3, v68
	v_cmp_nlt_f32_e64 s[14:15], |v78|, 1.0
                                        ; implicit-def: $vgpr79
	s_and_saveexec_b64 s[44:45], s[14:15]
	s_xor_b64 s[14:15], exec, s[44:45]
	s_cbranch_execz .LBB427_43
; %bb.42:                               ;   in Loop: Header=BB427_9 Depth=1
	v_fma_f32 v79, |v78|, s31, v99
	v_fma_f32 v79, |v78|, v79, s33
	;; [unrolled: 1-line block ×6, first 2 shown]
	v_fma_f32 v79, |v78|, v79, |v78|
	v_mul_f32_e32 v80, 0xbfb8aa3b, v79
	v_fma_f32 v81, v79, s38, -v80
	v_rndne_f32_e32 v82, v80
	v_fmac_f32_e32 v81, 0xb2a5705f, v79
	v_sub_f32_e32 v80, v80, v82
	v_add_f32_e32 v80, v80, v81
	v_cvt_i32_f32_e32 v81, v82
	v_exp_f32_e32 v80, v80
	v_cmp_nlt_f32_e32 vcc, s39, v79
	v_ldexp_f32 v80, v80, v81
	s_nop 0
	v_cndmask_b32_e32 v80, 0, v80, vcc
	v_cmp_ngt_f32_e32 vcc, s40, v79
	s_nop 1
	v_cndmask_b32_e32 v79, v100, v80, vcc
	v_sub_f32_e32 v79, 1.0, v79
.LBB427_43:                             ;   in Loop: Header=BB427_9 Depth=1
	s_andn2_saveexec_b64 s[14:15], s[14:15]
; %bb.44:                               ;   in Loop: Header=BB427_9 Depth=1
	v_mul_f32_e32 v79, v78, v78
	v_fmamk_f32 v80, v79, 0xba1345e1, v98
	v_fmaak_f32 v80, v79, v80, 0xbcdac9b8
	v_fmaak_f32 v80, v79, v80, 0x3de703be
	;; [unrolled: 1-line block ×4, first 2 shown]
	v_fma_f32 v79, |v78|, v79, |v78|
; %bb.45:                               ;   in Loop: Header=BB427_9 Depth=1
	s_or_b64 exec, exec, s[14:15]
	v_and_b32_e32 v56, 0xffff0000, v56
	v_add_f32_e32 v56, v69, v56
	v_mul_f32_e32 v69, 0x3f3504f3, v56
	v_cmp_nlt_f32_e64 s[14:15], |v69|, 1.0
                                        ; implicit-def: $vgpr80
	s_and_saveexec_b64 s[44:45], s[14:15]
	s_xor_b64 s[14:15], exec, s[44:45]
	s_cbranch_execz .LBB427_47
; %bb.46:                               ;   in Loop: Header=BB427_9 Depth=1
	v_fma_f32 v80, |v69|, s31, v99
	v_fma_f32 v80, |v69|, v80, s33
	;; [unrolled: 1-line block ×6, first 2 shown]
	v_fma_f32 v80, |v69|, v80, |v69|
	v_mul_f32_e32 v81, 0xbfb8aa3b, v80
	v_fma_f32 v82, v80, s38, -v81
	v_rndne_f32_e32 v83, v81
	v_fmac_f32_e32 v82, 0xb2a5705f, v80
	v_sub_f32_e32 v81, v81, v83
	v_add_f32_e32 v81, v81, v82
	v_cvt_i32_f32_e32 v82, v83
	v_exp_f32_e32 v81, v81
	v_cmp_nlt_f32_e32 vcc, s39, v80
	v_ldexp_f32 v81, v81, v82
	s_nop 0
	v_cndmask_b32_e32 v81, 0, v81, vcc
	v_cmp_ngt_f32_e32 vcc, s40, v80
	s_nop 1
	v_cndmask_b32_e32 v80, v100, v81, vcc
	v_sub_f32_e32 v80, 1.0, v80
.LBB427_47:                             ;   in Loop: Header=BB427_9 Depth=1
	s_andn2_saveexec_b64 s[14:15], s[14:15]
; %bb.48:                               ;   in Loop: Header=BB427_9 Depth=1
	v_mul_f32_e32 v80, v69, v69
	v_fmamk_f32 v81, v80, 0xba1345e1, v98
	v_fmaak_f32 v81, v80, v81, 0xbcdac9b8
	v_fmaak_f32 v81, v80, v81, 0x3de703be
	;; [unrolled: 1-line block ×4, first 2 shown]
	v_fma_f32 v80, |v69|, v80, |v69|
; %bb.49:                               ;   in Loop: Header=BB427_9 Depth=1
	s_or_b64 exec, exec, s[14:15]
	v_bfi_b32 v78, s41, v79, v78
	v_mul_f32_e32 v68, 0.5, v68
	v_add_f32_e32 v78, 1.0, v78
	v_mul_f32_e32 v68, v68, v78
	v_and_b32_e32 v78, 0xffff0000, v48
	v_lshlrev_b32_e32 v48, 16, v48
	s_waitcnt vmcnt(5)
	v_add_f32_e32 v64, v64, v48
	v_mul_f32_e32 v48, 0.5, v56
	v_bfi_b32 v56, s41, v80, v69
	v_add_f32_e32 v56, 1.0, v56
	v_mul_f32_e32 v69, v48, v56
	v_lshlrev_b32_e32 v48, 16, v57
	v_add_f32_e32 v48, v70, v48
	v_mul_f32_e32 v56, 0x3f3504f3, v48
	v_add_f32_e32 v65, v65, v78
	v_cmp_nlt_f32_e64 s[14:15], |v56|, 1.0
	;;#ASMSTART
	v_pk_mul_f32 v[64:65], v[68:69], v[64:65]
	;;#ASMEND
                                        ; implicit-def: $vgpr68
	s_and_saveexec_b64 s[44:45], s[14:15]
	s_xor_b64 s[14:15], exec, s[44:45]
	s_cbranch_execz .LBB427_51
; %bb.50:                               ;   in Loop: Header=BB427_9 Depth=1
	v_fma_f32 v68, |v56|, s31, v99
	v_fma_f32 v68, |v56|, v68, s33
	;; [unrolled: 1-line block ×6, first 2 shown]
	v_fma_f32 v68, |v56|, v68, |v56|
	v_mul_f32_e32 v69, 0xbfb8aa3b, v68
	v_fma_f32 v70, v68, s38, -v69
	v_rndne_f32_e32 v78, v69
	v_fmac_f32_e32 v70, 0xb2a5705f, v68
	v_sub_f32_e32 v69, v69, v78
	v_add_f32_e32 v69, v69, v70
	v_cvt_i32_f32_e32 v70, v78
	v_exp_f32_e32 v69, v69
	v_cmp_nlt_f32_e32 vcc, s39, v68
	v_ldexp_f32 v69, v69, v70
	s_nop 0
	v_cndmask_b32_e32 v69, 0, v69, vcc
	v_cmp_ngt_f32_e32 vcc, s40, v68
	s_nop 1
	v_cndmask_b32_e32 v68, v100, v69, vcc
	v_sub_f32_e32 v68, 1.0, v68
.LBB427_51:                             ;   in Loop: Header=BB427_9 Depth=1
	s_andn2_saveexec_b64 s[14:15], s[14:15]
; %bb.52:                               ;   in Loop: Header=BB427_9 Depth=1
	v_mul_f32_e32 v68, v56, v56
	v_fmamk_f32 v69, v68, 0xba1345e1, v98
	v_fmaak_f32 v69, v68, v69, 0xbcdac9b8
	v_fmaak_f32 v69, v68, v69, 0x3de703be
	;; [unrolled: 1-line block ×4, first 2 shown]
	v_fma_f32 v68, |v56|, v68, |v56|
; %bb.53:                               ;   in Loop: Header=BB427_9 Depth=1
	s_or_b64 exec, exec, s[14:15]
	v_and_b32_e32 v57, 0xffff0000, v57
	v_add_f32_e32 v57, v71, v57
	v_mul_f32_e32 v69, 0x3f3504f3, v57
	v_cmp_nlt_f32_e64 s[14:15], |v69|, 1.0
                                        ; implicit-def: $vgpr70
	s_and_saveexec_b64 s[44:45], s[14:15]
	s_xor_b64 s[14:15], exec, s[44:45]
	s_cbranch_execz .LBB427_55
; %bb.54:                               ;   in Loop: Header=BB427_9 Depth=1
	v_fma_f32 v70, |v69|, s31, v99
	v_fma_f32 v70, |v69|, v70, s33
	;; [unrolled: 1-line block ×6, first 2 shown]
	v_fma_f32 v70, |v69|, v70, |v69|
	v_mul_f32_e32 v71, 0xbfb8aa3b, v70
	v_fma_f32 v78, v70, s38, -v71
	v_rndne_f32_e32 v79, v71
	v_fmac_f32_e32 v78, 0xb2a5705f, v70
	v_sub_f32_e32 v71, v71, v79
	v_add_f32_e32 v71, v71, v78
	v_cvt_i32_f32_e32 v78, v79
	v_exp_f32_e32 v71, v71
	v_cmp_nlt_f32_e32 vcc, s39, v70
	v_ldexp_f32 v71, v71, v78
	s_nop 0
	v_cndmask_b32_e32 v71, 0, v71, vcc
	v_cmp_ngt_f32_e32 vcc, s40, v70
	s_nop 1
	v_cndmask_b32_e32 v70, v100, v71, vcc
	v_sub_f32_e32 v70, 1.0, v70
.LBB427_55:                             ;   in Loop: Header=BB427_9 Depth=1
	s_andn2_saveexec_b64 s[14:15], s[14:15]
; %bb.56:                               ;   in Loop: Header=BB427_9 Depth=1
	v_mul_f32_e32 v70, v69, v69
	v_fmamk_f32 v71, v70, 0xba1345e1, v98
	v_fmaak_f32 v71, v70, v71, 0xbcdac9b8
	v_fmaak_f32 v71, v70, v71, 0x3de703be
	;; [unrolled: 1-line block ×4, first 2 shown]
	v_fma_f32 v70, |v69|, v70, |v69|
; %bb.57:                               ;   in Loop: Header=BB427_9 Depth=1
	s_or_b64 exec, exec, s[14:15]
	v_bfi_b32 v56, s41, v68, v56
	v_mul_f32_e32 v48, 0.5, v48
	v_add_f32_e32 v56, 1.0, v56
	v_mul_f32_e32 v48, v48, v56
	v_and_b32_e32 v56, 0xffff0000, v49
	v_add_f32_e32 v67, v67, v56
	v_lshlrev_b32_e32 v49, 16, v49
	v_bfi_b32 v56, s41, v70, v69
	v_add_f32_e32 v66, v66, v49
	v_mul_f32_e32 v49, 0.5, v57
	v_add_f32_e32 v56, 1.0, v56
	v_mul_f32_e32 v49, v49, v56
	v_lshlrev_b32_e32 v56, 16, v58
	v_add_f32_e32 v56, v60, v56
	v_mul_f32_e32 v57, 0x3f3504f3, v56
	v_cmp_nlt_f32_e64 s[14:15], |v57|, 1.0
	;;#ASMSTART
	v_pk_mul_f32 v[48:49], v[48:49], v[66:67]
	;;#ASMEND
                                        ; implicit-def: $vgpr60
	s_and_saveexec_b64 s[44:45], s[14:15]
	s_xor_b64 s[14:15], exec, s[44:45]
	s_cbranch_execz .LBB427_59
; %bb.58:                               ;   in Loop: Header=BB427_9 Depth=1
	v_fma_f32 v60, |v57|, s31, v99
	v_fma_f32 v60, |v57|, v60, s33
	;; [unrolled: 1-line block ×6, first 2 shown]
	v_fma_f32 v60, |v57|, v60, |v57|
	v_mul_f32_e32 v66, 0xbfb8aa3b, v60
	v_fma_f32 v67, v60, s38, -v66
	v_rndne_f32_e32 v68, v66
	v_fmac_f32_e32 v67, 0xb2a5705f, v60
	v_sub_f32_e32 v66, v66, v68
	v_add_f32_e32 v66, v66, v67
	v_cvt_i32_f32_e32 v67, v68
	v_exp_f32_e32 v66, v66
	v_cmp_nlt_f32_e32 vcc, s39, v60
	v_ldexp_f32 v66, v66, v67
	s_nop 0
	v_cndmask_b32_e32 v66, 0, v66, vcc
	v_cmp_ngt_f32_e32 vcc, s40, v60
	s_nop 1
	v_cndmask_b32_e32 v60, v100, v66, vcc
	v_sub_f32_e32 v60, 1.0, v60
.LBB427_59:                             ;   in Loop: Header=BB427_9 Depth=1
	s_andn2_saveexec_b64 s[14:15], s[14:15]
; %bb.60:                               ;   in Loop: Header=BB427_9 Depth=1
	v_mul_f32_e32 v60, v57, v57
	v_fmamk_f32 v66, v60, 0xba1345e1, v98
	v_fmaak_f32 v66, v60, v66, 0xbcdac9b8
	v_fmaak_f32 v66, v60, v66, 0x3de703be
	;; [unrolled: 1-line block ×4, first 2 shown]
	v_fma_f32 v60, |v57|, v60, |v57|
; %bb.61:                               ;   in Loop: Header=BB427_9 Depth=1
	s_or_b64 exec, exec, s[14:15]
	v_and_b32_e32 v58, 0xffff0000, v58
	v_add_f32_e32 v58, v61, v58
	v_mul_f32_e32 v61, 0x3f3504f3, v58
	v_cmp_nlt_f32_e64 s[14:15], |v61|, 1.0
                                        ; implicit-def: $vgpr66
	s_and_saveexec_b64 s[44:45], s[14:15]
	s_xor_b64 s[14:15], exec, s[44:45]
	s_cbranch_execz .LBB427_63
; %bb.62:                               ;   in Loop: Header=BB427_9 Depth=1
	v_fma_f32 v66, |v61|, s31, v99
	v_fma_f32 v66, |v61|, v66, s33
	;; [unrolled: 1-line block ×6, first 2 shown]
	v_fma_f32 v66, |v61|, v66, |v61|
	v_mul_f32_e32 v67, 0xbfb8aa3b, v66
	v_fma_f32 v68, v66, s38, -v67
	v_rndne_f32_e32 v69, v67
	v_fmac_f32_e32 v68, 0xb2a5705f, v66
	v_sub_f32_e32 v67, v67, v69
	v_add_f32_e32 v67, v67, v68
	v_cvt_i32_f32_e32 v68, v69
	v_exp_f32_e32 v67, v67
	v_cmp_nlt_f32_e32 vcc, s39, v66
	v_ldexp_f32 v67, v67, v68
	s_nop 0
	v_cndmask_b32_e32 v67, 0, v67, vcc
	v_cmp_ngt_f32_e32 vcc, s40, v66
	s_nop 1
	v_cndmask_b32_e32 v66, v100, v67, vcc
	v_sub_f32_e32 v66, 1.0, v66
.LBB427_63:                             ;   in Loop: Header=BB427_9 Depth=1
	s_andn2_saveexec_b64 s[14:15], s[14:15]
; %bb.64:                               ;   in Loop: Header=BB427_9 Depth=1
	v_mul_f32_e32 v66, v61, v61
	v_fmamk_f32 v67, v66, 0xba1345e1, v98
	v_fmaak_f32 v67, v66, v67, 0xbcdac9b8
	v_fmaak_f32 v67, v66, v67, 0x3de703be
	;; [unrolled: 1-line block ×4, first 2 shown]
	v_fma_f32 v66, |v61|, v66, |v61|
; %bb.65:                               ;   in Loop: Header=BB427_9 Depth=1
	s_or_b64 exec, exec, s[14:15]
	v_bfi_b32 v57, s41, v60, v57
	v_mul_f32_e32 v56, 0.5, v56
	v_add_f32_e32 v57, 1.0, v57
	v_mul_f32_e32 v56, v56, v57
	v_and_b32_e32 v57, 0xffff0000, v50
	s_waitcnt vmcnt(4)
	v_add_f32_e32 v53, v53, v57
	v_lshlrev_b32_e32 v50, 16, v50
	v_bfi_b32 v57, s41, v66, v61
	v_add_f32_e32 v52, v52, v50
	v_mul_f32_e32 v50, 0.5, v58
	v_add_f32_e32 v57, 1.0, v57
	v_mul_f32_e32 v57, v50, v57
	v_lshlrev_b32_e32 v50, 16, v59
	v_add_f32_e32 v50, v62, v50
	;;#ASMSTART
	v_pk_mul_f32 v[52:53], v[56:57], v[52:53]
	;;#ASMEND
	v_mul_f32_e32 v56, 0x3f3504f3, v50
	v_cmp_nlt_f32_e64 s[14:15], |v56|, 1.0
                                        ; implicit-def: $vgpr57
	s_and_saveexec_b64 s[44:45], s[14:15]
	s_xor_b64 s[14:15], exec, s[44:45]
	s_cbranch_execz .LBB427_67
; %bb.66:                               ;   in Loop: Header=BB427_9 Depth=1
	v_fma_f32 v57, |v56|, s31, v99
	v_fma_f32 v57, |v56|, v57, s33
	;; [unrolled: 1-line block ×6, first 2 shown]
	v_fma_f32 v57, |v56|, v57, |v56|
	v_mul_f32_e32 v58, 0xbfb8aa3b, v57
	v_fma_f32 v60, v57, s38, -v58
	v_rndne_f32_e32 v61, v58
	v_fmac_f32_e32 v60, 0xb2a5705f, v57
	v_sub_f32_e32 v58, v58, v61
	v_add_f32_e32 v58, v58, v60
	v_cvt_i32_f32_e32 v60, v61
	v_exp_f32_e32 v58, v58
	v_cmp_nlt_f32_e32 vcc, s39, v57
	v_ldexp_f32 v58, v58, v60
	s_nop 0
	v_cndmask_b32_e32 v58, 0, v58, vcc
	v_cmp_ngt_f32_e32 vcc, s40, v57
	s_nop 1
	v_cndmask_b32_e32 v57, v100, v58, vcc
	v_sub_f32_e32 v57, 1.0, v57
.LBB427_67:                             ;   in Loop: Header=BB427_9 Depth=1
	s_andn2_saveexec_b64 s[14:15], s[14:15]
; %bb.68:                               ;   in Loop: Header=BB427_9 Depth=1
	v_mul_f32_e32 v57, v56, v56
	v_fmamk_f32 v58, v57, 0xba1345e1, v98
	v_fmaak_f32 v58, v57, v58, 0xbcdac9b8
	v_fmaak_f32 v58, v57, v58, 0x3de703be
	;; [unrolled: 1-line block ×4, first 2 shown]
	v_fma_f32 v57, |v56|, v57, |v56|
; %bb.69:                               ;   in Loop: Header=BB427_9 Depth=1
	s_or_b64 exec, exec, s[14:15]
	v_and_b32_e32 v58, 0xffff0000, v59
	v_add_f32_e32 v58, v63, v58
	v_mul_f32_e32 v59, 0x3f3504f3, v58
	v_cmp_nlt_f32_e64 s[14:15], |v59|, 1.0
                                        ; implicit-def: $vgpr60
	s_and_saveexec_b64 s[44:45], s[14:15]
	s_xor_b64 s[14:15], exec, s[44:45]
	s_cbranch_execz .LBB427_71
; %bb.70:                               ;   in Loop: Header=BB427_9 Depth=1
	v_fma_f32 v60, |v59|, s31, v99
	v_fma_f32 v60, |v59|, v60, s33
	;; [unrolled: 1-line block ×6, first 2 shown]
	v_fma_f32 v60, |v59|, v60, |v59|
	v_mul_f32_e32 v61, 0xbfb8aa3b, v60
	v_fma_f32 v62, v60, s38, -v61
	v_rndne_f32_e32 v63, v61
	v_fmac_f32_e32 v62, 0xb2a5705f, v60
	v_sub_f32_e32 v61, v61, v63
	v_add_f32_e32 v61, v61, v62
	v_cvt_i32_f32_e32 v62, v63
	v_exp_f32_e32 v61, v61
	v_cmp_nlt_f32_e32 vcc, s39, v60
	v_ldexp_f32 v61, v61, v62
	s_nop 0
	v_cndmask_b32_e32 v61, 0, v61, vcc
	v_cmp_ngt_f32_e32 vcc, s40, v60
	s_nop 1
	v_cndmask_b32_e32 v60, v100, v61, vcc
	v_sub_f32_e32 v60, 1.0, v60
.LBB427_71:                             ;   in Loop: Header=BB427_9 Depth=1
	s_andn2_saveexec_b64 s[14:15], s[14:15]
; %bb.72:                               ;   in Loop: Header=BB427_9 Depth=1
	v_mul_f32_e32 v60, v59, v59
	v_fmamk_f32 v61, v60, 0xba1345e1, v98
	v_fmaak_f32 v61, v60, v61, 0xbcdac9b8
	v_fmaak_f32 v61, v60, v61, 0x3de703be
	;; [unrolled: 1-line block ×4, first 2 shown]
	v_fma_f32 v60, |v59|, v60, |v59|
; %bb.73:                               ;   in Loop: Header=BB427_9 Depth=1
	s_or_b64 exec, exec, s[14:15]
	v_bfi_b32 v56, s41, v57, v56
	v_mul_f32_e32 v50, 0.5, v50
	v_add_f32_e32 v56, 1.0, v56
	v_mul_f32_e32 v50, v50, v56
	v_and_b32_e32 v56, 0xffff0000, v51
	v_add_f32_e32 v55, v55, v56
	v_lshlrev_b32_e32 v51, 16, v51
	v_bfi_b32 v56, s41, v60, v59
	v_add_f32_e32 v54, v54, v51
	v_mul_f32_e32 v51, 0.5, v58
	v_add_f32_e32 v56, 1.0, v56
	v_mul_f32_e32 v51, v51, v56
	;;#ASMSTART
	v_pk_mul_f32 v[50:51], v[50:51], v[54:55]
	;;#ASMEND
	v_lshlrev_b32_e32 v54, 16, v32
	v_add_f32_e32 v44, v44, v54
	v_mul_f32_e32 v54, 0x3f3504f3, v44
	v_cmp_nlt_f32_e64 s[14:15], |v54|, 1.0
                                        ; implicit-def: $vgpr55
	s_and_saveexec_b64 s[44:45], s[14:15]
	s_xor_b64 s[14:15], exec, s[44:45]
	s_cbranch_execz .LBB427_75
; %bb.74:                               ;   in Loop: Header=BB427_9 Depth=1
	v_fma_f32 v55, |v54|, s31, v99
	v_fma_f32 v55, |v54|, v55, s33
	;; [unrolled: 1-line block ×6, first 2 shown]
	v_fma_f32 v55, |v54|, v55, |v54|
	v_mul_f32_e32 v56, 0xbfb8aa3b, v55
	v_fma_f32 v57, v55, s38, -v56
	v_rndne_f32_e32 v58, v56
	v_fmac_f32_e32 v57, 0xb2a5705f, v55
	v_sub_f32_e32 v56, v56, v58
	v_add_f32_e32 v56, v56, v57
	v_cvt_i32_f32_e32 v57, v58
	v_exp_f32_e32 v56, v56
	v_cmp_nlt_f32_e32 vcc, s39, v55
	v_ldexp_f32 v56, v56, v57
	s_nop 0
	v_cndmask_b32_e32 v56, 0, v56, vcc
	v_cmp_ngt_f32_e32 vcc, s40, v55
	s_nop 1
	v_cndmask_b32_e32 v55, v100, v56, vcc
	v_sub_f32_e32 v55, 1.0, v55
.LBB427_75:                             ;   in Loop: Header=BB427_9 Depth=1
	s_andn2_saveexec_b64 s[14:15], s[14:15]
; %bb.76:                               ;   in Loop: Header=BB427_9 Depth=1
	v_mul_f32_e32 v55, v54, v54
	v_fmamk_f32 v56, v55, 0xba1345e1, v98
	v_fmaak_f32 v56, v55, v56, 0xbcdac9b8
	v_fmaak_f32 v56, v55, v56, 0x3de703be
	v_fmaak_f32 v56, v55, v56, 0xbec09330
	v_fmaak_f32 v55, v55, v56, 0x3e0375d0
	v_fma_f32 v55, |v54|, v55, |v54|
; %bb.77:                               ;   in Loop: Header=BB427_9 Depth=1
	s_or_b64 exec, exec, s[14:15]
	v_and_b32_e32 v32, 0xffff0000, v32
	v_add_f32_e32 v32, v45, v32
	v_mul_f32_e32 v45, 0x3f3504f3, v32
	v_cmp_nlt_f32_e64 s[14:15], |v45|, 1.0
                                        ; implicit-def: $vgpr56
	s_and_saveexec_b64 s[44:45], s[14:15]
	s_xor_b64 s[14:15], exec, s[44:45]
	s_cbranch_execz .LBB427_79
; %bb.78:                               ;   in Loop: Header=BB427_9 Depth=1
	v_fma_f32 v56, |v45|, s31, v99
	v_fma_f32 v56, |v45|, v56, s33
	;; [unrolled: 1-line block ×6, first 2 shown]
	v_fma_f32 v56, |v45|, v56, |v45|
	v_mul_f32_e32 v57, 0xbfb8aa3b, v56
	v_fma_f32 v58, v56, s38, -v57
	v_rndne_f32_e32 v59, v57
	v_fmac_f32_e32 v58, 0xb2a5705f, v56
	v_sub_f32_e32 v57, v57, v59
	v_add_f32_e32 v57, v57, v58
	v_cvt_i32_f32_e32 v58, v59
	v_exp_f32_e32 v57, v57
	v_cmp_nlt_f32_e32 vcc, s39, v56
	v_ldexp_f32 v57, v57, v58
	s_nop 0
	v_cndmask_b32_e32 v57, 0, v57, vcc
	v_cmp_ngt_f32_e32 vcc, s40, v56
	s_nop 1
	v_cndmask_b32_e32 v56, v100, v57, vcc
	v_sub_f32_e32 v56, 1.0, v56
.LBB427_79:                             ;   in Loop: Header=BB427_9 Depth=1
	s_andn2_saveexec_b64 s[14:15], s[14:15]
; %bb.80:                               ;   in Loop: Header=BB427_9 Depth=1
	v_mul_f32_e32 v56, v45, v45
	v_fmamk_f32 v57, v56, 0xba1345e1, v98
	v_fmaak_f32 v57, v56, v57, 0xbcdac9b8
	v_fmaak_f32 v57, v56, v57, 0x3de703be
	;; [unrolled: 1-line block ×4, first 2 shown]
	v_fma_f32 v56, |v45|, v56, |v45|
; %bb.81:                               ;   in Loop: Header=BB427_9 Depth=1
	s_or_b64 exec, exec, s[14:15]
	v_bfi_b32 v54, s41, v55, v54
	v_mul_f32_e32 v44, 0.5, v44
	v_add_f32_e32 v54, 1.0, v54
	v_mul_f32_e32 v44, v44, v54
	v_and_b32_e32 v54, 0xffff0000, v24
	v_lshlrev_b32_e32 v24, 16, v24
	s_waitcnt vmcnt(3)
	v_add_f32_e32 v40, v40, v24
	v_mul_f32_e32 v24, 0.5, v32
	v_bfi_b32 v32, s41, v56, v45
	v_add_f32_e32 v32, 1.0, v32
	v_mul_f32_e32 v45, v24, v32
	v_lshlrev_b32_e32 v24, 16, v33
	v_add_f32_e32 v24, v46, v24
	v_mul_f32_e32 v32, 0x3f3504f3, v24
	v_add_f32_e32 v41, v41, v54
	v_cmp_nlt_f32_e64 s[14:15], |v32|, 1.0
	;;#ASMSTART
	v_pk_mul_f32 v[40:41], v[44:45], v[40:41]
	;;#ASMEND
                                        ; implicit-def: $vgpr44
	s_and_saveexec_b64 s[44:45], s[14:15]
	s_xor_b64 s[14:15], exec, s[44:45]
	s_cbranch_execz .LBB427_83
; %bb.82:                               ;   in Loop: Header=BB427_9 Depth=1
	v_fma_f32 v44, |v32|, s31, v99
	v_fma_f32 v44, |v32|, v44, s33
	;; [unrolled: 1-line block ×6, first 2 shown]
	v_fma_f32 v44, |v32|, v44, |v32|
	v_mul_f32_e32 v45, 0xbfb8aa3b, v44
	v_fma_f32 v46, v44, s38, -v45
	v_rndne_f32_e32 v54, v45
	v_fmac_f32_e32 v46, 0xb2a5705f, v44
	v_sub_f32_e32 v45, v45, v54
	v_add_f32_e32 v45, v45, v46
	v_cvt_i32_f32_e32 v46, v54
	v_exp_f32_e32 v45, v45
	v_cmp_nlt_f32_e32 vcc, s39, v44
	v_ldexp_f32 v45, v45, v46
	s_nop 0
	v_cndmask_b32_e32 v45, 0, v45, vcc
	v_cmp_ngt_f32_e32 vcc, s40, v44
	s_nop 1
	v_cndmask_b32_e32 v44, v100, v45, vcc
	v_sub_f32_e32 v44, 1.0, v44
.LBB427_83:                             ;   in Loop: Header=BB427_9 Depth=1
	s_andn2_saveexec_b64 s[14:15], s[14:15]
; %bb.84:                               ;   in Loop: Header=BB427_9 Depth=1
	v_mul_f32_e32 v44, v32, v32
	v_fmamk_f32 v45, v44, 0xba1345e1, v98
	v_fmaak_f32 v45, v44, v45, 0xbcdac9b8
	v_fmaak_f32 v45, v44, v45, 0x3de703be
	;; [unrolled: 1-line block ×4, first 2 shown]
	v_fma_f32 v44, |v32|, v44, |v32|
; %bb.85:                               ;   in Loop: Header=BB427_9 Depth=1
	s_or_b64 exec, exec, s[14:15]
	v_and_b32_e32 v33, 0xffff0000, v33
	v_add_f32_e32 v33, v47, v33
	v_mul_f32_e32 v45, 0x3f3504f3, v33
	v_cmp_nlt_f32_e64 s[14:15], |v45|, 1.0
                                        ; implicit-def: $vgpr46
	s_and_saveexec_b64 s[44:45], s[14:15]
	s_xor_b64 s[14:15], exec, s[44:45]
	s_cbranch_execz .LBB427_87
; %bb.86:                               ;   in Loop: Header=BB427_9 Depth=1
	v_fma_f32 v46, |v45|, s31, v99
	v_fma_f32 v46, |v45|, v46, s33
	;; [unrolled: 1-line block ×6, first 2 shown]
	v_fma_f32 v46, |v45|, v46, |v45|
	v_mul_f32_e32 v47, 0xbfb8aa3b, v46
	v_fma_f32 v54, v46, s38, -v47
	v_rndne_f32_e32 v55, v47
	v_fmac_f32_e32 v54, 0xb2a5705f, v46
	v_sub_f32_e32 v47, v47, v55
	v_add_f32_e32 v47, v47, v54
	v_cvt_i32_f32_e32 v54, v55
	v_exp_f32_e32 v47, v47
	v_cmp_nlt_f32_e32 vcc, s39, v46
	v_ldexp_f32 v47, v47, v54
	s_nop 0
	v_cndmask_b32_e32 v47, 0, v47, vcc
	v_cmp_ngt_f32_e32 vcc, s40, v46
	s_nop 1
	v_cndmask_b32_e32 v46, v100, v47, vcc
	v_sub_f32_e32 v46, 1.0, v46
.LBB427_87:                             ;   in Loop: Header=BB427_9 Depth=1
	s_andn2_saveexec_b64 s[14:15], s[14:15]
; %bb.88:                               ;   in Loop: Header=BB427_9 Depth=1
	v_mul_f32_e32 v46, v45, v45
	v_fmamk_f32 v47, v46, 0xba1345e1, v98
	v_fmaak_f32 v47, v46, v47, 0xbcdac9b8
	v_fmaak_f32 v47, v46, v47, 0x3de703be
	;; [unrolled: 1-line block ×4, first 2 shown]
	v_fma_f32 v46, |v45|, v46, |v45|
; %bb.89:                               ;   in Loop: Header=BB427_9 Depth=1
	s_or_b64 exec, exec, s[14:15]
	v_bfi_b32 v32, s41, v44, v32
	v_mul_f32_e32 v24, 0.5, v24
	v_add_f32_e32 v32, 1.0, v32
	v_mul_f32_e32 v24, v24, v32
	v_and_b32_e32 v32, 0xffff0000, v25
	v_add_f32_e32 v43, v43, v32
	v_lshlrev_b32_e32 v25, 16, v25
	v_bfi_b32 v32, s41, v46, v45
	v_add_f32_e32 v42, v42, v25
	v_mul_f32_e32 v25, 0.5, v33
	v_add_f32_e32 v32, 1.0, v32
	v_mul_f32_e32 v25, v25, v32
	v_lshlrev_b32_e32 v32, 16, v34
	v_add_f32_e32 v32, v36, v32
	v_mul_f32_e32 v33, 0x3f3504f3, v32
	v_cmp_nlt_f32_e64 s[14:15], |v33|, 1.0
	;;#ASMSTART
	v_pk_mul_f32 v[24:25], v[24:25], v[42:43]
	;;#ASMEND
                                        ; implicit-def: $vgpr36
	s_and_saveexec_b64 s[44:45], s[14:15]
	s_xor_b64 s[14:15], exec, s[44:45]
	s_cbranch_execz .LBB427_91
; %bb.90:                               ;   in Loop: Header=BB427_9 Depth=1
	v_fma_f32 v36, |v33|, s31, v99
	v_fma_f32 v36, |v33|, v36, s33
	;; [unrolled: 1-line block ×6, first 2 shown]
	v_fma_f32 v36, |v33|, v36, |v33|
	v_mul_f32_e32 v42, 0xbfb8aa3b, v36
	v_fma_f32 v43, v36, s38, -v42
	v_rndne_f32_e32 v44, v42
	v_fmac_f32_e32 v43, 0xb2a5705f, v36
	v_sub_f32_e32 v42, v42, v44
	v_add_f32_e32 v42, v42, v43
	v_cvt_i32_f32_e32 v43, v44
	v_exp_f32_e32 v42, v42
	v_cmp_nlt_f32_e32 vcc, s39, v36
	v_ldexp_f32 v42, v42, v43
	s_nop 0
	v_cndmask_b32_e32 v42, 0, v42, vcc
	v_cmp_ngt_f32_e32 vcc, s40, v36
	s_nop 1
	v_cndmask_b32_e32 v36, v100, v42, vcc
	v_sub_f32_e32 v36, 1.0, v36
.LBB427_91:                             ;   in Loop: Header=BB427_9 Depth=1
	s_andn2_saveexec_b64 s[14:15], s[14:15]
; %bb.92:                               ;   in Loop: Header=BB427_9 Depth=1
	v_mul_f32_e32 v36, v33, v33
	v_fmamk_f32 v42, v36, 0xba1345e1, v98
	v_fmaak_f32 v42, v36, v42, 0xbcdac9b8
	v_fmaak_f32 v42, v36, v42, 0x3de703be
	;; [unrolled: 1-line block ×4, first 2 shown]
	v_fma_f32 v36, |v33|, v36, |v33|
; %bb.93:                               ;   in Loop: Header=BB427_9 Depth=1
	s_or_b64 exec, exec, s[14:15]
	v_and_b32_e32 v34, 0xffff0000, v34
	v_add_f32_e32 v34, v37, v34
	v_mul_f32_e32 v37, 0x3f3504f3, v34
	v_cmp_nlt_f32_e64 s[14:15], |v37|, 1.0
                                        ; implicit-def: $vgpr42
	s_and_saveexec_b64 s[44:45], s[14:15]
	s_xor_b64 s[14:15], exec, s[44:45]
	s_cbranch_execz .LBB427_95
; %bb.94:                               ;   in Loop: Header=BB427_9 Depth=1
	v_fma_f32 v42, |v37|, s31, v99
	v_fma_f32 v42, |v37|, v42, s33
	;; [unrolled: 1-line block ×6, first 2 shown]
	v_fma_f32 v42, |v37|, v42, |v37|
	v_mul_f32_e32 v43, 0xbfb8aa3b, v42
	v_fma_f32 v44, v42, s38, -v43
	v_rndne_f32_e32 v45, v43
	v_fmac_f32_e32 v44, 0xb2a5705f, v42
	v_sub_f32_e32 v43, v43, v45
	v_add_f32_e32 v43, v43, v44
	v_cvt_i32_f32_e32 v44, v45
	v_exp_f32_e32 v43, v43
	v_cmp_nlt_f32_e32 vcc, s39, v42
	v_ldexp_f32 v43, v43, v44
	s_nop 0
	v_cndmask_b32_e32 v43, 0, v43, vcc
	v_cmp_ngt_f32_e32 vcc, s40, v42
	s_nop 1
	v_cndmask_b32_e32 v42, v100, v43, vcc
	v_sub_f32_e32 v42, 1.0, v42
.LBB427_95:                             ;   in Loop: Header=BB427_9 Depth=1
	s_andn2_saveexec_b64 s[14:15], s[14:15]
; %bb.96:                               ;   in Loop: Header=BB427_9 Depth=1
	v_mul_f32_e32 v42, v37, v37
	v_fmamk_f32 v43, v42, 0xba1345e1, v98
	v_fmaak_f32 v43, v42, v43, 0xbcdac9b8
	v_fmaak_f32 v43, v42, v43, 0x3de703be
	;; [unrolled: 1-line block ×4, first 2 shown]
	v_fma_f32 v42, |v37|, v42, |v37|
; %bb.97:                               ;   in Loop: Header=BB427_9 Depth=1
	s_or_b64 exec, exec, s[14:15]
	v_bfi_b32 v33, s41, v36, v33
	v_mul_f32_e32 v32, 0.5, v32
	v_add_f32_e32 v33, 1.0, v33
	v_mul_f32_e32 v32, v32, v33
	v_and_b32_e32 v33, 0xffff0000, v26
	s_waitcnt vmcnt(2)
	v_add_f32_e32 v29, v29, v33
	v_lshlrev_b32_e32 v26, 16, v26
	v_bfi_b32 v33, s41, v42, v37
	v_add_f32_e32 v28, v28, v26
	v_mul_f32_e32 v26, 0.5, v34
	v_add_f32_e32 v33, 1.0, v33
	v_mul_f32_e32 v33, v26, v33
	v_lshlrev_b32_e32 v26, 16, v35
	v_add_f32_e32 v26, v38, v26
	;;#ASMSTART
	v_pk_mul_f32 v[28:29], v[32:33], v[28:29]
	;;#ASMEND
	v_mul_f32_e32 v32, 0x3f3504f3, v26
	v_cmp_nlt_f32_e64 s[14:15], |v32|, 1.0
                                        ; implicit-def: $vgpr33
	s_and_saveexec_b64 s[44:45], s[14:15]
	s_xor_b64 s[14:15], exec, s[44:45]
	s_cbranch_execz .LBB427_99
; %bb.98:                               ;   in Loop: Header=BB427_9 Depth=1
	v_fma_f32 v33, |v32|, s31, v99
	v_fma_f32 v33, |v32|, v33, s33
	;; [unrolled: 1-line block ×6, first 2 shown]
	v_fma_f32 v33, |v32|, v33, |v32|
	v_mul_f32_e32 v34, 0xbfb8aa3b, v33
	v_fma_f32 v36, v33, s38, -v34
	v_rndne_f32_e32 v37, v34
	v_fmac_f32_e32 v36, 0xb2a5705f, v33
	v_sub_f32_e32 v34, v34, v37
	v_add_f32_e32 v34, v34, v36
	v_cvt_i32_f32_e32 v36, v37
	v_exp_f32_e32 v34, v34
	v_cmp_nlt_f32_e32 vcc, s39, v33
	v_ldexp_f32 v34, v34, v36
	s_nop 0
	v_cndmask_b32_e32 v34, 0, v34, vcc
	v_cmp_ngt_f32_e32 vcc, s40, v33
	s_nop 1
	v_cndmask_b32_e32 v33, v100, v34, vcc
	v_sub_f32_e32 v33, 1.0, v33
.LBB427_99:                             ;   in Loop: Header=BB427_9 Depth=1
	s_andn2_saveexec_b64 s[14:15], s[14:15]
; %bb.100:                              ;   in Loop: Header=BB427_9 Depth=1
	v_mul_f32_e32 v33, v32, v32
	v_fmamk_f32 v34, v33, 0xba1345e1, v98
	v_fmaak_f32 v34, v33, v34, 0xbcdac9b8
	v_fmaak_f32 v34, v33, v34, 0x3de703be
	;; [unrolled: 1-line block ×4, first 2 shown]
	v_fma_f32 v33, |v32|, v33, |v32|
; %bb.101:                              ;   in Loop: Header=BB427_9 Depth=1
	s_or_b64 exec, exec, s[14:15]
	v_and_b32_e32 v34, 0xffff0000, v35
	v_add_f32_e32 v34, v39, v34
	v_mul_f32_e32 v35, 0x3f3504f3, v34
	v_cmp_nlt_f32_e64 s[14:15], |v35|, 1.0
                                        ; implicit-def: $vgpr36
	s_and_saveexec_b64 s[44:45], s[14:15]
	s_xor_b64 s[14:15], exec, s[44:45]
	s_cbranch_execz .LBB427_103
; %bb.102:                              ;   in Loop: Header=BB427_9 Depth=1
	v_fma_f32 v36, |v35|, s31, v99
	v_fma_f32 v36, |v35|, v36, s33
	;; [unrolled: 1-line block ×6, first 2 shown]
	v_fma_f32 v36, |v35|, v36, |v35|
	v_mul_f32_e32 v37, 0xbfb8aa3b, v36
	v_fma_f32 v38, v36, s38, -v37
	v_rndne_f32_e32 v39, v37
	v_fmac_f32_e32 v38, 0xb2a5705f, v36
	v_sub_f32_e32 v37, v37, v39
	v_add_f32_e32 v37, v37, v38
	v_cvt_i32_f32_e32 v38, v39
	v_exp_f32_e32 v37, v37
	v_cmp_nlt_f32_e32 vcc, s39, v36
	v_ldexp_f32 v37, v37, v38
	s_nop 0
	v_cndmask_b32_e32 v37, 0, v37, vcc
	v_cmp_ngt_f32_e32 vcc, s40, v36
	s_nop 1
	v_cndmask_b32_e32 v36, v100, v37, vcc
	v_sub_f32_e32 v36, 1.0, v36
.LBB427_103:                            ;   in Loop: Header=BB427_9 Depth=1
	s_andn2_saveexec_b64 s[14:15], s[14:15]
; %bb.104:                              ;   in Loop: Header=BB427_9 Depth=1
	v_mul_f32_e32 v36, v35, v35
	v_fmamk_f32 v37, v36, 0xba1345e1, v98
	v_fmaak_f32 v37, v36, v37, 0xbcdac9b8
	v_fmaak_f32 v37, v36, v37, 0x3de703be
	;; [unrolled: 1-line block ×4, first 2 shown]
	v_fma_f32 v36, |v35|, v36, |v35|
; %bb.105:                              ;   in Loop: Header=BB427_9 Depth=1
	s_or_b64 exec, exec, s[14:15]
	v_bfi_b32 v32, s41, v33, v32
	v_mul_f32_e32 v26, 0.5, v26
	v_add_f32_e32 v32, 1.0, v32
	v_mul_f32_e32 v26, v26, v32
	v_and_b32_e32 v32, 0xffff0000, v27
	v_add_f32_e32 v31, v31, v32
	v_lshlrev_b32_e32 v27, 16, v27
	v_bfi_b32 v32, s41, v36, v35
	v_add_f32_e32 v30, v30, v27
	v_mul_f32_e32 v27, 0.5, v34
	v_add_f32_e32 v32, 1.0, v32
	v_mul_f32_e32 v27, v27, v32
	;;#ASMSTART
	v_pk_mul_f32 v[26:27], v[26:27], v[30:31]
	;;#ASMEND
	v_lshlrev_b32_e32 v30, 16, v8
	v_add_f32_e32 v20, v20, v30
	v_mul_f32_e32 v30, 0x3f3504f3, v20
	v_cmp_nlt_f32_e64 s[14:15], |v30|, 1.0
                                        ; implicit-def: $vgpr31
	s_and_saveexec_b64 s[44:45], s[14:15]
	s_xor_b64 s[14:15], exec, s[44:45]
	s_cbranch_execz .LBB427_107
; %bb.106:                              ;   in Loop: Header=BB427_9 Depth=1
	v_fma_f32 v31, |v30|, s31, v99
	v_fma_f32 v31, |v30|, v31, s33
	;; [unrolled: 1-line block ×6, first 2 shown]
	v_fma_f32 v31, |v30|, v31, |v30|
	v_mul_f32_e32 v32, 0xbfb8aa3b, v31
	v_fma_f32 v33, v31, s38, -v32
	v_rndne_f32_e32 v34, v32
	v_fmac_f32_e32 v33, 0xb2a5705f, v31
	v_sub_f32_e32 v32, v32, v34
	v_add_f32_e32 v32, v32, v33
	v_cvt_i32_f32_e32 v33, v34
	v_exp_f32_e32 v32, v32
	v_cmp_nlt_f32_e32 vcc, s39, v31
	v_ldexp_f32 v32, v32, v33
	s_nop 0
	v_cndmask_b32_e32 v32, 0, v32, vcc
	v_cmp_ngt_f32_e32 vcc, s40, v31
	s_nop 1
	v_cndmask_b32_e32 v31, v100, v32, vcc
	v_sub_f32_e32 v31, 1.0, v31
.LBB427_107:                            ;   in Loop: Header=BB427_9 Depth=1
	s_andn2_saveexec_b64 s[14:15], s[14:15]
; %bb.108:                              ;   in Loop: Header=BB427_9 Depth=1
	v_mul_f32_e32 v31, v30, v30
	v_fmamk_f32 v32, v31, 0xba1345e1, v98
	v_fmaak_f32 v32, v31, v32, 0xbcdac9b8
	v_fmaak_f32 v32, v31, v32, 0x3de703be
	;; [unrolled: 1-line block ×4, first 2 shown]
	v_fma_f32 v31, |v30|, v31, |v30|
; %bb.109:                              ;   in Loop: Header=BB427_9 Depth=1
	s_or_b64 exec, exec, s[14:15]
	v_and_b32_e32 v8, 0xffff0000, v8
	v_add_f32_e32 v8, v21, v8
	v_mul_f32_e32 v21, 0x3f3504f3, v8
	v_cmp_nlt_f32_e64 s[14:15], |v21|, 1.0
                                        ; implicit-def: $vgpr32
	s_and_saveexec_b64 s[44:45], s[14:15]
	s_xor_b64 s[14:15], exec, s[44:45]
	s_cbranch_execz .LBB427_111
; %bb.110:                              ;   in Loop: Header=BB427_9 Depth=1
	v_fma_f32 v32, |v21|, s31, v99
	v_fma_f32 v32, |v21|, v32, s33
	;; [unrolled: 1-line block ×6, first 2 shown]
	v_fma_f32 v32, |v21|, v32, |v21|
	v_mul_f32_e32 v33, 0xbfb8aa3b, v32
	v_fma_f32 v34, v32, s38, -v33
	v_rndne_f32_e32 v35, v33
	v_fmac_f32_e32 v34, 0xb2a5705f, v32
	v_sub_f32_e32 v33, v33, v35
	v_add_f32_e32 v33, v33, v34
	v_cvt_i32_f32_e32 v34, v35
	v_exp_f32_e32 v33, v33
	v_cmp_nlt_f32_e32 vcc, s39, v32
	v_ldexp_f32 v33, v33, v34
	s_nop 0
	v_cndmask_b32_e32 v33, 0, v33, vcc
	v_cmp_ngt_f32_e32 vcc, s40, v32
	s_nop 1
	v_cndmask_b32_e32 v32, v100, v33, vcc
	v_sub_f32_e32 v32, 1.0, v32
.LBB427_111:                            ;   in Loop: Header=BB427_9 Depth=1
	s_andn2_saveexec_b64 s[14:15], s[14:15]
; %bb.112:                              ;   in Loop: Header=BB427_9 Depth=1
	v_mul_f32_e32 v32, v21, v21
	v_fmamk_f32 v33, v32, 0xba1345e1, v98
	v_fmaak_f32 v33, v32, v33, 0xbcdac9b8
	v_fmaak_f32 v33, v32, v33, 0x3de703be
	v_fmaak_f32 v33, v32, v33, 0xbec09330
	v_fmaak_f32 v32, v32, v33, 0x3e0375d0
	v_fma_f32 v32, |v21|, v32, |v21|
; %bb.113:                              ;   in Loop: Header=BB427_9 Depth=1
	s_or_b64 exec, exec, s[14:15]
	v_bfi_b32 v30, s41, v31, v30
	v_mul_f32_e32 v20, 0.5, v20
	v_add_f32_e32 v30, 1.0, v30
	v_mul_f32_e32 v20, v20, v30
	v_and_b32_e32 v30, 0xffff0000, v0
	v_lshlrev_b32_e32 v0, 16, v0
	s_waitcnt vmcnt(1)
	v_add_f32_e32 v16, v16, v0
	v_mul_f32_e32 v0, 0.5, v8
	v_bfi_b32 v8, s41, v32, v21
	v_add_f32_e32 v8, 1.0, v8
	v_mul_f32_e32 v21, v0, v8
	v_lshlrev_b32_e32 v0, 16, v9
	v_add_f32_e32 v0, v22, v0
	v_mul_f32_e32 v8, 0x3f3504f3, v0
	v_add_f32_e32 v17, v17, v30
	v_cmp_nlt_f32_e64 s[14:15], |v8|, 1.0
	;;#ASMSTART
	v_pk_mul_f32 v[16:17], v[20:21], v[16:17]
	;;#ASMEND
                                        ; implicit-def: $vgpr20
	s_and_saveexec_b64 s[44:45], s[14:15]
	s_xor_b64 s[14:15], exec, s[44:45]
	s_cbranch_execz .LBB427_115
; %bb.114:                              ;   in Loop: Header=BB427_9 Depth=1
	v_fma_f32 v20, |v8|, s31, v99
	v_fma_f32 v20, |v8|, v20, s33
	;; [unrolled: 1-line block ×6, first 2 shown]
	v_fma_f32 v20, |v8|, v20, |v8|
	v_mul_f32_e32 v21, 0xbfb8aa3b, v20
	v_fma_f32 v22, v20, s38, -v21
	v_rndne_f32_e32 v30, v21
	v_fmac_f32_e32 v22, 0xb2a5705f, v20
	v_sub_f32_e32 v21, v21, v30
	v_add_f32_e32 v21, v21, v22
	v_cvt_i32_f32_e32 v22, v30
	v_exp_f32_e32 v21, v21
	v_cmp_nlt_f32_e32 vcc, s39, v20
	v_ldexp_f32 v21, v21, v22
	s_nop 0
	v_cndmask_b32_e32 v21, 0, v21, vcc
	v_cmp_ngt_f32_e32 vcc, s40, v20
	s_nop 1
	v_cndmask_b32_e32 v20, v100, v21, vcc
	v_sub_f32_e32 v20, 1.0, v20
.LBB427_115:                            ;   in Loop: Header=BB427_9 Depth=1
	s_andn2_saveexec_b64 s[14:15], s[14:15]
; %bb.116:                              ;   in Loop: Header=BB427_9 Depth=1
	v_mul_f32_e32 v20, v8, v8
	v_fmamk_f32 v21, v20, 0xba1345e1, v98
	v_fmaak_f32 v21, v20, v21, 0xbcdac9b8
	v_fmaak_f32 v21, v20, v21, 0x3de703be
	;; [unrolled: 1-line block ×4, first 2 shown]
	v_fma_f32 v20, |v8|, v20, |v8|
; %bb.117:                              ;   in Loop: Header=BB427_9 Depth=1
	s_or_b64 exec, exec, s[14:15]
	v_and_b32_e32 v9, 0xffff0000, v9
	v_add_f32_e32 v9, v23, v9
	v_mul_f32_e32 v21, 0x3f3504f3, v9
	v_cmp_nlt_f32_e64 s[14:15], |v21|, 1.0
                                        ; implicit-def: $vgpr22
	s_and_saveexec_b64 s[44:45], s[14:15]
	s_xor_b64 s[14:15], exec, s[44:45]
	s_cbranch_execz .LBB427_119
; %bb.118:                              ;   in Loop: Header=BB427_9 Depth=1
	v_fma_f32 v22, |v21|, s31, v99
	v_fma_f32 v22, |v21|, v22, s33
	;; [unrolled: 1-line block ×6, first 2 shown]
	v_fma_f32 v22, |v21|, v22, |v21|
	v_mul_f32_e32 v23, 0xbfb8aa3b, v22
	v_fma_f32 v30, v22, s38, -v23
	v_rndne_f32_e32 v31, v23
	v_fmac_f32_e32 v30, 0xb2a5705f, v22
	v_sub_f32_e32 v23, v23, v31
	v_add_f32_e32 v23, v23, v30
	v_cvt_i32_f32_e32 v30, v31
	v_exp_f32_e32 v23, v23
	v_cmp_nlt_f32_e32 vcc, s39, v22
	v_ldexp_f32 v23, v23, v30
	s_nop 0
	v_cndmask_b32_e32 v23, 0, v23, vcc
	v_cmp_ngt_f32_e32 vcc, s40, v22
	s_nop 1
	v_cndmask_b32_e32 v22, v100, v23, vcc
	v_sub_f32_e32 v22, 1.0, v22
.LBB427_119:                            ;   in Loop: Header=BB427_9 Depth=1
	s_andn2_saveexec_b64 s[14:15], s[14:15]
; %bb.120:                              ;   in Loop: Header=BB427_9 Depth=1
	v_mul_f32_e32 v22, v21, v21
	v_fmamk_f32 v23, v22, 0xba1345e1, v98
	v_fmaak_f32 v23, v22, v23, 0xbcdac9b8
	v_fmaak_f32 v23, v22, v23, 0x3de703be
	;; [unrolled: 1-line block ×4, first 2 shown]
	v_fma_f32 v22, |v21|, v22, |v21|
; %bb.121:                              ;   in Loop: Header=BB427_9 Depth=1
	s_or_b64 exec, exec, s[14:15]
	v_bfi_b32 v8, s41, v20, v8
	v_mul_f32_e32 v0, 0.5, v0
	v_add_f32_e32 v8, 1.0, v8
	v_mul_f32_e32 v0, v0, v8
	v_and_b32_e32 v8, 0xffff0000, v1
	v_add_f32_e32 v19, v19, v8
	v_lshlrev_b32_e32 v1, 16, v1
	v_bfi_b32 v8, s41, v22, v21
	v_add_f32_e32 v18, v18, v1
	v_mul_f32_e32 v1, 0.5, v9
	v_add_f32_e32 v8, 1.0, v8
	v_mul_f32_e32 v1, v1, v8
	v_lshlrev_b32_e32 v8, 16, v10
	v_add_f32_e32 v8, v12, v8
	v_mul_f32_e32 v9, 0x3f3504f3, v8
	v_cmp_nlt_f32_e64 s[14:15], |v9|, 1.0
	;;#ASMSTART
	v_pk_mul_f32 v[0:1], v[0:1], v[18:19]
	;;#ASMEND
                                        ; implicit-def: $vgpr12
	s_and_saveexec_b64 s[44:45], s[14:15]
	s_xor_b64 s[14:15], exec, s[44:45]
	s_cbranch_execz .LBB427_123
; %bb.122:                              ;   in Loop: Header=BB427_9 Depth=1
	v_fma_f32 v12, |v9|, s31, v99
	v_fma_f32 v12, |v9|, v12, s33
	v_fma_f32 v12, |v9|, v12, s34
	v_fma_f32 v12, |v9|, v12, s35
	v_fma_f32 v12, |v9|, v12, s36
	v_fma_f32 v12, |v9|, v12, s37
	v_fma_f32 v12, |v9|, v12, |v9|
	v_mul_f32_e32 v18, 0xbfb8aa3b, v12
	v_fma_f32 v19, v12, s38, -v18
	v_rndne_f32_e32 v20, v18
	v_fmac_f32_e32 v19, 0xb2a5705f, v12
	v_sub_f32_e32 v18, v18, v20
	v_add_f32_e32 v18, v18, v19
	v_cvt_i32_f32_e32 v19, v20
	v_exp_f32_e32 v18, v18
	v_cmp_nlt_f32_e32 vcc, s39, v12
	v_ldexp_f32 v18, v18, v19
	s_nop 0
	v_cndmask_b32_e32 v18, 0, v18, vcc
	v_cmp_ngt_f32_e32 vcc, s40, v12
	s_nop 1
	v_cndmask_b32_e32 v12, v100, v18, vcc
	v_sub_f32_e32 v12, 1.0, v12
.LBB427_123:                            ;   in Loop: Header=BB427_9 Depth=1
	s_andn2_saveexec_b64 s[14:15], s[14:15]
; %bb.124:                              ;   in Loop: Header=BB427_9 Depth=1
	v_mul_f32_e32 v12, v9, v9
	v_fmamk_f32 v18, v12, 0xba1345e1, v98
	v_fmaak_f32 v18, v12, v18, 0xbcdac9b8
	v_fmaak_f32 v18, v12, v18, 0x3de703be
	;; [unrolled: 1-line block ×4, first 2 shown]
	v_fma_f32 v12, |v9|, v12, |v9|
; %bb.125:                              ;   in Loop: Header=BB427_9 Depth=1
	s_or_b64 exec, exec, s[14:15]
	v_and_b32_e32 v10, 0xffff0000, v10
	v_add_f32_e32 v10, v13, v10
	v_mul_f32_e32 v13, 0x3f3504f3, v10
	v_cmp_nlt_f32_e64 s[14:15], |v13|, 1.0
                                        ; implicit-def: $vgpr18
	s_and_saveexec_b64 s[44:45], s[14:15]
	s_xor_b64 s[14:15], exec, s[44:45]
	s_cbranch_execz .LBB427_127
; %bb.126:                              ;   in Loop: Header=BB427_9 Depth=1
	v_fma_f32 v18, |v13|, s31, v99
	v_fma_f32 v18, |v13|, v18, s33
	;; [unrolled: 1-line block ×6, first 2 shown]
	v_fma_f32 v18, |v13|, v18, |v13|
	v_mul_f32_e32 v19, 0xbfb8aa3b, v18
	v_fma_f32 v20, v18, s38, -v19
	v_rndne_f32_e32 v21, v19
	v_fmac_f32_e32 v20, 0xb2a5705f, v18
	v_sub_f32_e32 v19, v19, v21
	v_add_f32_e32 v19, v19, v20
	v_cvt_i32_f32_e32 v20, v21
	v_exp_f32_e32 v19, v19
	v_cmp_nlt_f32_e32 vcc, s39, v18
	v_ldexp_f32 v19, v19, v20
	s_nop 0
	v_cndmask_b32_e32 v19, 0, v19, vcc
	v_cmp_ngt_f32_e32 vcc, s40, v18
	s_nop 1
	v_cndmask_b32_e32 v18, v100, v19, vcc
	v_sub_f32_e32 v18, 1.0, v18
.LBB427_127:                            ;   in Loop: Header=BB427_9 Depth=1
	s_andn2_saveexec_b64 s[14:15], s[14:15]
; %bb.128:                              ;   in Loop: Header=BB427_9 Depth=1
	v_mul_f32_e32 v18, v13, v13
	v_fmamk_f32 v19, v18, 0xba1345e1, v98
	v_fmaak_f32 v19, v18, v19, 0xbcdac9b8
	v_fmaak_f32 v19, v18, v19, 0x3de703be
	;; [unrolled: 1-line block ×4, first 2 shown]
	v_fma_f32 v18, |v13|, v18, |v13|
; %bb.129:                              ;   in Loop: Header=BB427_9 Depth=1
	s_or_b64 exec, exec, s[14:15]
	v_bfi_b32 v9, s41, v12, v9
	v_mul_f32_e32 v8, 0.5, v8
	v_add_f32_e32 v9, 1.0, v9
	v_mul_f32_e32 v8, v8, v9
	v_and_b32_e32 v9, 0xffff0000, v2
	s_waitcnt vmcnt(0)
	v_add_f32_e32 v5, v5, v9
	v_lshlrev_b32_e32 v2, 16, v2
	v_bfi_b32 v9, s41, v18, v13
	v_add_f32_e32 v4, v4, v2
	v_mul_f32_e32 v2, 0.5, v10
	v_add_f32_e32 v9, 1.0, v9
	v_mul_f32_e32 v9, v2, v9
	v_lshlrev_b32_e32 v2, 16, v11
	v_add_f32_e32 v2, v14, v2
	;;#ASMSTART
	v_pk_mul_f32 v[4:5], v[8:9], v[4:5]
	;;#ASMEND
	v_mul_f32_e32 v8, 0x3f3504f3, v2
	v_cmp_nlt_f32_e64 s[14:15], |v8|, 1.0
                                        ; implicit-def: $vgpr9
	s_and_saveexec_b64 s[44:45], s[14:15]
	s_xor_b64 s[14:15], exec, s[44:45]
	s_cbranch_execz .LBB427_131
; %bb.130:                              ;   in Loop: Header=BB427_9 Depth=1
	v_fma_f32 v9, |v8|, s31, v99
	v_fma_f32 v9, |v8|, v9, s33
	;; [unrolled: 1-line block ×6, first 2 shown]
	v_fma_f32 v9, |v8|, v9, |v8|
	v_mul_f32_e32 v10, 0xbfb8aa3b, v9
	v_fma_f32 v12, v9, s38, -v10
	v_rndne_f32_e32 v13, v10
	v_fmac_f32_e32 v12, 0xb2a5705f, v9
	v_sub_f32_e32 v10, v10, v13
	v_add_f32_e32 v10, v10, v12
	v_cvt_i32_f32_e32 v12, v13
	v_exp_f32_e32 v10, v10
	v_cmp_nlt_f32_e32 vcc, s39, v9
	v_ldexp_f32 v10, v10, v12
	s_nop 0
	v_cndmask_b32_e32 v10, 0, v10, vcc
	v_cmp_ngt_f32_e32 vcc, s40, v9
	s_nop 1
	v_cndmask_b32_e32 v9, v100, v10, vcc
	v_sub_f32_e32 v9, 1.0, v9
.LBB427_131:                            ;   in Loop: Header=BB427_9 Depth=1
	s_andn2_saveexec_b64 s[14:15], s[14:15]
; %bb.132:                              ;   in Loop: Header=BB427_9 Depth=1
	v_mul_f32_e32 v9, v8, v8
	v_fmamk_f32 v10, v9, 0xba1345e1, v98
	v_fmaak_f32 v10, v9, v10, 0xbcdac9b8
	v_fmaak_f32 v10, v9, v10, 0x3de703be
	;; [unrolled: 1-line block ×4, first 2 shown]
	v_fma_f32 v9, |v8|, v9, |v8|
; %bb.133:                              ;   in Loop: Header=BB427_9 Depth=1
	s_or_b64 exec, exec, s[14:15]
	v_and_b32_e32 v10, 0xffff0000, v11
	v_add_f32_e32 v10, v15, v10
	v_mul_f32_e32 v11, 0x3f3504f3, v10
	v_cmp_nlt_f32_e64 s[14:15], |v11|, 1.0
                                        ; implicit-def: $vgpr12
	s_and_saveexec_b64 s[44:45], s[14:15]
	s_xor_b64 s[14:15], exec, s[44:45]
	s_cbranch_execz .LBB427_135
; %bb.134:                              ;   in Loop: Header=BB427_9 Depth=1
	v_fma_f32 v12, |v11|, s31, v99
	v_fma_f32 v12, |v11|, v12, s33
	;; [unrolled: 1-line block ×6, first 2 shown]
	v_fma_f32 v12, |v11|, v12, |v11|
	v_mul_f32_e32 v13, 0xbfb8aa3b, v12
	v_fma_f32 v14, v12, s38, -v13
	v_rndne_f32_e32 v15, v13
	v_fmac_f32_e32 v14, 0xb2a5705f, v12
	v_sub_f32_e32 v13, v13, v15
	v_add_f32_e32 v13, v13, v14
	v_cvt_i32_f32_e32 v14, v15
	v_exp_f32_e32 v13, v13
	v_cmp_nlt_f32_e32 vcc, s39, v12
	v_ldexp_f32 v13, v13, v14
	s_nop 0
	v_cndmask_b32_e32 v13, 0, v13, vcc
	v_cmp_ngt_f32_e32 vcc, s40, v12
	s_nop 1
	v_cndmask_b32_e32 v12, v100, v13, vcc
	v_sub_f32_e32 v12, 1.0, v12
.LBB427_135:                            ;   in Loop: Header=BB427_9 Depth=1
	s_andn2_saveexec_b64 s[14:15], s[14:15]
	s_cbranch_execz .LBB427_8
; %bb.136:                              ;   in Loop: Header=BB427_9 Depth=1
	v_mul_f32_e32 v12, v11, v11
	v_fmamk_f32 v13, v12, 0xba1345e1, v98
	v_fmaak_f32 v13, v12, v13, 0xbcdac9b8
	v_fmaak_f32 v13, v12, v13, 0x3de703be
	;; [unrolled: 1-line block ×4, first 2 shown]
	v_fma_f32 v12, |v11|, v12, |v11|
	s_branch .LBB427_8
.LBB427_137:
	s_endpgm
	.section	.rodata,"a",@progbits
	.p2align	6, 0x0
	.amdhsa_kernel _ZN5aiter23act_and_mul_bias_kernelIttsfTnPFfRKT2_EXadL_ZNS_11gelu_kernelIfEEfRKT_EELi32EEEvPT0_PS8_PKT1_PS2_il
		.amdhsa_group_segment_fixed_size 0
		.amdhsa_private_segment_fixed_size 0
		.amdhsa_kernarg_size 304
		.amdhsa_user_sgpr_count 2
		.amdhsa_user_sgpr_dispatch_ptr 0
		.amdhsa_user_sgpr_queue_ptr 0
		.amdhsa_user_sgpr_kernarg_segment_ptr 1
		.amdhsa_user_sgpr_dispatch_id 0
		.amdhsa_user_sgpr_kernarg_preload_length 0
		.amdhsa_user_sgpr_kernarg_preload_offset 0
		.amdhsa_user_sgpr_private_segment_size 0
		.amdhsa_uses_dynamic_stack 0
		.amdhsa_enable_private_segment 0
		.amdhsa_system_sgpr_workgroup_id_x 1
		.amdhsa_system_sgpr_workgroup_id_y 0
		.amdhsa_system_sgpr_workgroup_id_z 0
		.amdhsa_system_sgpr_workgroup_info 0
		.amdhsa_system_vgpr_workitem_id 0
		.amdhsa_next_free_vgpr 108
		.amdhsa_next_free_sgpr 46
		.amdhsa_accum_offset 108
		.amdhsa_reserve_vcc 1
		.amdhsa_float_round_mode_32 0
		.amdhsa_float_round_mode_16_64 0
		.amdhsa_float_denorm_mode_32 3
		.amdhsa_float_denorm_mode_16_64 3
		.amdhsa_dx10_clamp 1
		.amdhsa_ieee_mode 1
		.amdhsa_fp16_overflow 0
		.amdhsa_tg_split 0
		.amdhsa_exception_fp_ieee_invalid_op 0
		.amdhsa_exception_fp_denorm_src 0
		.amdhsa_exception_fp_ieee_div_zero 0
		.amdhsa_exception_fp_ieee_overflow 0
		.amdhsa_exception_fp_ieee_underflow 0
		.amdhsa_exception_fp_ieee_inexact 0
		.amdhsa_exception_int_div_zero 0
	.end_amdhsa_kernel
	.section	.text._ZN5aiter23act_and_mul_bias_kernelIttsfTnPFfRKT2_EXadL_ZNS_11gelu_kernelIfEEfRKT_EELi32EEEvPT0_PS8_PKT1_PS2_il,"axG",@progbits,_ZN5aiter23act_and_mul_bias_kernelIttsfTnPFfRKT2_EXadL_ZNS_11gelu_kernelIfEEfRKT_EELi32EEEvPT0_PS8_PKT1_PS2_il,comdat
.Lfunc_end427:
	.size	_ZN5aiter23act_and_mul_bias_kernelIttsfTnPFfRKT2_EXadL_ZNS_11gelu_kernelIfEEfRKT_EELi32EEEvPT0_PS8_PKT1_PS2_il, .Lfunc_end427-_ZN5aiter23act_and_mul_bias_kernelIttsfTnPFfRKT2_EXadL_ZNS_11gelu_kernelIfEEfRKT_EELi32EEEvPT0_PS8_PKT1_PS2_il
                                        ; -- End function
	.section	.AMDGPU.csdata,"",@progbits
; Kernel info:
; codeLenInByte = 9704
; NumSgprs: 52
; NumVgprs: 108
; NumAgprs: 0
; TotalNumVgprs: 108
; ScratchSize: 0
; MemoryBound: 0
; FloatMode: 240
; IeeeMode: 1
; LDSByteSize: 0 bytes/workgroup (compile time only)
; SGPRBlocks: 6
; VGPRBlocks: 13
; NumSGPRsForWavesPerEU: 52
; NumVGPRsForWavesPerEU: 108
; AccumOffset: 108
; Occupancy: 4
; WaveLimiterHint : 0
; COMPUTE_PGM_RSRC2:SCRATCH_EN: 0
; COMPUTE_PGM_RSRC2:USER_SGPR: 2
; COMPUTE_PGM_RSRC2:TRAP_HANDLER: 0
; COMPUTE_PGM_RSRC2:TGID_X_EN: 1
; COMPUTE_PGM_RSRC2:TGID_Y_EN: 0
; COMPUTE_PGM_RSRC2:TGID_Z_EN: 0
; COMPUTE_PGM_RSRC2:TIDIG_COMP_CNT: 0
; COMPUTE_PGM_RSRC3_GFX90A:ACCUM_OFFSET: 26
; COMPUTE_PGM_RSRC3_GFX90A:TG_SPLIT: 0
	.section	.text._ZN5aiter23act_and_mul_bias_kernelIttsfTnPFfRKT2_EXadL_ZNS_11gelu_kernelIfEEfRKT_EELi16EEEvPT0_PS8_PKT1_PS2_il,"axG",@progbits,_ZN5aiter23act_and_mul_bias_kernelIttsfTnPFfRKT2_EXadL_ZNS_11gelu_kernelIfEEfRKT_EELi16EEEvPT0_PS8_PKT1_PS2_il,comdat
	.protected	_ZN5aiter23act_and_mul_bias_kernelIttsfTnPFfRKT2_EXadL_ZNS_11gelu_kernelIfEEfRKT_EELi16EEEvPT0_PS8_PKT1_PS2_il ; -- Begin function _ZN5aiter23act_and_mul_bias_kernelIttsfTnPFfRKT2_EXadL_ZNS_11gelu_kernelIfEEfRKT_EELi16EEEvPT0_PS8_PKT1_PS2_il
	.globl	_ZN5aiter23act_and_mul_bias_kernelIttsfTnPFfRKT2_EXadL_ZNS_11gelu_kernelIfEEfRKT_EELi16EEEvPT0_PS8_PKT1_PS2_il
	.p2align	8
	.type	_ZN5aiter23act_and_mul_bias_kernelIttsfTnPFfRKT2_EXadL_ZNS_11gelu_kernelIfEEfRKT_EELi16EEEvPT0_PS8_PKT1_PS2_il,@function
_ZN5aiter23act_and_mul_bias_kernelIttsfTnPFfRKT2_EXadL_ZNS_11gelu_kernelIfEEfRKT_EELi16EEEvPT0_PS8_PKT1_PS2_il: ; @_ZN5aiter23act_and_mul_bias_kernelIttsfTnPFfRKT2_EXadL_ZNS_11gelu_kernelIfEEfRKT_EELi16EEEvPT0_PS8_PKT1_PS2_il
; %bb.0:
	s_load_dword s24, s[0:1], 0x20
	s_load_dwordx2 s[4:5], s[0:1], 0x10
	s_load_dwordx2 s[6:7], s[0:1], 0x28
	s_mov_b32 s3, 0
	s_lshl_b64 s[8:9], s[2:3], 1
	s_waitcnt lgkmcnt(0)
	s_ashr_i32 s25, s24, 31
	s_add_u32 s4, s4, s8
	s_addc_u32 s5, s5, s9
	v_mov_b32_e32 v1, 0
	global_load_ushort v1, v1, s[4:5]
	s_mul_hi_u32 s3, s24, s2
	v_mov_b64_e32 v[2:3], s[6:7]
	s_mul_i32 s6, s25, s2
	s_add_i32 s7, s24, 1
	s_add_i32 s9, s3, s6
	s_lshr_b32 s3, s7, 31
	s_load_dwordx2 s[4:5], s[0:1], 0x0
	s_add_i32 s7, s7, s3
	s_lshl_b32 s3, s7, 1
	s_mul_i32 s8, s24, s2
	s_and_b32 s6, s3, -4
	s_lshl_b64 s[12:13], s[8:9], 1
	s_mov_b64 s[10:11], -1
	v_lshlrev_b32_e32 v48, 4, v0
	s_waitcnt vmcnt(0)
	v_readfirstlane_b32 s3, v1
	s_sext_i32_i16 s8, s3
	s_ashr_i32 s9, s8, 31
	s_waitcnt lgkmcnt(0)
	s_add_u32 s4, s4, s12
	s_addc_u32 s3, s5, s13
	s_and_b32 s5, s3, 0xffff
	s_cmp_gt_i32 s8, -1
	v_cmp_lt_i64_e32 vcc, s[8:9], v[2:3]
	s_cselect_b64 s[12:13], -1, 0
	s_and_b64 s[12:13], s[12:13], vcc
	s_and_b64 vcc, exec, s[12:13]
	s_cbranch_vccnz .LBB428_5
; %bb.1:
	v_cmp_gt_i32_e32 vcc, s24, v48
	s_and_saveexec_b64 s[10:11], vcc
	s_cbranch_execz .LBB428_4
; %bb.2:
	s_load_dword s3, s[0:1], 0x3c
	s_mov_b32 s13, 0
	s_mov_b32 s16, s13
	;; [unrolled: 1-line block ×3, first 2 shown]
	v_mov_b32_e32 v49, 0
	v_lshlrev_b32_e32 v6, 5, v0
	s_waitcnt lgkmcnt(0)
	s_and_b32 s3, s3, 0xffff
	s_mov_b32 s18, s13
	s_mov_b32 s19, s13
	v_mov_b64_e32 v[0:1], s[16:17]
	s_lshl_b32 s12, s3, 4
	s_lshl_b32 s3, s3, 5
	s_mov_b64 s[14:15], 0
	s_mov_b32 s7, 0x20000
	v_mov_b64_e32 v[2:3], s[18:19]
	v_mov_b64_e32 v[4:5], v[48:49]
.LBB428_3:                              ; =>This Inner Loop Header: Depth=1
	v_lshl_add_u64 v[4:5], s[12:13], 0, v[4:5]
	v_cmp_le_i64_e32 vcc, s[24:25], v[4:5]
	buffer_store_dwordx4 v[0:3], v6, s[4:7], 0 offen
	buffer_store_dwordx4 v[0:3], v6, s[4:7], 16 offen
	s_or_b64 s[14:15], vcc, s[14:15]
	v_add_u32_e32 v6, s3, v6
	s_andn2_b64 exec, exec, s[14:15]
	s_cbranch_execnz .LBB428_3
.LBB428_4:
	s_or_b64 exec, exec, s[10:11]
	s_mov_b64 s[10:11], 0
.LBB428_5:
	s_andn2_b64 vcc, exec, s[10:11]
	s_cbranch_vccnz .LBB428_73
; %bb.6:
	v_cmp_gt_i32_e32 vcc, s24, v48
	s_and_saveexec_b64 s[10:11], vcc
	s_cbranch_execz .LBB428_73
; %bb.7:
	s_load_dwordx2 s[10:11], s[0:1], 0x18
	s_load_dwordx2 s[14:15], s[0:1], 0x8
	s_mul_hi_i32 s9, s24, s8
	s_mul_i32 s8, s24, s8
	s_lshl_b64 s[8:9], s[8:9], 3
	s_waitcnt lgkmcnt(0)
	s_add_u32 s8, s10, s8
	s_addc_u32 s3, s11, s9
	s_lshl_b64 s[10:11], s[24:25], 2
	s_add_u32 s12, s8, s10
	s_addc_u32 s13, s3, s11
	s_and_b32 s9, s3, 0xffff
	s_mul_i32 s3, s2, s25
	s_mul_hi_u32 s16, s2, s24
	s_add_i32 s3, s16, s3
	s_mul_i32 s2, s2, s24
	s_lshl_b32 s10, s24, 2
	s_and_b32 s13, s13, 0xffff
	s_lshl_b64 s[2:3], s[2:3], 2
	s_add_u32 s16, s14, s2
	s_addc_u32 s14, s15, s3
	s_lshl_b64 s[2:3], s[24:25], 1
	s_add_u32 s20, s16, s2
	s_addc_u32 s2, s14, s3
	s_and_b32 s17, s14, 0xffff
	s_and_b32 s21, s2, 0xffff
	s_mov_b32 s7, 0x20000
	s_add_u32 s0, s0, 48
	s_mov_b32 s11, s7
	s_mov_b64 s[22:23], s[6:7]
	v_mov_b32_e32 v49, 0
	s_addc_u32 s1, s1, 0
	s_mov_b64 s[2:3], 0
	s_mov_b32 s18, s6
	s_mov_b32 s19, s7
	;; [unrolled: 1-line block ×12, first 2 shown]
	v_mov_b32_e32 v50, 0x3ba10414
	s_brev_b32 s38, -2
	s_mov_b32 s39, 0x7060302
	v_mov_b32_e32 v51, 0xb9c68948
	v_mov_b32_e32 v52, 0x7f800000
                                        ; implicit-def: $vgpr0
                                        ; implicit-def: $vgpr0
	;; [unrolled: 1-line block ×4, first 2 shown]
	s_branch .LBB428_9
.LBB428_8:                              ;   in Loop: Header=BB428_9 Depth=1
	s_or_b64 exec, exec, s[14:15]
	v_bfi_b32 v8, s38, v9, v8
	v_mul_f32_e32 v2, 0.5, v2
	v_add_f32_e32 v8, 1.0, v8
	v_mul_f32_e32 v2, v2, v8
	v_and_b32_e32 v8, 0xffff0000, v3
	v_add_f32_e32 v7, v7, v8
	v_lshlrev_b32_e32 v3, 16, v3
	v_bfi_b32 v8, s38, v12, v11
	v_add_f32_e32 v6, v6, v3
	v_mul_f32_e32 v3, 0.5, v10
	v_add_f32_e32 v8, 1.0, v8
	v_mul_f32_e32 v3, v3, v8
	;;#ASMSTART
	v_pk_mul_f32 v[2:3], v[2:3], v[6:7]
	;;#ASMEND
	s_load_dword s14, s[0:1], 0xc
	v_perm_b32 v9, v27, v26, s39
	v_perm_b32 v8, v29, v28, s39
	;; [unrolled: 1-line block ×4, first 2 shown]
	s_waitcnt lgkmcnt(0)
	s_and_b32 s14, s14, 0xffff
	s_lshl_b32 s26, s14, 4
	v_lshl_add_u64 v[48:49], s[26:27], 0, v[48:49]
	v_cmp_le_i64_e32 vcc, s[24:25], v[48:49]
	v_perm_b32 v3, v3, v2, s39
	v_perm_b32 v2, v5, v4, s39
	;; [unrolled: 1-line block ×4, first 2 shown]
	s_or_b64 s[2:3], vcc, s[2:3]
	buffer_store_dwordx4 v[6:9], v53, s[4:7], 0 offen
	buffer_store_dwordx4 v[0:3], v53, s[4:7], 16 offen
	s_andn2_b64 exec, exec, s[2:3]
	s_cbranch_execz .LBB428_73
.LBB428_9:                              ; =>This Inner Loop Header: Depth=1
	v_lshlrev_b32_e32 v53, 1, v48
	v_lshlrev_b32_e32 v54, 2, v48
	s_mov_b32 s14, s10
	s_mov_b32 s15, s11
	buffer_load_dwordx4 v[32:35], v53, s[16:19], 0 offen
	buffer_load_dwordx4 v[8:11], v53, s[16:19], 16 offen
	;; [unrolled: 1-line block ×12, first 2 shown]
                                        ; implicit-def: $vgpr55
	s_waitcnt vmcnt(11)
	v_lshlrev_b32_e32 v54, 16, v32
	s_waitcnt vmcnt(7)
	v_add_f32_e32 v44, v44, v54
	v_mul_f32_e32 v54, 0x3f3504f3, v44
	v_cmp_nlt_f32_e64 s[14:15], |v54|, 1.0
	s_and_saveexec_b64 s[40:41], s[14:15]
	s_xor_b64 s[14:15], exec, s[40:41]
	s_cbranch_execz .LBB428_11
; %bb.10:                               ;   in Loop: Header=BB428_9 Depth=1
	v_fma_f32 v55, |v54|, s28, v51
	v_fma_f32 v55, |v54|, v55, s29
	;; [unrolled: 1-line block ×6, first 2 shown]
	v_fma_f32 v55, |v54|, v55, |v54|
	v_mul_f32_e32 v56, 0xbfb8aa3b, v55
	v_fma_f32 v57, v55, s35, -v56
	v_rndne_f32_e32 v58, v56
	v_fmac_f32_e32 v57, 0xb2a5705f, v55
	v_sub_f32_e32 v56, v56, v58
	v_add_f32_e32 v56, v56, v57
	v_cvt_i32_f32_e32 v57, v58
	v_exp_f32_e32 v56, v56
	v_cmp_nlt_f32_e32 vcc, s36, v55
	v_ldexp_f32 v56, v56, v57
	s_nop 0
	v_cndmask_b32_e32 v56, 0, v56, vcc
	v_cmp_ngt_f32_e32 vcc, s37, v55
	s_nop 1
	v_cndmask_b32_e32 v55, v52, v56, vcc
	v_sub_f32_e32 v55, 1.0, v55
.LBB428_11:                             ;   in Loop: Header=BB428_9 Depth=1
	s_andn2_saveexec_b64 s[14:15], s[14:15]
; %bb.12:                               ;   in Loop: Header=BB428_9 Depth=1
	v_mul_f32_e32 v55, v54, v54
	v_fmamk_f32 v56, v55, 0xba1345e1, v50
	v_fmaak_f32 v56, v55, v56, 0xbcdac9b8
	v_fmaak_f32 v56, v55, v56, 0x3de703be
	;; [unrolled: 1-line block ×4, first 2 shown]
	v_fma_f32 v55, |v54|, v55, |v54|
; %bb.13:                               ;   in Loop: Header=BB428_9 Depth=1
	s_or_b64 exec, exec, s[14:15]
	v_and_b32_e32 v32, 0xffff0000, v32
	v_add_f32_e32 v32, v45, v32
	v_mul_f32_e32 v45, 0x3f3504f3, v32
	v_cmp_nlt_f32_e64 s[14:15], |v45|, 1.0
                                        ; implicit-def: $vgpr56
	s_and_saveexec_b64 s[40:41], s[14:15]
	s_xor_b64 s[14:15], exec, s[40:41]
	s_cbranch_execz .LBB428_15
; %bb.14:                               ;   in Loop: Header=BB428_9 Depth=1
	v_fma_f32 v56, |v45|, s28, v51
	v_fma_f32 v56, |v45|, v56, s29
	;; [unrolled: 1-line block ×6, first 2 shown]
	v_fma_f32 v56, |v45|, v56, |v45|
	v_mul_f32_e32 v57, 0xbfb8aa3b, v56
	v_fma_f32 v58, v56, s35, -v57
	v_rndne_f32_e32 v59, v57
	v_fmac_f32_e32 v58, 0xb2a5705f, v56
	v_sub_f32_e32 v57, v57, v59
	v_add_f32_e32 v57, v57, v58
	v_cvt_i32_f32_e32 v58, v59
	v_exp_f32_e32 v57, v57
	v_cmp_nlt_f32_e32 vcc, s36, v56
	v_ldexp_f32 v57, v57, v58
	s_nop 0
	v_cndmask_b32_e32 v57, 0, v57, vcc
	v_cmp_ngt_f32_e32 vcc, s37, v56
	s_nop 1
	v_cndmask_b32_e32 v56, v52, v57, vcc
	v_sub_f32_e32 v56, 1.0, v56
.LBB428_15:                             ;   in Loop: Header=BB428_9 Depth=1
	s_andn2_saveexec_b64 s[14:15], s[14:15]
; %bb.16:                               ;   in Loop: Header=BB428_9 Depth=1
	v_mul_f32_e32 v56, v45, v45
	v_fmamk_f32 v57, v56, 0xba1345e1, v50
	v_fmaak_f32 v57, v56, v57, 0xbcdac9b8
	v_fmaak_f32 v57, v56, v57, 0x3de703be
	v_fmaak_f32 v57, v56, v57, 0xbec09330
	v_fmaak_f32 v56, v56, v57, 0x3e0375d0
	v_fma_f32 v56, |v45|, v56, |v45|
; %bb.17:                               ;   in Loop: Header=BB428_9 Depth=1
	s_or_b64 exec, exec, s[14:15]
	v_bfi_b32 v54, s38, v55, v54
	v_mul_f32_e32 v44, 0.5, v44
	v_add_f32_e32 v54, 1.0, v54
	v_mul_f32_e32 v44, v44, v54
	v_and_b32_e32 v54, 0xffff0000, v24
	v_lshlrev_b32_e32 v24, 16, v24
	s_waitcnt vmcnt(3)
	v_add_f32_e32 v40, v40, v24
	v_mul_f32_e32 v24, 0.5, v32
	v_bfi_b32 v32, s38, v56, v45
	v_add_f32_e32 v32, 1.0, v32
	v_mul_f32_e32 v45, v24, v32
	v_lshlrev_b32_e32 v24, 16, v33
	v_add_f32_e32 v24, v46, v24
	v_mul_f32_e32 v32, 0x3f3504f3, v24
	v_add_f32_e32 v41, v41, v54
	v_cmp_nlt_f32_e64 s[14:15], |v32|, 1.0
	;;#ASMSTART
	v_pk_mul_f32 v[40:41], v[44:45], v[40:41]
	;;#ASMEND
                                        ; implicit-def: $vgpr44
	s_and_saveexec_b64 s[40:41], s[14:15]
	s_xor_b64 s[14:15], exec, s[40:41]
	s_cbranch_execz .LBB428_19
; %bb.18:                               ;   in Loop: Header=BB428_9 Depth=1
	v_fma_f32 v44, |v32|, s28, v51
	v_fma_f32 v44, |v32|, v44, s29
	;; [unrolled: 1-line block ×6, first 2 shown]
	v_fma_f32 v44, |v32|, v44, |v32|
	v_mul_f32_e32 v45, 0xbfb8aa3b, v44
	v_fma_f32 v46, v44, s35, -v45
	v_rndne_f32_e32 v54, v45
	v_fmac_f32_e32 v46, 0xb2a5705f, v44
	v_sub_f32_e32 v45, v45, v54
	v_add_f32_e32 v45, v45, v46
	v_cvt_i32_f32_e32 v46, v54
	v_exp_f32_e32 v45, v45
	v_cmp_nlt_f32_e32 vcc, s36, v44
	v_ldexp_f32 v45, v45, v46
	s_nop 0
	v_cndmask_b32_e32 v45, 0, v45, vcc
	v_cmp_ngt_f32_e32 vcc, s37, v44
	s_nop 1
	v_cndmask_b32_e32 v44, v52, v45, vcc
	v_sub_f32_e32 v44, 1.0, v44
.LBB428_19:                             ;   in Loop: Header=BB428_9 Depth=1
	s_andn2_saveexec_b64 s[14:15], s[14:15]
; %bb.20:                               ;   in Loop: Header=BB428_9 Depth=1
	v_mul_f32_e32 v44, v32, v32
	v_fmamk_f32 v45, v44, 0xba1345e1, v50
	v_fmaak_f32 v45, v44, v45, 0xbcdac9b8
	v_fmaak_f32 v45, v44, v45, 0x3de703be
	;; [unrolled: 1-line block ×4, first 2 shown]
	v_fma_f32 v44, |v32|, v44, |v32|
; %bb.21:                               ;   in Loop: Header=BB428_9 Depth=1
	s_or_b64 exec, exec, s[14:15]
	v_and_b32_e32 v33, 0xffff0000, v33
	v_add_f32_e32 v33, v47, v33
	v_mul_f32_e32 v45, 0x3f3504f3, v33
	v_cmp_nlt_f32_e64 s[14:15], |v45|, 1.0
                                        ; implicit-def: $vgpr46
	s_and_saveexec_b64 s[40:41], s[14:15]
	s_xor_b64 s[14:15], exec, s[40:41]
	s_cbranch_execz .LBB428_23
; %bb.22:                               ;   in Loop: Header=BB428_9 Depth=1
	v_fma_f32 v46, |v45|, s28, v51
	v_fma_f32 v46, |v45|, v46, s29
	;; [unrolled: 1-line block ×6, first 2 shown]
	v_fma_f32 v46, |v45|, v46, |v45|
	v_mul_f32_e32 v47, 0xbfb8aa3b, v46
	v_fma_f32 v54, v46, s35, -v47
	v_rndne_f32_e32 v55, v47
	v_fmac_f32_e32 v54, 0xb2a5705f, v46
	v_sub_f32_e32 v47, v47, v55
	v_add_f32_e32 v47, v47, v54
	v_cvt_i32_f32_e32 v54, v55
	v_exp_f32_e32 v47, v47
	v_cmp_nlt_f32_e32 vcc, s36, v46
	v_ldexp_f32 v47, v47, v54
	s_nop 0
	v_cndmask_b32_e32 v47, 0, v47, vcc
	v_cmp_ngt_f32_e32 vcc, s37, v46
	s_nop 1
	v_cndmask_b32_e32 v46, v52, v47, vcc
	v_sub_f32_e32 v46, 1.0, v46
.LBB428_23:                             ;   in Loop: Header=BB428_9 Depth=1
	s_andn2_saveexec_b64 s[14:15], s[14:15]
; %bb.24:                               ;   in Loop: Header=BB428_9 Depth=1
	v_mul_f32_e32 v46, v45, v45
	v_fmamk_f32 v47, v46, 0xba1345e1, v50
	v_fmaak_f32 v47, v46, v47, 0xbcdac9b8
	v_fmaak_f32 v47, v46, v47, 0x3de703be
	;; [unrolled: 1-line block ×4, first 2 shown]
	v_fma_f32 v46, |v45|, v46, |v45|
; %bb.25:                               ;   in Loop: Header=BB428_9 Depth=1
	s_or_b64 exec, exec, s[14:15]
	v_bfi_b32 v32, s38, v44, v32
	v_mul_f32_e32 v24, 0.5, v24
	v_add_f32_e32 v32, 1.0, v32
	v_mul_f32_e32 v24, v24, v32
	v_and_b32_e32 v32, 0xffff0000, v25
	v_add_f32_e32 v43, v43, v32
	v_lshlrev_b32_e32 v25, 16, v25
	v_bfi_b32 v32, s38, v46, v45
	v_add_f32_e32 v42, v42, v25
	v_mul_f32_e32 v25, 0.5, v33
	v_add_f32_e32 v32, 1.0, v32
	v_mul_f32_e32 v25, v25, v32
	v_lshlrev_b32_e32 v32, 16, v34
	v_add_f32_e32 v32, v36, v32
	v_mul_f32_e32 v33, 0x3f3504f3, v32
	v_cmp_nlt_f32_e64 s[14:15], |v33|, 1.0
	;;#ASMSTART
	v_pk_mul_f32 v[24:25], v[24:25], v[42:43]
	;;#ASMEND
                                        ; implicit-def: $vgpr36
	s_and_saveexec_b64 s[40:41], s[14:15]
	s_xor_b64 s[14:15], exec, s[40:41]
	s_cbranch_execz .LBB428_27
; %bb.26:                               ;   in Loop: Header=BB428_9 Depth=1
	v_fma_f32 v36, |v33|, s28, v51
	v_fma_f32 v36, |v33|, v36, s29
	;; [unrolled: 1-line block ×6, first 2 shown]
	v_fma_f32 v36, |v33|, v36, |v33|
	v_mul_f32_e32 v42, 0xbfb8aa3b, v36
	v_fma_f32 v43, v36, s35, -v42
	v_rndne_f32_e32 v44, v42
	v_fmac_f32_e32 v43, 0xb2a5705f, v36
	v_sub_f32_e32 v42, v42, v44
	v_add_f32_e32 v42, v42, v43
	v_cvt_i32_f32_e32 v43, v44
	v_exp_f32_e32 v42, v42
	v_cmp_nlt_f32_e32 vcc, s36, v36
	v_ldexp_f32 v42, v42, v43
	s_nop 0
	v_cndmask_b32_e32 v42, 0, v42, vcc
	v_cmp_ngt_f32_e32 vcc, s37, v36
	s_nop 1
	v_cndmask_b32_e32 v36, v52, v42, vcc
	v_sub_f32_e32 v36, 1.0, v36
.LBB428_27:                             ;   in Loop: Header=BB428_9 Depth=1
	s_andn2_saveexec_b64 s[14:15], s[14:15]
; %bb.28:                               ;   in Loop: Header=BB428_9 Depth=1
	v_mul_f32_e32 v36, v33, v33
	v_fmamk_f32 v42, v36, 0xba1345e1, v50
	v_fmaak_f32 v42, v36, v42, 0xbcdac9b8
	v_fmaak_f32 v42, v36, v42, 0x3de703be
	;; [unrolled: 1-line block ×4, first 2 shown]
	v_fma_f32 v36, |v33|, v36, |v33|
; %bb.29:                               ;   in Loop: Header=BB428_9 Depth=1
	s_or_b64 exec, exec, s[14:15]
	v_and_b32_e32 v34, 0xffff0000, v34
	v_add_f32_e32 v34, v37, v34
	v_mul_f32_e32 v37, 0x3f3504f3, v34
	v_cmp_nlt_f32_e64 s[14:15], |v37|, 1.0
                                        ; implicit-def: $vgpr42
	s_and_saveexec_b64 s[40:41], s[14:15]
	s_xor_b64 s[14:15], exec, s[40:41]
	s_cbranch_execz .LBB428_31
; %bb.30:                               ;   in Loop: Header=BB428_9 Depth=1
	v_fma_f32 v42, |v37|, s28, v51
	v_fma_f32 v42, |v37|, v42, s29
	;; [unrolled: 1-line block ×6, first 2 shown]
	v_fma_f32 v42, |v37|, v42, |v37|
	v_mul_f32_e32 v43, 0xbfb8aa3b, v42
	v_fma_f32 v44, v42, s35, -v43
	v_rndne_f32_e32 v45, v43
	v_fmac_f32_e32 v44, 0xb2a5705f, v42
	v_sub_f32_e32 v43, v43, v45
	v_add_f32_e32 v43, v43, v44
	v_cvt_i32_f32_e32 v44, v45
	v_exp_f32_e32 v43, v43
	v_cmp_nlt_f32_e32 vcc, s36, v42
	v_ldexp_f32 v43, v43, v44
	s_nop 0
	v_cndmask_b32_e32 v43, 0, v43, vcc
	v_cmp_ngt_f32_e32 vcc, s37, v42
	s_nop 1
	v_cndmask_b32_e32 v42, v52, v43, vcc
	v_sub_f32_e32 v42, 1.0, v42
.LBB428_31:                             ;   in Loop: Header=BB428_9 Depth=1
	s_andn2_saveexec_b64 s[14:15], s[14:15]
; %bb.32:                               ;   in Loop: Header=BB428_9 Depth=1
	v_mul_f32_e32 v42, v37, v37
	v_fmamk_f32 v43, v42, 0xba1345e1, v50
	v_fmaak_f32 v43, v42, v43, 0xbcdac9b8
	v_fmaak_f32 v43, v42, v43, 0x3de703be
	v_fmaak_f32 v43, v42, v43, 0xbec09330
	v_fmaak_f32 v42, v42, v43, 0x3e0375d0
	v_fma_f32 v42, |v37|, v42, |v37|
; %bb.33:                               ;   in Loop: Header=BB428_9 Depth=1
	s_or_b64 exec, exec, s[14:15]
	v_bfi_b32 v33, s38, v36, v33
	v_mul_f32_e32 v32, 0.5, v32
	v_add_f32_e32 v33, 1.0, v33
	v_mul_f32_e32 v32, v32, v33
	v_and_b32_e32 v33, 0xffff0000, v26
	s_waitcnt vmcnt(2)
	v_add_f32_e32 v29, v29, v33
	v_lshlrev_b32_e32 v26, 16, v26
	v_bfi_b32 v33, s38, v42, v37
	v_add_f32_e32 v28, v28, v26
	v_mul_f32_e32 v26, 0.5, v34
	v_add_f32_e32 v33, 1.0, v33
	v_mul_f32_e32 v33, v26, v33
	v_lshlrev_b32_e32 v26, 16, v35
	v_add_f32_e32 v26, v38, v26
	;;#ASMSTART
	v_pk_mul_f32 v[28:29], v[32:33], v[28:29]
	;;#ASMEND
	v_mul_f32_e32 v32, 0x3f3504f3, v26
	v_cmp_nlt_f32_e64 s[14:15], |v32|, 1.0
                                        ; implicit-def: $vgpr33
	s_and_saveexec_b64 s[40:41], s[14:15]
	s_xor_b64 s[14:15], exec, s[40:41]
	s_cbranch_execz .LBB428_35
; %bb.34:                               ;   in Loop: Header=BB428_9 Depth=1
	v_fma_f32 v33, |v32|, s28, v51
	v_fma_f32 v33, |v32|, v33, s29
	;; [unrolled: 1-line block ×6, first 2 shown]
	v_fma_f32 v33, |v32|, v33, |v32|
	v_mul_f32_e32 v34, 0xbfb8aa3b, v33
	v_fma_f32 v36, v33, s35, -v34
	v_rndne_f32_e32 v37, v34
	v_fmac_f32_e32 v36, 0xb2a5705f, v33
	v_sub_f32_e32 v34, v34, v37
	v_add_f32_e32 v34, v34, v36
	v_cvt_i32_f32_e32 v36, v37
	v_exp_f32_e32 v34, v34
	v_cmp_nlt_f32_e32 vcc, s36, v33
	v_ldexp_f32 v34, v34, v36
	s_nop 0
	v_cndmask_b32_e32 v34, 0, v34, vcc
	v_cmp_ngt_f32_e32 vcc, s37, v33
	s_nop 1
	v_cndmask_b32_e32 v33, v52, v34, vcc
	v_sub_f32_e32 v33, 1.0, v33
.LBB428_35:                             ;   in Loop: Header=BB428_9 Depth=1
	s_andn2_saveexec_b64 s[14:15], s[14:15]
; %bb.36:                               ;   in Loop: Header=BB428_9 Depth=1
	v_mul_f32_e32 v33, v32, v32
	v_fmamk_f32 v34, v33, 0xba1345e1, v50
	v_fmaak_f32 v34, v33, v34, 0xbcdac9b8
	v_fmaak_f32 v34, v33, v34, 0x3de703be
	v_fmaak_f32 v34, v33, v34, 0xbec09330
	v_fmaak_f32 v33, v33, v34, 0x3e0375d0
	v_fma_f32 v33, |v32|, v33, |v32|
; %bb.37:                               ;   in Loop: Header=BB428_9 Depth=1
	s_or_b64 exec, exec, s[14:15]
	v_and_b32_e32 v34, 0xffff0000, v35
	v_add_f32_e32 v34, v39, v34
	v_mul_f32_e32 v35, 0x3f3504f3, v34
	v_cmp_nlt_f32_e64 s[14:15], |v35|, 1.0
                                        ; implicit-def: $vgpr36
	s_and_saveexec_b64 s[40:41], s[14:15]
	s_xor_b64 s[14:15], exec, s[40:41]
	s_cbranch_execz .LBB428_39
; %bb.38:                               ;   in Loop: Header=BB428_9 Depth=1
	v_fma_f32 v36, |v35|, s28, v51
	v_fma_f32 v36, |v35|, v36, s29
	;; [unrolled: 1-line block ×6, first 2 shown]
	v_fma_f32 v36, |v35|, v36, |v35|
	v_mul_f32_e32 v37, 0xbfb8aa3b, v36
	v_fma_f32 v38, v36, s35, -v37
	v_rndne_f32_e32 v39, v37
	v_fmac_f32_e32 v38, 0xb2a5705f, v36
	v_sub_f32_e32 v37, v37, v39
	v_add_f32_e32 v37, v37, v38
	v_cvt_i32_f32_e32 v38, v39
	v_exp_f32_e32 v37, v37
	v_cmp_nlt_f32_e32 vcc, s36, v36
	v_ldexp_f32 v37, v37, v38
	s_nop 0
	v_cndmask_b32_e32 v37, 0, v37, vcc
	v_cmp_ngt_f32_e32 vcc, s37, v36
	s_nop 1
	v_cndmask_b32_e32 v36, v52, v37, vcc
	v_sub_f32_e32 v36, 1.0, v36
.LBB428_39:                             ;   in Loop: Header=BB428_9 Depth=1
	s_andn2_saveexec_b64 s[14:15], s[14:15]
; %bb.40:                               ;   in Loop: Header=BB428_9 Depth=1
	v_mul_f32_e32 v36, v35, v35
	v_fmamk_f32 v37, v36, 0xba1345e1, v50
	v_fmaak_f32 v37, v36, v37, 0xbcdac9b8
	v_fmaak_f32 v37, v36, v37, 0x3de703be
	;; [unrolled: 1-line block ×4, first 2 shown]
	v_fma_f32 v36, |v35|, v36, |v35|
; %bb.41:                               ;   in Loop: Header=BB428_9 Depth=1
	s_or_b64 exec, exec, s[14:15]
	v_bfi_b32 v32, s38, v33, v32
	v_mul_f32_e32 v26, 0.5, v26
	v_add_f32_e32 v32, 1.0, v32
	v_mul_f32_e32 v26, v26, v32
	v_and_b32_e32 v32, 0xffff0000, v27
	v_add_f32_e32 v31, v31, v32
	v_lshlrev_b32_e32 v27, 16, v27
	v_bfi_b32 v32, s38, v36, v35
	v_add_f32_e32 v30, v30, v27
	v_mul_f32_e32 v27, 0.5, v34
	v_add_f32_e32 v32, 1.0, v32
	v_mul_f32_e32 v27, v27, v32
	;;#ASMSTART
	v_pk_mul_f32 v[26:27], v[26:27], v[30:31]
	;;#ASMEND
	v_lshlrev_b32_e32 v30, 16, v8
	v_add_f32_e32 v20, v20, v30
	v_mul_f32_e32 v30, 0x3f3504f3, v20
	v_cmp_nlt_f32_e64 s[14:15], |v30|, 1.0
                                        ; implicit-def: $vgpr31
	s_and_saveexec_b64 s[40:41], s[14:15]
	s_xor_b64 s[14:15], exec, s[40:41]
	s_cbranch_execz .LBB428_43
; %bb.42:                               ;   in Loop: Header=BB428_9 Depth=1
	v_fma_f32 v31, |v30|, s28, v51
	v_fma_f32 v31, |v30|, v31, s29
	v_fma_f32 v31, |v30|, v31, s30
	v_fma_f32 v31, |v30|, v31, s31
	v_fma_f32 v31, |v30|, v31, s33
	v_fma_f32 v31, |v30|, v31, s34
	v_fma_f32 v31, |v30|, v31, |v30|
	v_mul_f32_e32 v32, 0xbfb8aa3b, v31
	v_fma_f32 v33, v31, s35, -v32
	v_rndne_f32_e32 v34, v32
	v_fmac_f32_e32 v33, 0xb2a5705f, v31
	v_sub_f32_e32 v32, v32, v34
	v_add_f32_e32 v32, v32, v33
	v_cvt_i32_f32_e32 v33, v34
	v_exp_f32_e32 v32, v32
	v_cmp_nlt_f32_e32 vcc, s36, v31
	v_ldexp_f32 v32, v32, v33
	s_nop 0
	v_cndmask_b32_e32 v32, 0, v32, vcc
	v_cmp_ngt_f32_e32 vcc, s37, v31
	s_nop 1
	v_cndmask_b32_e32 v31, v52, v32, vcc
	v_sub_f32_e32 v31, 1.0, v31
.LBB428_43:                             ;   in Loop: Header=BB428_9 Depth=1
	s_andn2_saveexec_b64 s[14:15], s[14:15]
; %bb.44:                               ;   in Loop: Header=BB428_9 Depth=1
	v_mul_f32_e32 v31, v30, v30
	v_fmamk_f32 v32, v31, 0xba1345e1, v50
	v_fmaak_f32 v32, v31, v32, 0xbcdac9b8
	v_fmaak_f32 v32, v31, v32, 0x3de703be
	;; [unrolled: 1-line block ×4, first 2 shown]
	v_fma_f32 v31, |v30|, v31, |v30|
; %bb.45:                               ;   in Loop: Header=BB428_9 Depth=1
	s_or_b64 exec, exec, s[14:15]
	v_and_b32_e32 v8, 0xffff0000, v8
	v_add_f32_e32 v8, v21, v8
	v_mul_f32_e32 v21, 0x3f3504f3, v8
	v_cmp_nlt_f32_e64 s[14:15], |v21|, 1.0
                                        ; implicit-def: $vgpr32
	s_and_saveexec_b64 s[40:41], s[14:15]
	s_xor_b64 s[14:15], exec, s[40:41]
	s_cbranch_execz .LBB428_47
; %bb.46:                               ;   in Loop: Header=BB428_9 Depth=1
	v_fma_f32 v32, |v21|, s28, v51
	v_fma_f32 v32, |v21|, v32, s29
	;; [unrolled: 1-line block ×6, first 2 shown]
	v_fma_f32 v32, |v21|, v32, |v21|
	v_mul_f32_e32 v33, 0xbfb8aa3b, v32
	v_fma_f32 v34, v32, s35, -v33
	v_rndne_f32_e32 v35, v33
	v_fmac_f32_e32 v34, 0xb2a5705f, v32
	v_sub_f32_e32 v33, v33, v35
	v_add_f32_e32 v33, v33, v34
	v_cvt_i32_f32_e32 v34, v35
	v_exp_f32_e32 v33, v33
	v_cmp_nlt_f32_e32 vcc, s36, v32
	v_ldexp_f32 v33, v33, v34
	s_nop 0
	v_cndmask_b32_e32 v33, 0, v33, vcc
	v_cmp_ngt_f32_e32 vcc, s37, v32
	s_nop 1
	v_cndmask_b32_e32 v32, v52, v33, vcc
	v_sub_f32_e32 v32, 1.0, v32
.LBB428_47:                             ;   in Loop: Header=BB428_9 Depth=1
	s_andn2_saveexec_b64 s[14:15], s[14:15]
; %bb.48:                               ;   in Loop: Header=BB428_9 Depth=1
	v_mul_f32_e32 v32, v21, v21
	v_fmamk_f32 v33, v32, 0xba1345e1, v50
	v_fmaak_f32 v33, v32, v33, 0xbcdac9b8
	v_fmaak_f32 v33, v32, v33, 0x3de703be
	v_fmaak_f32 v33, v32, v33, 0xbec09330
	v_fmaak_f32 v32, v32, v33, 0x3e0375d0
	v_fma_f32 v32, |v21|, v32, |v21|
; %bb.49:                               ;   in Loop: Header=BB428_9 Depth=1
	s_or_b64 exec, exec, s[14:15]
	v_bfi_b32 v30, s38, v31, v30
	v_mul_f32_e32 v20, 0.5, v20
	v_add_f32_e32 v30, 1.0, v30
	v_mul_f32_e32 v20, v20, v30
	v_and_b32_e32 v30, 0xffff0000, v0
	v_lshlrev_b32_e32 v0, 16, v0
	s_waitcnt vmcnt(1)
	v_add_f32_e32 v16, v16, v0
	v_mul_f32_e32 v0, 0.5, v8
	v_bfi_b32 v8, s38, v32, v21
	v_add_f32_e32 v8, 1.0, v8
	v_mul_f32_e32 v21, v0, v8
	v_lshlrev_b32_e32 v0, 16, v9
	v_add_f32_e32 v0, v22, v0
	v_mul_f32_e32 v8, 0x3f3504f3, v0
	v_add_f32_e32 v17, v17, v30
	v_cmp_nlt_f32_e64 s[14:15], |v8|, 1.0
	;;#ASMSTART
	v_pk_mul_f32 v[16:17], v[20:21], v[16:17]
	;;#ASMEND
                                        ; implicit-def: $vgpr20
	s_and_saveexec_b64 s[40:41], s[14:15]
	s_xor_b64 s[14:15], exec, s[40:41]
	s_cbranch_execz .LBB428_51
; %bb.50:                               ;   in Loop: Header=BB428_9 Depth=1
	v_fma_f32 v20, |v8|, s28, v51
	v_fma_f32 v20, |v8|, v20, s29
	;; [unrolled: 1-line block ×6, first 2 shown]
	v_fma_f32 v20, |v8|, v20, |v8|
	v_mul_f32_e32 v21, 0xbfb8aa3b, v20
	v_fma_f32 v22, v20, s35, -v21
	v_rndne_f32_e32 v30, v21
	v_fmac_f32_e32 v22, 0xb2a5705f, v20
	v_sub_f32_e32 v21, v21, v30
	v_add_f32_e32 v21, v21, v22
	v_cvt_i32_f32_e32 v22, v30
	v_exp_f32_e32 v21, v21
	v_cmp_nlt_f32_e32 vcc, s36, v20
	v_ldexp_f32 v21, v21, v22
	s_nop 0
	v_cndmask_b32_e32 v21, 0, v21, vcc
	v_cmp_ngt_f32_e32 vcc, s37, v20
	s_nop 1
	v_cndmask_b32_e32 v20, v52, v21, vcc
	v_sub_f32_e32 v20, 1.0, v20
.LBB428_51:                             ;   in Loop: Header=BB428_9 Depth=1
	s_andn2_saveexec_b64 s[14:15], s[14:15]
; %bb.52:                               ;   in Loop: Header=BB428_9 Depth=1
	v_mul_f32_e32 v20, v8, v8
	v_fmamk_f32 v21, v20, 0xba1345e1, v50
	v_fmaak_f32 v21, v20, v21, 0xbcdac9b8
	v_fmaak_f32 v21, v20, v21, 0x3de703be
	;; [unrolled: 1-line block ×4, first 2 shown]
	v_fma_f32 v20, |v8|, v20, |v8|
; %bb.53:                               ;   in Loop: Header=BB428_9 Depth=1
	s_or_b64 exec, exec, s[14:15]
	v_and_b32_e32 v9, 0xffff0000, v9
	v_add_f32_e32 v9, v23, v9
	v_mul_f32_e32 v21, 0x3f3504f3, v9
	v_cmp_nlt_f32_e64 s[14:15], |v21|, 1.0
                                        ; implicit-def: $vgpr22
	s_and_saveexec_b64 s[40:41], s[14:15]
	s_xor_b64 s[14:15], exec, s[40:41]
	s_cbranch_execz .LBB428_55
; %bb.54:                               ;   in Loop: Header=BB428_9 Depth=1
	v_fma_f32 v22, |v21|, s28, v51
	v_fma_f32 v22, |v21|, v22, s29
	;; [unrolled: 1-line block ×6, first 2 shown]
	v_fma_f32 v22, |v21|, v22, |v21|
	v_mul_f32_e32 v23, 0xbfb8aa3b, v22
	v_fma_f32 v30, v22, s35, -v23
	v_rndne_f32_e32 v31, v23
	v_fmac_f32_e32 v30, 0xb2a5705f, v22
	v_sub_f32_e32 v23, v23, v31
	v_add_f32_e32 v23, v23, v30
	v_cvt_i32_f32_e32 v30, v31
	v_exp_f32_e32 v23, v23
	v_cmp_nlt_f32_e32 vcc, s36, v22
	v_ldexp_f32 v23, v23, v30
	s_nop 0
	v_cndmask_b32_e32 v23, 0, v23, vcc
	v_cmp_ngt_f32_e32 vcc, s37, v22
	s_nop 1
	v_cndmask_b32_e32 v22, v52, v23, vcc
	v_sub_f32_e32 v22, 1.0, v22
.LBB428_55:                             ;   in Loop: Header=BB428_9 Depth=1
	s_andn2_saveexec_b64 s[14:15], s[14:15]
; %bb.56:                               ;   in Loop: Header=BB428_9 Depth=1
	v_mul_f32_e32 v22, v21, v21
	v_fmamk_f32 v23, v22, 0xba1345e1, v50
	v_fmaak_f32 v23, v22, v23, 0xbcdac9b8
	v_fmaak_f32 v23, v22, v23, 0x3de703be
	;; [unrolled: 1-line block ×4, first 2 shown]
	v_fma_f32 v22, |v21|, v22, |v21|
; %bb.57:                               ;   in Loop: Header=BB428_9 Depth=1
	s_or_b64 exec, exec, s[14:15]
	v_bfi_b32 v8, s38, v20, v8
	v_mul_f32_e32 v0, 0.5, v0
	v_add_f32_e32 v8, 1.0, v8
	v_mul_f32_e32 v0, v0, v8
	v_and_b32_e32 v8, 0xffff0000, v1
	v_add_f32_e32 v19, v19, v8
	v_lshlrev_b32_e32 v1, 16, v1
	v_bfi_b32 v8, s38, v22, v21
	v_add_f32_e32 v18, v18, v1
	v_mul_f32_e32 v1, 0.5, v9
	v_add_f32_e32 v8, 1.0, v8
	v_mul_f32_e32 v1, v1, v8
	v_lshlrev_b32_e32 v8, 16, v10
	v_add_f32_e32 v8, v12, v8
	v_mul_f32_e32 v9, 0x3f3504f3, v8
	v_cmp_nlt_f32_e64 s[14:15], |v9|, 1.0
	;;#ASMSTART
	v_pk_mul_f32 v[0:1], v[0:1], v[18:19]
	;;#ASMEND
                                        ; implicit-def: $vgpr12
	s_and_saveexec_b64 s[40:41], s[14:15]
	s_xor_b64 s[14:15], exec, s[40:41]
	s_cbranch_execz .LBB428_59
; %bb.58:                               ;   in Loop: Header=BB428_9 Depth=1
	v_fma_f32 v12, |v9|, s28, v51
	v_fma_f32 v12, |v9|, v12, s29
	;; [unrolled: 1-line block ×6, first 2 shown]
	v_fma_f32 v12, |v9|, v12, |v9|
	v_mul_f32_e32 v18, 0xbfb8aa3b, v12
	v_fma_f32 v19, v12, s35, -v18
	v_rndne_f32_e32 v20, v18
	v_fmac_f32_e32 v19, 0xb2a5705f, v12
	v_sub_f32_e32 v18, v18, v20
	v_add_f32_e32 v18, v18, v19
	v_cvt_i32_f32_e32 v19, v20
	v_exp_f32_e32 v18, v18
	v_cmp_nlt_f32_e32 vcc, s36, v12
	v_ldexp_f32 v18, v18, v19
	s_nop 0
	v_cndmask_b32_e32 v18, 0, v18, vcc
	v_cmp_ngt_f32_e32 vcc, s37, v12
	s_nop 1
	v_cndmask_b32_e32 v12, v52, v18, vcc
	v_sub_f32_e32 v12, 1.0, v12
.LBB428_59:                             ;   in Loop: Header=BB428_9 Depth=1
	s_andn2_saveexec_b64 s[14:15], s[14:15]
; %bb.60:                               ;   in Loop: Header=BB428_9 Depth=1
	v_mul_f32_e32 v12, v9, v9
	v_fmamk_f32 v18, v12, 0xba1345e1, v50
	v_fmaak_f32 v18, v12, v18, 0xbcdac9b8
	v_fmaak_f32 v18, v12, v18, 0x3de703be
	;; [unrolled: 1-line block ×4, first 2 shown]
	v_fma_f32 v12, |v9|, v12, |v9|
; %bb.61:                               ;   in Loop: Header=BB428_9 Depth=1
	s_or_b64 exec, exec, s[14:15]
	v_and_b32_e32 v10, 0xffff0000, v10
	v_add_f32_e32 v10, v13, v10
	v_mul_f32_e32 v13, 0x3f3504f3, v10
	v_cmp_nlt_f32_e64 s[14:15], |v13|, 1.0
                                        ; implicit-def: $vgpr18
	s_and_saveexec_b64 s[40:41], s[14:15]
	s_xor_b64 s[14:15], exec, s[40:41]
	s_cbranch_execz .LBB428_63
; %bb.62:                               ;   in Loop: Header=BB428_9 Depth=1
	v_fma_f32 v18, |v13|, s28, v51
	v_fma_f32 v18, |v13|, v18, s29
	;; [unrolled: 1-line block ×6, first 2 shown]
	v_fma_f32 v18, |v13|, v18, |v13|
	v_mul_f32_e32 v19, 0xbfb8aa3b, v18
	v_fma_f32 v20, v18, s35, -v19
	v_rndne_f32_e32 v21, v19
	v_fmac_f32_e32 v20, 0xb2a5705f, v18
	v_sub_f32_e32 v19, v19, v21
	v_add_f32_e32 v19, v19, v20
	v_cvt_i32_f32_e32 v20, v21
	v_exp_f32_e32 v19, v19
	v_cmp_nlt_f32_e32 vcc, s36, v18
	v_ldexp_f32 v19, v19, v20
	s_nop 0
	v_cndmask_b32_e32 v19, 0, v19, vcc
	v_cmp_ngt_f32_e32 vcc, s37, v18
	s_nop 1
	v_cndmask_b32_e32 v18, v52, v19, vcc
	v_sub_f32_e32 v18, 1.0, v18
.LBB428_63:                             ;   in Loop: Header=BB428_9 Depth=1
	s_andn2_saveexec_b64 s[14:15], s[14:15]
; %bb.64:                               ;   in Loop: Header=BB428_9 Depth=1
	v_mul_f32_e32 v18, v13, v13
	v_fmamk_f32 v19, v18, 0xba1345e1, v50
	v_fmaak_f32 v19, v18, v19, 0xbcdac9b8
	v_fmaak_f32 v19, v18, v19, 0x3de703be
	;; [unrolled: 1-line block ×4, first 2 shown]
	v_fma_f32 v18, |v13|, v18, |v13|
; %bb.65:                               ;   in Loop: Header=BB428_9 Depth=1
	s_or_b64 exec, exec, s[14:15]
	v_bfi_b32 v9, s38, v12, v9
	v_mul_f32_e32 v8, 0.5, v8
	v_add_f32_e32 v9, 1.0, v9
	v_mul_f32_e32 v8, v8, v9
	v_and_b32_e32 v9, 0xffff0000, v2
	s_waitcnt vmcnt(0)
	v_add_f32_e32 v5, v5, v9
	v_lshlrev_b32_e32 v2, 16, v2
	v_bfi_b32 v9, s38, v18, v13
	v_add_f32_e32 v4, v4, v2
	v_mul_f32_e32 v2, 0.5, v10
	v_add_f32_e32 v9, 1.0, v9
	v_mul_f32_e32 v9, v2, v9
	v_lshlrev_b32_e32 v2, 16, v11
	v_add_f32_e32 v2, v14, v2
	;;#ASMSTART
	v_pk_mul_f32 v[4:5], v[8:9], v[4:5]
	;;#ASMEND
	v_mul_f32_e32 v8, 0x3f3504f3, v2
	v_cmp_nlt_f32_e64 s[14:15], |v8|, 1.0
                                        ; implicit-def: $vgpr9
	s_and_saveexec_b64 s[40:41], s[14:15]
	s_xor_b64 s[14:15], exec, s[40:41]
	s_cbranch_execz .LBB428_67
; %bb.66:                               ;   in Loop: Header=BB428_9 Depth=1
	v_fma_f32 v9, |v8|, s28, v51
	v_fma_f32 v9, |v8|, v9, s29
	;; [unrolled: 1-line block ×6, first 2 shown]
	v_fma_f32 v9, |v8|, v9, |v8|
	v_mul_f32_e32 v10, 0xbfb8aa3b, v9
	v_fma_f32 v12, v9, s35, -v10
	v_rndne_f32_e32 v13, v10
	v_fmac_f32_e32 v12, 0xb2a5705f, v9
	v_sub_f32_e32 v10, v10, v13
	v_add_f32_e32 v10, v10, v12
	v_cvt_i32_f32_e32 v12, v13
	v_exp_f32_e32 v10, v10
	v_cmp_nlt_f32_e32 vcc, s36, v9
	v_ldexp_f32 v10, v10, v12
	s_nop 0
	v_cndmask_b32_e32 v10, 0, v10, vcc
	v_cmp_ngt_f32_e32 vcc, s37, v9
	s_nop 1
	v_cndmask_b32_e32 v9, v52, v10, vcc
	v_sub_f32_e32 v9, 1.0, v9
.LBB428_67:                             ;   in Loop: Header=BB428_9 Depth=1
	s_andn2_saveexec_b64 s[14:15], s[14:15]
; %bb.68:                               ;   in Loop: Header=BB428_9 Depth=1
	v_mul_f32_e32 v9, v8, v8
	v_fmamk_f32 v10, v9, 0xba1345e1, v50
	v_fmaak_f32 v10, v9, v10, 0xbcdac9b8
	v_fmaak_f32 v10, v9, v10, 0x3de703be
	;; [unrolled: 1-line block ×4, first 2 shown]
	v_fma_f32 v9, |v8|, v9, |v8|
; %bb.69:                               ;   in Loop: Header=BB428_9 Depth=1
	s_or_b64 exec, exec, s[14:15]
	v_and_b32_e32 v10, 0xffff0000, v11
	v_add_f32_e32 v10, v15, v10
	v_mul_f32_e32 v11, 0x3f3504f3, v10
	v_cmp_nlt_f32_e64 s[14:15], |v11|, 1.0
                                        ; implicit-def: $vgpr12
	s_and_saveexec_b64 s[40:41], s[14:15]
	s_xor_b64 s[14:15], exec, s[40:41]
	s_cbranch_execz .LBB428_71
; %bb.70:                               ;   in Loop: Header=BB428_9 Depth=1
	v_fma_f32 v12, |v11|, s28, v51
	v_fma_f32 v12, |v11|, v12, s29
	;; [unrolled: 1-line block ×6, first 2 shown]
	v_fma_f32 v12, |v11|, v12, |v11|
	v_mul_f32_e32 v13, 0xbfb8aa3b, v12
	v_fma_f32 v14, v12, s35, -v13
	v_rndne_f32_e32 v15, v13
	v_fmac_f32_e32 v14, 0xb2a5705f, v12
	v_sub_f32_e32 v13, v13, v15
	v_add_f32_e32 v13, v13, v14
	v_cvt_i32_f32_e32 v14, v15
	v_exp_f32_e32 v13, v13
	v_cmp_nlt_f32_e32 vcc, s36, v12
	v_ldexp_f32 v13, v13, v14
	s_nop 0
	v_cndmask_b32_e32 v13, 0, v13, vcc
	v_cmp_ngt_f32_e32 vcc, s37, v12
	s_nop 1
	v_cndmask_b32_e32 v12, v52, v13, vcc
	v_sub_f32_e32 v12, 1.0, v12
.LBB428_71:                             ;   in Loop: Header=BB428_9 Depth=1
	s_andn2_saveexec_b64 s[14:15], s[14:15]
	s_cbranch_execz .LBB428_8
; %bb.72:                               ;   in Loop: Header=BB428_9 Depth=1
	v_mul_f32_e32 v12, v11, v11
	v_fmamk_f32 v13, v12, 0xba1345e1, v50
	v_fmaak_f32 v13, v12, v13, 0xbcdac9b8
	v_fmaak_f32 v13, v12, v13, 0x3de703be
	;; [unrolled: 1-line block ×4, first 2 shown]
	v_fma_f32 v12, |v11|, v12, |v11|
	s_branch .LBB428_8
.LBB428_73:
	s_endpgm
	.section	.rodata,"a",@progbits
	.p2align	6, 0x0
	.amdhsa_kernel _ZN5aiter23act_and_mul_bias_kernelIttsfTnPFfRKT2_EXadL_ZNS_11gelu_kernelIfEEfRKT_EELi16EEEvPT0_PS8_PKT1_PS2_il
		.amdhsa_group_segment_fixed_size 0
		.amdhsa_private_segment_fixed_size 0
		.amdhsa_kernarg_size 304
		.amdhsa_user_sgpr_count 2
		.amdhsa_user_sgpr_dispatch_ptr 0
		.amdhsa_user_sgpr_queue_ptr 0
		.amdhsa_user_sgpr_kernarg_segment_ptr 1
		.amdhsa_user_sgpr_dispatch_id 0
		.amdhsa_user_sgpr_kernarg_preload_length 0
		.amdhsa_user_sgpr_kernarg_preload_offset 0
		.amdhsa_user_sgpr_private_segment_size 0
		.amdhsa_uses_dynamic_stack 0
		.amdhsa_enable_private_segment 0
		.amdhsa_system_sgpr_workgroup_id_x 1
		.amdhsa_system_sgpr_workgroup_id_y 0
		.amdhsa_system_sgpr_workgroup_id_z 0
		.amdhsa_system_sgpr_workgroup_info 0
		.amdhsa_system_vgpr_workitem_id 0
		.amdhsa_next_free_vgpr 60
		.amdhsa_next_free_sgpr 42
		.amdhsa_accum_offset 60
		.amdhsa_reserve_vcc 1
		.amdhsa_float_round_mode_32 0
		.amdhsa_float_round_mode_16_64 0
		.amdhsa_float_denorm_mode_32 3
		.amdhsa_float_denorm_mode_16_64 3
		.amdhsa_dx10_clamp 1
		.amdhsa_ieee_mode 1
		.amdhsa_fp16_overflow 0
		.amdhsa_tg_split 0
		.amdhsa_exception_fp_ieee_invalid_op 0
		.amdhsa_exception_fp_denorm_src 0
		.amdhsa_exception_fp_ieee_div_zero 0
		.amdhsa_exception_fp_ieee_overflow 0
		.amdhsa_exception_fp_ieee_underflow 0
		.amdhsa_exception_fp_ieee_inexact 0
		.amdhsa_exception_int_div_zero 0
	.end_amdhsa_kernel
	.section	.text._ZN5aiter23act_and_mul_bias_kernelIttsfTnPFfRKT2_EXadL_ZNS_11gelu_kernelIfEEfRKT_EELi16EEEvPT0_PS8_PKT1_PS2_il,"axG",@progbits,_ZN5aiter23act_and_mul_bias_kernelIttsfTnPFfRKT2_EXadL_ZNS_11gelu_kernelIfEEfRKT_EELi16EEEvPT0_PS8_PKT1_PS2_il,comdat
.Lfunc_end428:
	.size	_ZN5aiter23act_and_mul_bias_kernelIttsfTnPFfRKT2_EXadL_ZNS_11gelu_kernelIfEEfRKT_EELi16EEEvPT0_PS8_PKT1_PS2_il, .Lfunc_end428-_ZN5aiter23act_and_mul_bias_kernelIttsfTnPFfRKT2_EXadL_ZNS_11gelu_kernelIfEEfRKT_EELi16EEEvPT0_PS8_PKT1_PS2_il
                                        ; -- End function
	.section	.AMDGPU.csdata,"",@progbits
; Kernel info:
; codeLenInByte = 5192
; NumSgprs: 48
; NumVgprs: 60
; NumAgprs: 0
; TotalNumVgprs: 60
; ScratchSize: 0
; MemoryBound: 0
; FloatMode: 240
; IeeeMode: 1
; LDSByteSize: 0 bytes/workgroup (compile time only)
; SGPRBlocks: 5
; VGPRBlocks: 7
; NumSGPRsForWavesPerEU: 48
; NumVGPRsForWavesPerEU: 60
; AccumOffset: 60
; Occupancy: 8
; WaveLimiterHint : 0
; COMPUTE_PGM_RSRC2:SCRATCH_EN: 0
; COMPUTE_PGM_RSRC2:USER_SGPR: 2
; COMPUTE_PGM_RSRC2:TRAP_HANDLER: 0
; COMPUTE_PGM_RSRC2:TGID_X_EN: 1
; COMPUTE_PGM_RSRC2:TGID_Y_EN: 0
; COMPUTE_PGM_RSRC2:TGID_Z_EN: 0
; COMPUTE_PGM_RSRC2:TIDIG_COMP_CNT: 0
; COMPUTE_PGM_RSRC3_GFX90A:ACCUM_OFFSET: 14
; COMPUTE_PGM_RSRC3_GFX90A:TG_SPLIT: 0
	.section	.text._ZN5aiter23act_and_mul_bias_kernelIttsfTnPFfRKT2_EXadL_ZNS_11gelu_kernelIfEEfRKT_EELi8EEEvPT0_PS8_PKT1_PS2_il,"axG",@progbits,_ZN5aiter23act_and_mul_bias_kernelIttsfTnPFfRKT2_EXadL_ZNS_11gelu_kernelIfEEfRKT_EELi8EEEvPT0_PS8_PKT1_PS2_il,comdat
	.protected	_ZN5aiter23act_and_mul_bias_kernelIttsfTnPFfRKT2_EXadL_ZNS_11gelu_kernelIfEEfRKT_EELi8EEEvPT0_PS8_PKT1_PS2_il ; -- Begin function _ZN5aiter23act_and_mul_bias_kernelIttsfTnPFfRKT2_EXadL_ZNS_11gelu_kernelIfEEfRKT_EELi8EEEvPT0_PS8_PKT1_PS2_il
	.globl	_ZN5aiter23act_and_mul_bias_kernelIttsfTnPFfRKT2_EXadL_ZNS_11gelu_kernelIfEEfRKT_EELi8EEEvPT0_PS8_PKT1_PS2_il
	.p2align	8
	.type	_ZN5aiter23act_and_mul_bias_kernelIttsfTnPFfRKT2_EXadL_ZNS_11gelu_kernelIfEEfRKT_EELi8EEEvPT0_PS8_PKT1_PS2_il,@function
_ZN5aiter23act_and_mul_bias_kernelIttsfTnPFfRKT2_EXadL_ZNS_11gelu_kernelIfEEfRKT_EELi8EEEvPT0_PS8_PKT1_PS2_il: ; @_ZN5aiter23act_and_mul_bias_kernelIttsfTnPFfRKT2_EXadL_ZNS_11gelu_kernelIfEEfRKT_EELi8EEEvPT0_PS8_PKT1_PS2_il
; %bb.0:
	s_load_dword s24, s[0:1], 0x20
	s_load_dwordx2 s[4:5], s[0:1], 0x10
	s_load_dwordx2 s[6:7], s[0:1], 0x28
	s_mov_b32 s3, 0
	s_lshl_b64 s[8:9], s[2:3], 1
	s_waitcnt lgkmcnt(0)
	s_ashr_i32 s25, s24, 31
	s_add_u32 s4, s4, s8
	s_addc_u32 s5, s5, s9
	v_mov_b32_e32 v1, 0
	global_load_ushort v1, v1, s[4:5]
	s_mul_hi_u32 s3, s24, s2
	v_mov_b64_e32 v[2:3], s[6:7]
	s_mul_i32 s6, s25, s2
	s_add_i32 s7, s24, 1
	s_add_i32 s9, s3, s6
	s_lshr_b32 s3, s7, 31
	s_load_dwordx2 s[4:5], s[0:1], 0x0
	s_add_i32 s7, s7, s3
	s_lshl_b32 s3, s7, 1
	s_mul_i32 s8, s24, s2
	s_and_b32 s6, s3, -4
	s_lshl_b64 s[12:13], s[8:9], 1
	s_mov_b64 s[10:11], -1
	v_lshlrev_b32_e32 v24, 3, v0
	s_waitcnt vmcnt(0)
	v_readfirstlane_b32 s3, v1
	s_sext_i32_i16 s8, s3
	s_ashr_i32 s9, s8, 31
	s_waitcnt lgkmcnt(0)
	s_add_u32 s4, s4, s12
	s_addc_u32 s3, s5, s13
	s_and_b32 s5, s3, 0xffff
	s_cmp_gt_i32 s8, -1
	v_cmp_lt_i64_e32 vcc, s[8:9], v[2:3]
	s_cselect_b64 s[12:13], -1, 0
	s_and_b64 s[12:13], s[12:13], vcc
	s_and_b64 vcc, exec, s[12:13]
	s_cbranch_vccnz .LBB429_5
; %bb.1:
	v_cmp_gt_i32_e32 vcc, s24, v24
	s_and_saveexec_b64 s[10:11], vcc
	s_cbranch_execz .LBB429_4
; %bb.2:
	s_load_dword s3, s[0:1], 0x3c
	v_mov_b32_e32 v25, 0
	s_mov_b32 s13, 0
	v_lshlrev_b32_e32 v6, 4, v0
	s_mov_b64 s[14:15], 0
	s_waitcnt lgkmcnt(0)
	s_and_b32 s3, s3, 0xffff
	s_lshl_b32 s12, s3, 3
	s_lshl_b32 s3, s3, 4
	s_mov_b32 s7, 0x20000
	v_mov_b32_e32 v0, v25
	v_mov_b32_e32 v1, v25
	;; [unrolled: 1-line block ×4, first 2 shown]
	v_mov_b64_e32 v[4:5], v[24:25]
.LBB429_3:                              ; =>This Inner Loop Header: Depth=1
	v_lshl_add_u64 v[4:5], s[12:13], 0, v[4:5]
	v_cmp_le_i64_e32 vcc, s[24:25], v[4:5]
	buffer_store_dwordx4 v[0:3], v6, s[4:7], 0 offen
	s_or_b64 s[14:15], vcc, s[14:15]
	v_add_u32_e32 v6, s3, v6
	s_andn2_b64 exec, exec, s[14:15]
	s_cbranch_execnz .LBB429_3
.LBB429_4:
	s_or_b64 exec, exec, s[10:11]
	s_mov_b64 s[10:11], 0
.LBB429_5:
	s_andn2_b64 vcc, exec, s[10:11]
	s_cbranch_vccnz .LBB429_41
; %bb.6:
	v_cmp_gt_i32_e32 vcc, s24, v24
	s_and_saveexec_b64 s[10:11], vcc
	s_cbranch_execz .LBB429_41
; %bb.7:
	s_load_dwordx2 s[10:11], s[0:1], 0x18
	s_load_dwordx2 s[14:15], s[0:1], 0x8
	s_mul_hi_i32 s9, s24, s8
	s_mul_i32 s8, s24, s8
	s_lshl_b64 s[8:9], s[8:9], 3
	s_waitcnt lgkmcnt(0)
	s_add_u32 s8, s10, s8
	s_addc_u32 s3, s11, s9
	s_lshl_b64 s[10:11], s[24:25], 2
	s_add_u32 s12, s8, s10
	s_addc_u32 s13, s3, s11
	s_and_b32 s9, s3, 0xffff
	s_mul_i32 s3, s2, s25
	s_mul_hi_u32 s16, s2, s24
	s_add_i32 s3, s16, s3
	s_mul_i32 s2, s2, s24
	s_lshl_b32 s10, s24, 2
	s_and_b32 s13, s13, 0xffff
	s_lshl_b64 s[2:3], s[2:3], 2
	s_add_u32 s16, s14, s2
	s_addc_u32 s14, s15, s3
	s_lshl_b64 s[2:3], s[24:25], 1
	s_add_u32 s20, s16, s2
	s_addc_u32 s2, s14, s3
	s_and_b32 s17, s14, 0xffff
	s_and_b32 s21, s2, 0xffff
	s_mov_b32 s7, 0x20000
	s_add_u32 s0, s0, 48
	s_mov_b32 s11, s7
	s_mov_b64 s[22:23], s[6:7]
	v_mov_b32_e32 v25, 0
	s_addc_u32 s1, s1, 0
	s_mov_b64 s[2:3], 0
	s_mov_b32 s18, s6
	s_mov_b32 s19, s7
	;; [unrolled: 1-line block ×12, first 2 shown]
	v_mov_b32_e32 v26, 0x3ba10414
	s_brev_b32 s38, -2
	s_mov_b32 s39, 0x7060302
	v_mov_b32_e32 v27, 0xb9c68948
	v_mov_b32_e32 v28, 0x7f800000
                                        ; implicit-def: $vgpr0
                                        ; implicit-def: $vgpr0
	;; [unrolled: 1-line block ×4, first 2 shown]
	s_branch .LBB429_9
.LBB429_8:                              ;   in Loop: Header=BB429_9 Depth=1
	s_or_b64 exec, exec, s[14:15]
	v_bfi_b32 v8, s38, v9, v8
	v_mul_f32_e32 v2, 0.5, v2
	v_add_f32_e32 v8, 1.0, v8
	v_mul_f32_e32 v2, v2, v8
	v_and_b32_e32 v8, 0xffff0000, v3
	v_add_f32_e32 v7, v7, v8
	v_lshlrev_b32_e32 v3, 16, v3
	v_bfi_b32 v8, s38, v12, v11
	v_add_f32_e32 v6, v6, v3
	v_mul_f32_e32 v3, 0.5, v10
	v_add_f32_e32 v8, 1.0, v8
	v_mul_f32_e32 v3, v3, v8
	;;#ASMSTART
	v_pk_mul_f32 v[2:3], v[2:3], v[6:7]
	;;#ASMEND
	s_load_dword s14, s[0:1], 0xc
	v_perm_b32 v3, v3, v2, s39
	v_perm_b32 v2, v5, v4, s39
	;; [unrolled: 1-line block ×4, first 2 shown]
	s_waitcnt lgkmcnt(0)
	s_and_b32 s14, s14, 0xffff
	s_lshl_b32 s26, s14, 3
	v_lshl_add_u64 v[24:25], s[26:27], 0, v[24:25]
	v_cmp_le_i64_e32 vcc, s[24:25], v[24:25]
	s_or_b64 s[2:3], vcc, s[2:3]
	buffer_store_dwordx4 v[0:3], v29, s[4:7], 0 offen
	s_andn2_b64 exec, exec, s[2:3]
	s_cbranch_execz .LBB429_41
.LBB429_9:                              ; =>This Inner Loop Header: Depth=1
	v_lshlrev_b32_e32 v29, 1, v24
	buffer_load_dwordx4 v[8:11], v29, s[16:19], 0 offen
	buffer_load_dwordx4 v[0:3], v29, s[20:23], 0 offen
	v_lshlrev_b32_e32 v30, 2, v24
	buffer_load_dwordx4 v[20:23], v30, s[8:11], 0 offen
	buffer_load_dwordx4 v[12:15], v30, s[8:11], 16 offen
	s_mov_b32 s14, s10
	s_mov_b32 s15, s11
	buffer_load_dwordx4 v[16:19], v30, s[12:15], 0 offen
	buffer_load_dwordx4 v[4:7], v30, s[12:15], 16 offen
                                        ; implicit-def: $vgpr31
	s_waitcnt vmcnt(5)
	v_lshlrev_b32_e32 v30, 16, v8
	s_waitcnt vmcnt(3)
	v_add_f32_e32 v20, v20, v30
	v_mul_f32_e32 v30, 0x3f3504f3, v20
	v_cmp_nlt_f32_e64 s[14:15], |v30|, 1.0
	s_and_saveexec_b64 s[40:41], s[14:15]
	s_xor_b64 s[14:15], exec, s[40:41]
	s_cbranch_execz .LBB429_11
; %bb.10:                               ;   in Loop: Header=BB429_9 Depth=1
	v_fma_f32 v31, |v30|, s28, v27
	v_fma_f32 v31, |v30|, v31, s29
	;; [unrolled: 1-line block ×6, first 2 shown]
	v_fma_f32 v31, |v30|, v31, |v30|
	v_mul_f32_e32 v32, 0xbfb8aa3b, v31
	v_fma_f32 v33, v31, s35, -v32
	v_rndne_f32_e32 v34, v32
	v_fmac_f32_e32 v33, 0xb2a5705f, v31
	v_sub_f32_e32 v32, v32, v34
	v_add_f32_e32 v32, v32, v33
	v_cvt_i32_f32_e32 v33, v34
	v_exp_f32_e32 v32, v32
	v_cmp_nlt_f32_e32 vcc, s36, v31
	v_ldexp_f32 v32, v32, v33
	s_nop 0
	v_cndmask_b32_e32 v32, 0, v32, vcc
	v_cmp_ngt_f32_e32 vcc, s37, v31
	s_nop 1
	v_cndmask_b32_e32 v31, v28, v32, vcc
	v_sub_f32_e32 v31, 1.0, v31
.LBB429_11:                             ;   in Loop: Header=BB429_9 Depth=1
	s_andn2_saveexec_b64 s[14:15], s[14:15]
; %bb.12:                               ;   in Loop: Header=BB429_9 Depth=1
	v_mul_f32_e32 v31, v30, v30
	v_fmamk_f32 v32, v31, 0xba1345e1, v26
	v_fmaak_f32 v32, v31, v32, 0xbcdac9b8
	v_fmaak_f32 v32, v31, v32, 0x3de703be
	;; [unrolled: 1-line block ×4, first 2 shown]
	v_fma_f32 v31, |v30|, v31, |v30|
; %bb.13:                               ;   in Loop: Header=BB429_9 Depth=1
	s_or_b64 exec, exec, s[14:15]
	v_and_b32_e32 v8, 0xffff0000, v8
	v_add_f32_e32 v8, v21, v8
	v_mul_f32_e32 v21, 0x3f3504f3, v8
	v_cmp_nlt_f32_e64 s[14:15], |v21|, 1.0
                                        ; implicit-def: $vgpr32
	s_and_saveexec_b64 s[40:41], s[14:15]
	s_xor_b64 s[14:15], exec, s[40:41]
	s_cbranch_execz .LBB429_15
; %bb.14:                               ;   in Loop: Header=BB429_9 Depth=1
	v_fma_f32 v32, |v21|, s28, v27
	v_fma_f32 v32, |v21|, v32, s29
	;; [unrolled: 1-line block ×6, first 2 shown]
	v_fma_f32 v32, |v21|, v32, |v21|
	v_mul_f32_e32 v33, 0xbfb8aa3b, v32
	v_fma_f32 v34, v32, s35, -v33
	v_rndne_f32_e32 v35, v33
	v_fmac_f32_e32 v34, 0xb2a5705f, v32
	v_sub_f32_e32 v33, v33, v35
	v_add_f32_e32 v33, v33, v34
	v_cvt_i32_f32_e32 v34, v35
	v_exp_f32_e32 v33, v33
	v_cmp_nlt_f32_e32 vcc, s36, v32
	v_ldexp_f32 v33, v33, v34
	s_nop 0
	v_cndmask_b32_e32 v33, 0, v33, vcc
	v_cmp_ngt_f32_e32 vcc, s37, v32
	s_nop 1
	v_cndmask_b32_e32 v32, v28, v33, vcc
	v_sub_f32_e32 v32, 1.0, v32
.LBB429_15:                             ;   in Loop: Header=BB429_9 Depth=1
	s_andn2_saveexec_b64 s[14:15], s[14:15]
; %bb.16:                               ;   in Loop: Header=BB429_9 Depth=1
	v_mul_f32_e32 v32, v21, v21
	v_fmamk_f32 v33, v32, 0xba1345e1, v26
	v_fmaak_f32 v33, v32, v33, 0xbcdac9b8
	v_fmaak_f32 v33, v32, v33, 0x3de703be
	;; [unrolled: 1-line block ×4, first 2 shown]
	v_fma_f32 v32, |v21|, v32, |v21|
; %bb.17:                               ;   in Loop: Header=BB429_9 Depth=1
	s_or_b64 exec, exec, s[14:15]
	v_bfi_b32 v30, s38, v31, v30
	v_mul_f32_e32 v20, 0.5, v20
	v_add_f32_e32 v30, 1.0, v30
	v_mul_f32_e32 v20, v20, v30
	v_and_b32_e32 v30, 0xffff0000, v0
	v_lshlrev_b32_e32 v0, 16, v0
	s_waitcnt vmcnt(1)
	v_add_f32_e32 v16, v16, v0
	v_mul_f32_e32 v0, 0.5, v8
	v_bfi_b32 v8, s38, v32, v21
	v_add_f32_e32 v8, 1.0, v8
	v_mul_f32_e32 v21, v0, v8
	v_lshlrev_b32_e32 v0, 16, v9
	v_add_f32_e32 v0, v22, v0
	v_mul_f32_e32 v8, 0x3f3504f3, v0
	v_add_f32_e32 v17, v17, v30
	v_cmp_nlt_f32_e64 s[14:15], |v8|, 1.0
	;;#ASMSTART
	v_pk_mul_f32 v[16:17], v[20:21], v[16:17]
	;;#ASMEND
                                        ; implicit-def: $vgpr20
	s_and_saveexec_b64 s[40:41], s[14:15]
	s_xor_b64 s[14:15], exec, s[40:41]
	s_cbranch_execz .LBB429_19
; %bb.18:                               ;   in Loop: Header=BB429_9 Depth=1
	v_fma_f32 v20, |v8|, s28, v27
	v_fma_f32 v20, |v8|, v20, s29
	;; [unrolled: 1-line block ×6, first 2 shown]
	v_fma_f32 v20, |v8|, v20, |v8|
	v_mul_f32_e32 v21, 0xbfb8aa3b, v20
	v_fma_f32 v22, v20, s35, -v21
	v_rndne_f32_e32 v30, v21
	v_fmac_f32_e32 v22, 0xb2a5705f, v20
	v_sub_f32_e32 v21, v21, v30
	v_add_f32_e32 v21, v21, v22
	v_cvt_i32_f32_e32 v22, v30
	v_exp_f32_e32 v21, v21
	v_cmp_nlt_f32_e32 vcc, s36, v20
	v_ldexp_f32 v21, v21, v22
	s_nop 0
	v_cndmask_b32_e32 v21, 0, v21, vcc
	v_cmp_ngt_f32_e32 vcc, s37, v20
	s_nop 1
	v_cndmask_b32_e32 v20, v28, v21, vcc
	v_sub_f32_e32 v20, 1.0, v20
.LBB429_19:                             ;   in Loop: Header=BB429_9 Depth=1
	s_andn2_saveexec_b64 s[14:15], s[14:15]
; %bb.20:                               ;   in Loop: Header=BB429_9 Depth=1
	v_mul_f32_e32 v20, v8, v8
	v_fmamk_f32 v21, v20, 0xba1345e1, v26
	v_fmaak_f32 v21, v20, v21, 0xbcdac9b8
	v_fmaak_f32 v21, v20, v21, 0x3de703be
	;; [unrolled: 1-line block ×4, first 2 shown]
	v_fma_f32 v20, |v8|, v20, |v8|
; %bb.21:                               ;   in Loop: Header=BB429_9 Depth=1
	s_or_b64 exec, exec, s[14:15]
	v_and_b32_e32 v9, 0xffff0000, v9
	v_add_f32_e32 v9, v23, v9
	v_mul_f32_e32 v21, 0x3f3504f3, v9
	v_cmp_nlt_f32_e64 s[14:15], |v21|, 1.0
                                        ; implicit-def: $vgpr22
	s_and_saveexec_b64 s[40:41], s[14:15]
	s_xor_b64 s[14:15], exec, s[40:41]
	s_cbranch_execz .LBB429_23
; %bb.22:                               ;   in Loop: Header=BB429_9 Depth=1
	v_fma_f32 v22, |v21|, s28, v27
	v_fma_f32 v22, |v21|, v22, s29
	;; [unrolled: 1-line block ×6, first 2 shown]
	v_fma_f32 v22, |v21|, v22, |v21|
	v_mul_f32_e32 v23, 0xbfb8aa3b, v22
	v_fma_f32 v30, v22, s35, -v23
	v_rndne_f32_e32 v31, v23
	v_fmac_f32_e32 v30, 0xb2a5705f, v22
	v_sub_f32_e32 v23, v23, v31
	v_add_f32_e32 v23, v23, v30
	v_cvt_i32_f32_e32 v30, v31
	v_exp_f32_e32 v23, v23
	v_cmp_nlt_f32_e32 vcc, s36, v22
	v_ldexp_f32 v23, v23, v30
	s_nop 0
	v_cndmask_b32_e32 v23, 0, v23, vcc
	v_cmp_ngt_f32_e32 vcc, s37, v22
	s_nop 1
	v_cndmask_b32_e32 v22, v28, v23, vcc
	v_sub_f32_e32 v22, 1.0, v22
.LBB429_23:                             ;   in Loop: Header=BB429_9 Depth=1
	s_andn2_saveexec_b64 s[14:15], s[14:15]
; %bb.24:                               ;   in Loop: Header=BB429_9 Depth=1
	v_mul_f32_e32 v22, v21, v21
	v_fmamk_f32 v23, v22, 0xba1345e1, v26
	v_fmaak_f32 v23, v22, v23, 0xbcdac9b8
	v_fmaak_f32 v23, v22, v23, 0x3de703be
	;; [unrolled: 1-line block ×4, first 2 shown]
	v_fma_f32 v22, |v21|, v22, |v21|
; %bb.25:                               ;   in Loop: Header=BB429_9 Depth=1
	s_or_b64 exec, exec, s[14:15]
	v_bfi_b32 v8, s38, v20, v8
	v_mul_f32_e32 v0, 0.5, v0
	v_add_f32_e32 v8, 1.0, v8
	v_mul_f32_e32 v0, v0, v8
	v_and_b32_e32 v8, 0xffff0000, v1
	v_add_f32_e32 v19, v19, v8
	v_lshlrev_b32_e32 v1, 16, v1
	v_bfi_b32 v8, s38, v22, v21
	v_add_f32_e32 v18, v18, v1
	v_mul_f32_e32 v1, 0.5, v9
	v_add_f32_e32 v8, 1.0, v8
	v_mul_f32_e32 v1, v1, v8
	v_lshlrev_b32_e32 v8, 16, v10
	v_add_f32_e32 v8, v12, v8
	v_mul_f32_e32 v9, 0x3f3504f3, v8
	v_cmp_nlt_f32_e64 s[14:15], |v9|, 1.0
	;;#ASMSTART
	v_pk_mul_f32 v[0:1], v[0:1], v[18:19]
	;;#ASMEND
                                        ; implicit-def: $vgpr12
	s_and_saveexec_b64 s[40:41], s[14:15]
	s_xor_b64 s[14:15], exec, s[40:41]
	s_cbranch_execz .LBB429_27
; %bb.26:                               ;   in Loop: Header=BB429_9 Depth=1
	v_fma_f32 v12, |v9|, s28, v27
	v_fma_f32 v12, |v9|, v12, s29
	;; [unrolled: 1-line block ×6, first 2 shown]
	v_fma_f32 v12, |v9|, v12, |v9|
	v_mul_f32_e32 v18, 0xbfb8aa3b, v12
	v_fma_f32 v19, v12, s35, -v18
	v_rndne_f32_e32 v20, v18
	v_fmac_f32_e32 v19, 0xb2a5705f, v12
	v_sub_f32_e32 v18, v18, v20
	v_add_f32_e32 v18, v18, v19
	v_cvt_i32_f32_e32 v19, v20
	v_exp_f32_e32 v18, v18
	v_cmp_nlt_f32_e32 vcc, s36, v12
	v_ldexp_f32 v18, v18, v19
	s_nop 0
	v_cndmask_b32_e32 v18, 0, v18, vcc
	v_cmp_ngt_f32_e32 vcc, s37, v12
	s_nop 1
	v_cndmask_b32_e32 v12, v28, v18, vcc
	v_sub_f32_e32 v12, 1.0, v12
.LBB429_27:                             ;   in Loop: Header=BB429_9 Depth=1
	s_andn2_saveexec_b64 s[14:15], s[14:15]
; %bb.28:                               ;   in Loop: Header=BB429_9 Depth=1
	v_mul_f32_e32 v12, v9, v9
	v_fmamk_f32 v18, v12, 0xba1345e1, v26
	v_fmaak_f32 v18, v12, v18, 0xbcdac9b8
	v_fmaak_f32 v18, v12, v18, 0x3de703be
	;; [unrolled: 1-line block ×4, first 2 shown]
	v_fma_f32 v12, |v9|, v12, |v9|
; %bb.29:                               ;   in Loop: Header=BB429_9 Depth=1
	s_or_b64 exec, exec, s[14:15]
	v_and_b32_e32 v10, 0xffff0000, v10
	v_add_f32_e32 v10, v13, v10
	v_mul_f32_e32 v13, 0x3f3504f3, v10
	v_cmp_nlt_f32_e64 s[14:15], |v13|, 1.0
                                        ; implicit-def: $vgpr18
	s_and_saveexec_b64 s[40:41], s[14:15]
	s_xor_b64 s[14:15], exec, s[40:41]
	s_cbranch_execz .LBB429_31
; %bb.30:                               ;   in Loop: Header=BB429_9 Depth=1
	v_fma_f32 v18, |v13|, s28, v27
	v_fma_f32 v18, |v13|, v18, s29
	;; [unrolled: 1-line block ×6, first 2 shown]
	v_fma_f32 v18, |v13|, v18, |v13|
	v_mul_f32_e32 v19, 0xbfb8aa3b, v18
	v_fma_f32 v20, v18, s35, -v19
	v_rndne_f32_e32 v21, v19
	v_fmac_f32_e32 v20, 0xb2a5705f, v18
	v_sub_f32_e32 v19, v19, v21
	v_add_f32_e32 v19, v19, v20
	v_cvt_i32_f32_e32 v20, v21
	v_exp_f32_e32 v19, v19
	v_cmp_nlt_f32_e32 vcc, s36, v18
	v_ldexp_f32 v19, v19, v20
	s_nop 0
	v_cndmask_b32_e32 v19, 0, v19, vcc
	v_cmp_ngt_f32_e32 vcc, s37, v18
	s_nop 1
	v_cndmask_b32_e32 v18, v28, v19, vcc
	v_sub_f32_e32 v18, 1.0, v18
.LBB429_31:                             ;   in Loop: Header=BB429_9 Depth=1
	s_andn2_saveexec_b64 s[14:15], s[14:15]
; %bb.32:                               ;   in Loop: Header=BB429_9 Depth=1
	v_mul_f32_e32 v18, v13, v13
	v_fmamk_f32 v19, v18, 0xba1345e1, v26
	v_fmaak_f32 v19, v18, v19, 0xbcdac9b8
	v_fmaak_f32 v19, v18, v19, 0x3de703be
	;; [unrolled: 1-line block ×4, first 2 shown]
	v_fma_f32 v18, |v13|, v18, |v13|
; %bb.33:                               ;   in Loop: Header=BB429_9 Depth=1
	s_or_b64 exec, exec, s[14:15]
	v_bfi_b32 v9, s38, v12, v9
	v_mul_f32_e32 v8, 0.5, v8
	v_add_f32_e32 v9, 1.0, v9
	v_mul_f32_e32 v8, v8, v9
	v_and_b32_e32 v9, 0xffff0000, v2
	s_waitcnt vmcnt(0)
	v_add_f32_e32 v5, v5, v9
	v_lshlrev_b32_e32 v2, 16, v2
	v_bfi_b32 v9, s38, v18, v13
	v_add_f32_e32 v4, v4, v2
	v_mul_f32_e32 v2, 0.5, v10
	v_add_f32_e32 v9, 1.0, v9
	v_mul_f32_e32 v9, v2, v9
	v_lshlrev_b32_e32 v2, 16, v11
	v_add_f32_e32 v2, v14, v2
	;;#ASMSTART
	v_pk_mul_f32 v[4:5], v[8:9], v[4:5]
	;;#ASMEND
	v_mul_f32_e32 v8, 0x3f3504f3, v2
	v_cmp_nlt_f32_e64 s[14:15], |v8|, 1.0
                                        ; implicit-def: $vgpr9
	s_and_saveexec_b64 s[40:41], s[14:15]
	s_xor_b64 s[14:15], exec, s[40:41]
	s_cbranch_execz .LBB429_35
; %bb.34:                               ;   in Loop: Header=BB429_9 Depth=1
	v_fma_f32 v9, |v8|, s28, v27
	v_fma_f32 v9, |v8|, v9, s29
	;; [unrolled: 1-line block ×6, first 2 shown]
	v_fma_f32 v9, |v8|, v9, |v8|
	v_mul_f32_e32 v10, 0xbfb8aa3b, v9
	v_fma_f32 v12, v9, s35, -v10
	v_rndne_f32_e32 v13, v10
	v_fmac_f32_e32 v12, 0xb2a5705f, v9
	v_sub_f32_e32 v10, v10, v13
	v_add_f32_e32 v10, v10, v12
	v_cvt_i32_f32_e32 v12, v13
	v_exp_f32_e32 v10, v10
	v_cmp_nlt_f32_e32 vcc, s36, v9
	v_ldexp_f32 v10, v10, v12
	s_nop 0
	v_cndmask_b32_e32 v10, 0, v10, vcc
	v_cmp_ngt_f32_e32 vcc, s37, v9
	s_nop 1
	v_cndmask_b32_e32 v9, v28, v10, vcc
	v_sub_f32_e32 v9, 1.0, v9
.LBB429_35:                             ;   in Loop: Header=BB429_9 Depth=1
	s_andn2_saveexec_b64 s[14:15], s[14:15]
; %bb.36:                               ;   in Loop: Header=BB429_9 Depth=1
	v_mul_f32_e32 v9, v8, v8
	v_fmamk_f32 v10, v9, 0xba1345e1, v26
	v_fmaak_f32 v10, v9, v10, 0xbcdac9b8
	v_fmaak_f32 v10, v9, v10, 0x3de703be
	;; [unrolled: 1-line block ×4, first 2 shown]
	v_fma_f32 v9, |v8|, v9, |v8|
; %bb.37:                               ;   in Loop: Header=BB429_9 Depth=1
	s_or_b64 exec, exec, s[14:15]
	v_and_b32_e32 v10, 0xffff0000, v11
	v_add_f32_e32 v10, v15, v10
	v_mul_f32_e32 v11, 0x3f3504f3, v10
	v_cmp_nlt_f32_e64 s[14:15], |v11|, 1.0
                                        ; implicit-def: $vgpr12
	s_and_saveexec_b64 s[40:41], s[14:15]
	s_xor_b64 s[14:15], exec, s[40:41]
	s_cbranch_execz .LBB429_39
; %bb.38:                               ;   in Loop: Header=BB429_9 Depth=1
	v_fma_f32 v12, |v11|, s28, v27
	v_fma_f32 v12, |v11|, v12, s29
	;; [unrolled: 1-line block ×6, first 2 shown]
	v_fma_f32 v12, |v11|, v12, |v11|
	v_mul_f32_e32 v13, 0xbfb8aa3b, v12
	v_fma_f32 v14, v12, s35, -v13
	v_rndne_f32_e32 v15, v13
	v_fmac_f32_e32 v14, 0xb2a5705f, v12
	v_sub_f32_e32 v13, v13, v15
	v_add_f32_e32 v13, v13, v14
	v_cvt_i32_f32_e32 v14, v15
	v_exp_f32_e32 v13, v13
	v_cmp_nlt_f32_e32 vcc, s36, v12
	v_ldexp_f32 v13, v13, v14
	s_nop 0
	v_cndmask_b32_e32 v13, 0, v13, vcc
	v_cmp_ngt_f32_e32 vcc, s37, v12
	s_nop 1
	v_cndmask_b32_e32 v12, v28, v13, vcc
	v_sub_f32_e32 v12, 1.0, v12
.LBB429_39:                             ;   in Loop: Header=BB429_9 Depth=1
	s_andn2_saveexec_b64 s[14:15], s[14:15]
	s_cbranch_execz .LBB429_8
; %bb.40:                               ;   in Loop: Header=BB429_9 Depth=1
	v_mul_f32_e32 v12, v11, v11
	v_fmamk_f32 v13, v12, 0xba1345e1, v26
	v_fmaak_f32 v13, v12, v13, 0xbcdac9b8
	v_fmaak_f32 v13, v12, v13, 0x3de703be
	;; [unrolled: 1-line block ×4, first 2 shown]
	v_fma_f32 v12, |v11|, v12, |v11|
	s_branch .LBB429_8
.LBB429_41:
	s_endpgm
	.section	.rodata,"a",@progbits
	.p2align	6, 0x0
	.amdhsa_kernel _ZN5aiter23act_and_mul_bias_kernelIttsfTnPFfRKT2_EXadL_ZNS_11gelu_kernelIfEEfRKT_EELi8EEEvPT0_PS8_PKT1_PS2_il
		.amdhsa_group_segment_fixed_size 0
		.amdhsa_private_segment_fixed_size 0
		.amdhsa_kernarg_size 304
		.amdhsa_user_sgpr_count 2
		.amdhsa_user_sgpr_dispatch_ptr 0
		.amdhsa_user_sgpr_queue_ptr 0
		.amdhsa_user_sgpr_kernarg_segment_ptr 1
		.amdhsa_user_sgpr_dispatch_id 0
		.amdhsa_user_sgpr_kernarg_preload_length 0
		.amdhsa_user_sgpr_kernarg_preload_offset 0
		.amdhsa_user_sgpr_private_segment_size 0
		.amdhsa_uses_dynamic_stack 0
		.amdhsa_enable_private_segment 0
		.amdhsa_system_sgpr_workgroup_id_x 1
		.amdhsa_system_sgpr_workgroup_id_y 0
		.amdhsa_system_sgpr_workgroup_id_z 0
		.amdhsa_system_sgpr_workgroup_info 0
		.amdhsa_system_vgpr_workitem_id 0
		.amdhsa_next_free_vgpr 36
		.amdhsa_next_free_sgpr 42
		.amdhsa_accum_offset 36
		.amdhsa_reserve_vcc 1
		.amdhsa_float_round_mode_32 0
		.amdhsa_float_round_mode_16_64 0
		.amdhsa_float_denorm_mode_32 3
		.amdhsa_float_denorm_mode_16_64 3
		.amdhsa_dx10_clamp 1
		.amdhsa_ieee_mode 1
		.amdhsa_fp16_overflow 0
		.amdhsa_tg_split 0
		.amdhsa_exception_fp_ieee_invalid_op 0
		.amdhsa_exception_fp_denorm_src 0
		.amdhsa_exception_fp_ieee_div_zero 0
		.amdhsa_exception_fp_ieee_overflow 0
		.amdhsa_exception_fp_ieee_underflow 0
		.amdhsa_exception_fp_ieee_inexact 0
		.amdhsa_exception_int_div_zero 0
	.end_amdhsa_kernel
	.section	.text._ZN5aiter23act_and_mul_bias_kernelIttsfTnPFfRKT2_EXadL_ZNS_11gelu_kernelIfEEfRKT_EELi8EEEvPT0_PS8_PKT1_PS2_il,"axG",@progbits,_ZN5aiter23act_and_mul_bias_kernelIttsfTnPFfRKT2_EXadL_ZNS_11gelu_kernelIfEEfRKT_EELi8EEEvPT0_PS8_PKT1_PS2_il,comdat
.Lfunc_end429:
	.size	_ZN5aiter23act_and_mul_bias_kernelIttsfTnPFfRKT2_EXadL_ZNS_11gelu_kernelIfEEfRKT_EELi8EEEvPT0_PS8_PKT1_PS2_il, .Lfunc_end429-_ZN5aiter23act_and_mul_bias_kernelIttsfTnPFfRKT2_EXadL_ZNS_11gelu_kernelIfEEfRKT_EELi8EEEvPT0_PS8_PKT1_PS2_il
                                        ; -- End function
	.section	.AMDGPU.csdata,"",@progbits
; Kernel info:
; codeLenInByte = 2936
; NumSgprs: 48
; NumVgprs: 36
; NumAgprs: 0
; TotalNumVgprs: 36
; ScratchSize: 0
; MemoryBound: 0
; FloatMode: 240
; IeeeMode: 1
; LDSByteSize: 0 bytes/workgroup (compile time only)
; SGPRBlocks: 5
; VGPRBlocks: 4
; NumSGPRsForWavesPerEU: 48
; NumVGPRsForWavesPerEU: 36
; AccumOffset: 36
; Occupancy: 8
; WaveLimiterHint : 0
; COMPUTE_PGM_RSRC2:SCRATCH_EN: 0
; COMPUTE_PGM_RSRC2:USER_SGPR: 2
; COMPUTE_PGM_RSRC2:TRAP_HANDLER: 0
; COMPUTE_PGM_RSRC2:TGID_X_EN: 1
; COMPUTE_PGM_RSRC2:TGID_Y_EN: 0
; COMPUTE_PGM_RSRC2:TGID_Z_EN: 0
; COMPUTE_PGM_RSRC2:TIDIG_COMP_CNT: 0
; COMPUTE_PGM_RSRC3_GFX90A:ACCUM_OFFSET: 8
; COMPUTE_PGM_RSRC3_GFX90A:TG_SPLIT: 0
	.section	.text._ZN5aiter23act_and_mul_bias_kernelIttsfTnPFfRKT2_EXadL_ZNS_11gelu_kernelIfEEfRKT_EELi4EEEvPT0_PS8_PKT1_PS2_il,"axG",@progbits,_ZN5aiter23act_and_mul_bias_kernelIttsfTnPFfRKT2_EXadL_ZNS_11gelu_kernelIfEEfRKT_EELi4EEEvPT0_PS8_PKT1_PS2_il,comdat
	.protected	_ZN5aiter23act_and_mul_bias_kernelIttsfTnPFfRKT2_EXadL_ZNS_11gelu_kernelIfEEfRKT_EELi4EEEvPT0_PS8_PKT1_PS2_il ; -- Begin function _ZN5aiter23act_and_mul_bias_kernelIttsfTnPFfRKT2_EXadL_ZNS_11gelu_kernelIfEEfRKT_EELi4EEEvPT0_PS8_PKT1_PS2_il
	.globl	_ZN5aiter23act_and_mul_bias_kernelIttsfTnPFfRKT2_EXadL_ZNS_11gelu_kernelIfEEfRKT_EELi4EEEvPT0_PS8_PKT1_PS2_il
	.p2align	8
	.type	_ZN5aiter23act_and_mul_bias_kernelIttsfTnPFfRKT2_EXadL_ZNS_11gelu_kernelIfEEfRKT_EELi4EEEvPT0_PS8_PKT1_PS2_il,@function
_ZN5aiter23act_and_mul_bias_kernelIttsfTnPFfRKT2_EXadL_ZNS_11gelu_kernelIfEEfRKT_EELi4EEEvPT0_PS8_PKT1_PS2_il: ; @_ZN5aiter23act_and_mul_bias_kernelIttsfTnPFfRKT2_EXadL_ZNS_11gelu_kernelIfEEfRKT_EELi4EEEvPT0_PS8_PKT1_PS2_il
; %bb.0:
	s_load_dword s24, s[0:1], 0x20
	s_load_dwordx2 s[4:5], s[0:1], 0x10
	s_load_dwordx2 s[6:7], s[0:1], 0x28
	s_mov_b32 s3, 0
	s_lshl_b64 s[8:9], s[2:3], 1
	s_waitcnt lgkmcnt(0)
	s_ashr_i32 s25, s24, 31
	s_add_u32 s4, s4, s8
	s_addc_u32 s5, s5, s9
	v_mov_b32_e32 v1, 0
	global_load_ushort v1, v1, s[4:5]
	s_mul_hi_u32 s3, s24, s2
	v_mov_b64_e32 v[2:3], s[6:7]
	s_mul_i32 s6, s25, s2
	s_add_i32 s7, s24, 1
	s_add_i32 s9, s3, s6
	s_lshr_b32 s3, s7, 31
	s_load_dwordx2 s[4:5], s[0:1], 0x0
	s_add_i32 s7, s7, s3
	s_lshl_b32 s3, s7, 1
	s_mul_i32 s8, s24, s2
	s_and_b32 s6, s3, -4
	s_lshl_b64 s[12:13], s[8:9], 1
	s_mov_b64 s[10:11], -1
	v_lshlrev_b32_e32 v8, 2, v0
	s_waitcnt vmcnt(0)
	v_readfirstlane_b32 s3, v1
	s_sext_i32_i16 s8, s3
	s_ashr_i32 s9, s8, 31
	s_waitcnt lgkmcnt(0)
	s_add_u32 s4, s4, s12
	s_addc_u32 s3, s5, s13
	s_and_b32 s5, s3, 0xffff
	s_cmp_gt_i32 s8, -1
	v_cmp_lt_i64_e32 vcc, s[8:9], v[2:3]
	s_cselect_b64 s[12:13], -1, 0
	s_and_b64 s[12:13], s[12:13], vcc
	s_and_b64 vcc, exec, s[12:13]
	s_cbranch_vccnz .LBB430_5
; %bb.1:
	v_cmp_gt_i32_e32 vcc, s24, v8
	s_and_saveexec_b64 s[10:11], vcc
	s_cbranch_execz .LBB430_4
; %bb.2:
	s_load_dword s3, s[0:1], 0x3c
	v_mov_b32_e32 v9, 0
	s_mov_b32 s13, 0
	v_lshlrev_b32_e32 v4, 3, v0
	s_mov_b64 s[14:15], 0
	s_waitcnt lgkmcnt(0)
	s_and_b32 s3, s3, 0xffff
	s_lshl_b32 s12, s3, 2
	s_lshl_b32 s3, s3, 3
	s_mov_b32 s7, 0x20000
	v_mov_b32_e32 v0, v9
	v_mov_b32_e32 v1, v9
	v_mov_b64_e32 v[2:3], v[8:9]
.LBB430_3:                              ; =>This Inner Loop Header: Depth=1
	v_lshl_add_u64 v[2:3], s[12:13], 0, v[2:3]
	v_cmp_le_i64_e32 vcc, s[24:25], v[2:3]
	buffer_store_dwordx2 v[0:1], v4, s[4:7], 0 offen
	s_or_b64 s[14:15], vcc, s[14:15]
	v_add_u32_e32 v4, s3, v4
	s_andn2_b64 exec, exec, s[14:15]
	s_cbranch_execnz .LBB430_3
.LBB430_4:
	s_or_b64 exec, exec, s[10:11]
	s_mov_b64 s[10:11], 0
.LBB430_5:
	s_andn2_b64 vcc, exec, s[10:11]
	s_cbranch_vccnz .LBB430_25
; %bb.6:
	v_cmp_gt_i32_e32 vcc, s24, v8
	s_and_saveexec_b64 s[10:11], vcc
	s_cbranch_execz .LBB430_25
; %bb.7:
	s_load_dwordx2 s[10:11], s[0:1], 0x18
	s_load_dwordx2 s[14:15], s[0:1], 0x8
	s_mul_hi_i32 s9, s24, s8
	s_mul_i32 s8, s24, s8
	s_lshl_b64 s[8:9], s[8:9], 3
	s_waitcnt lgkmcnt(0)
	s_add_u32 s8, s10, s8
	s_addc_u32 s3, s11, s9
	s_lshl_b64 s[10:11], s[24:25], 2
	s_add_u32 s12, s8, s10
	s_addc_u32 s13, s3, s11
	s_and_b32 s9, s3, 0xffff
	s_mul_i32 s3, s2, s25
	s_mul_hi_u32 s16, s2, s24
	s_add_i32 s3, s16, s3
	s_mul_i32 s2, s2, s24
	s_lshl_b32 s10, s24, 2
	s_and_b32 s13, s13, 0xffff
	s_lshl_b64 s[2:3], s[2:3], 2
	s_add_u32 s16, s14, s2
	s_addc_u32 s14, s15, s3
	s_lshl_b64 s[2:3], s[24:25], 1
	s_add_u32 s20, s16, s2
	s_addc_u32 s2, s14, s3
	s_and_b32 s17, s14, 0xffff
	s_and_b32 s21, s2, 0xffff
	s_mov_b32 s7, 0x20000
	s_add_u32 s0, s0, 48
	s_mov_b32 s11, s7
	s_mov_b64 s[22:23], s[6:7]
	v_mov_b32_e32 v9, 0
	s_addc_u32 s1, s1, 0
	s_mov_b64 s[2:3], 0
	s_mov_b32 s18, s6
	s_mov_b32 s19, s7
	;; [unrolled: 1-line block ×12, first 2 shown]
	v_mov_b32_e32 v14, 0x3ba10414
	s_brev_b32 s38, -2
	s_mov_b32 s39, 0x7060302
	v_mov_b32_e32 v15, 0xb9c68948
	v_mov_b32_e32 v16, 0x7f800000
                                        ; implicit-def: $vgpr0
                                        ; implicit-def: $vgpr0
	;; [unrolled: 1-line block ×4, first 2 shown]
	s_branch .LBB430_9
.LBB430_8:                              ;   in Loop: Header=BB430_9 Depth=1
	s_or_b64 exec, exec, s[14:15]
	v_bfi_b32 v5, s38, v6, v5
	v_mul_f32_e32 v4, 0.5, v4
	v_add_f32_e32 v5, 1.0, v5
	v_mul_f32_e32 v4, v4, v5
	v_and_b32_e32 v5, 0xffff0000, v11
	v_add_f32_e32 v3, v3, v5
	v_lshlrev_b32_e32 v5, 16, v11
	v_bfi_b32 v6, s38, v12, v10
	v_add_f32_e32 v2, v2, v5
	v_mul_f32_e32 v5, 0.5, v7
	v_add_f32_e32 v6, 1.0, v6
	v_mul_f32_e32 v5, v5, v6
	;;#ASMSTART
	v_pk_mul_f32 v[2:3], v[4:5], v[2:3]
	;;#ASMEND
	s_load_dword s14, s[0:1], 0xc
	v_perm_b32 v3, v3, v2, s39
	v_perm_b32 v2, v1, v0, s39
	buffer_store_dwordx2 v[2:3], v17, s[4:7], 0 offen
	s_waitcnt lgkmcnt(0)
	s_and_b32 s14, s14, 0xffff
	s_lshl_b32 s26, s14, 2
	v_lshl_add_u64 v[8:9], s[26:27], 0, v[8:9]
	v_cmp_le_i64_e32 vcc, s[24:25], v[8:9]
	s_or_b64 s[2:3], vcc, s[2:3]
	s_andn2_b64 exec, exec, s[2:3]
	s_cbranch_execz .LBB430_25
.LBB430_9:                              ; =>This Inner Loop Header: Depth=1
	v_lshlrev_b32_e32 v17, 1, v8
	v_lshlrev_b32_e32 v0, 2, v8
	buffer_load_dwordx2 v[12:13], v17, s[16:19], 0 offen
	buffer_load_dwordx2 v[10:11], v17, s[20:23], 0 offen
	buffer_load_dwordx4 v[4:7], v0, s[8:11], 0 offen
	s_mov_b32 s14, s10
	s_mov_b32 s15, s11
	buffer_load_dwordx4 v[0:3], v0, s[12:15], 0 offen
                                        ; implicit-def: $vgpr19
	s_waitcnt vmcnt(3)
	v_lshlrev_b32_e32 v18, 16, v12
	s_waitcnt vmcnt(1)
	v_add_f32_e32 v4, v4, v18
	v_mul_f32_e32 v18, 0x3f3504f3, v4
	v_cmp_nlt_f32_e64 s[14:15], |v18|, 1.0
	s_and_saveexec_b64 s[40:41], s[14:15]
	s_xor_b64 s[14:15], exec, s[40:41]
	s_cbranch_execz .LBB430_11
; %bb.10:                               ;   in Loop: Header=BB430_9 Depth=1
	v_fma_f32 v19, |v18|, s28, v15
	v_fma_f32 v19, |v18|, v19, s29
	;; [unrolled: 1-line block ×6, first 2 shown]
	v_fma_f32 v19, |v18|, v19, |v18|
	v_mul_f32_e32 v20, 0xbfb8aa3b, v19
	v_fma_f32 v21, v19, s35, -v20
	v_rndne_f32_e32 v22, v20
	v_fmac_f32_e32 v21, 0xb2a5705f, v19
	v_sub_f32_e32 v20, v20, v22
	v_add_f32_e32 v20, v20, v21
	v_cvt_i32_f32_e32 v21, v22
	v_exp_f32_e32 v20, v20
	v_cmp_nlt_f32_e32 vcc, s36, v19
	v_ldexp_f32 v20, v20, v21
	s_nop 0
	v_cndmask_b32_e32 v20, 0, v20, vcc
	v_cmp_ngt_f32_e32 vcc, s37, v19
	s_nop 1
	v_cndmask_b32_e32 v19, v16, v20, vcc
	v_sub_f32_e32 v19, 1.0, v19
.LBB430_11:                             ;   in Loop: Header=BB430_9 Depth=1
	s_andn2_saveexec_b64 s[14:15], s[14:15]
; %bb.12:                               ;   in Loop: Header=BB430_9 Depth=1
	v_mul_f32_e32 v19, v18, v18
	v_fmamk_f32 v20, v19, 0xba1345e1, v14
	v_fmaak_f32 v20, v19, v20, 0xbcdac9b8
	v_fmaak_f32 v20, v19, v20, 0x3de703be
	;; [unrolled: 1-line block ×4, first 2 shown]
	v_fma_f32 v19, |v18|, v19, |v18|
; %bb.13:                               ;   in Loop: Header=BB430_9 Depth=1
	s_or_b64 exec, exec, s[14:15]
	v_and_b32_e32 v12, 0xffff0000, v12
	v_add_f32_e32 v5, v5, v12
	v_mul_f32_e32 v12, 0x3f3504f3, v5
	v_cmp_nlt_f32_e64 s[14:15], |v12|, 1.0
                                        ; implicit-def: $vgpr20
	s_and_saveexec_b64 s[40:41], s[14:15]
	s_xor_b64 s[14:15], exec, s[40:41]
	s_cbranch_execz .LBB430_15
; %bb.14:                               ;   in Loop: Header=BB430_9 Depth=1
	v_fma_f32 v20, |v12|, s28, v15
	v_fma_f32 v20, |v12|, v20, s29
	;; [unrolled: 1-line block ×6, first 2 shown]
	v_fma_f32 v20, |v12|, v20, |v12|
	v_mul_f32_e32 v21, 0xbfb8aa3b, v20
	v_fma_f32 v22, v20, s35, -v21
	v_rndne_f32_e32 v23, v21
	v_fmac_f32_e32 v22, 0xb2a5705f, v20
	v_sub_f32_e32 v21, v21, v23
	v_add_f32_e32 v21, v21, v22
	v_cvt_i32_f32_e32 v22, v23
	v_exp_f32_e32 v21, v21
	v_cmp_nlt_f32_e32 vcc, s36, v20
	v_ldexp_f32 v21, v21, v22
	s_nop 0
	v_cndmask_b32_e32 v21, 0, v21, vcc
	v_cmp_ngt_f32_e32 vcc, s37, v20
	s_nop 1
	v_cndmask_b32_e32 v20, v16, v21, vcc
	v_sub_f32_e32 v20, 1.0, v20
.LBB430_15:                             ;   in Loop: Header=BB430_9 Depth=1
	s_andn2_saveexec_b64 s[14:15], s[14:15]
; %bb.16:                               ;   in Loop: Header=BB430_9 Depth=1
	v_mul_f32_e32 v20, v12, v12
	v_fmamk_f32 v21, v20, 0xba1345e1, v14
	v_fmaak_f32 v21, v20, v21, 0xbcdac9b8
	v_fmaak_f32 v21, v20, v21, 0x3de703be
	;; [unrolled: 1-line block ×4, first 2 shown]
	v_fma_f32 v20, |v12|, v20, |v12|
; %bb.17:                               ;   in Loop: Header=BB430_9 Depth=1
	s_or_b64 exec, exec, s[14:15]
	v_bfi_b32 v18, s38, v19, v18
	v_mul_f32_e32 v4, 0.5, v4
	v_add_f32_e32 v18, 1.0, v18
	v_mul_f32_e32 v4, v4, v18
	v_and_b32_e32 v18, 0xffff0000, v10
	v_lshlrev_b32_e32 v10, 16, v10
	s_waitcnt vmcnt(0)
	v_add_f32_e32 v0, v0, v10
	v_bfi_b32 v10, s38, v20, v12
	v_add_f32_e32 v1, v1, v18
	v_mul_f32_e32 v5, 0.5, v5
	v_add_f32_e32 v10, 1.0, v10
	v_mul_f32_e32 v5, v5, v10
	;;#ASMSTART
	v_pk_mul_f32 v[0:1], v[4:5], v[0:1]
	;;#ASMEND
	v_lshlrev_b32_e32 v4, 16, v13
	v_add_f32_e32 v4, v6, v4
	v_mul_f32_e32 v5, 0x3f3504f3, v4
	v_cmp_nlt_f32_e64 s[14:15], |v5|, 1.0
                                        ; implicit-def: $vgpr6
	s_and_saveexec_b64 s[40:41], s[14:15]
	s_xor_b64 s[14:15], exec, s[40:41]
	s_cbranch_execz .LBB430_19
; %bb.18:                               ;   in Loop: Header=BB430_9 Depth=1
	v_fma_f32 v6, |v5|, s28, v15
	v_fma_f32 v6, |v5|, v6, s29
	;; [unrolled: 1-line block ×6, first 2 shown]
	v_fma_f32 v6, |v5|, v6, |v5|
	v_mul_f32_e32 v10, 0xbfb8aa3b, v6
	v_fma_f32 v12, v6, s35, -v10
	v_rndne_f32_e32 v18, v10
	v_fmac_f32_e32 v12, 0xb2a5705f, v6
	v_sub_f32_e32 v10, v10, v18
	v_add_f32_e32 v10, v10, v12
	v_cvt_i32_f32_e32 v12, v18
	v_exp_f32_e32 v10, v10
	v_cmp_nlt_f32_e32 vcc, s36, v6
	v_ldexp_f32 v10, v10, v12
	s_nop 0
	v_cndmask_b32_e32 v10, 0, v10, vcc
	v_cmp_ngt_f32_e32 vcc, s37, v6
	s_nop 1
	v_cndmask_b32_e32 v6, v16, v10, vcc
	v_sub_f32_e32 v6, 1.0, v6
.LBB430_19:                             ;   in Loop: Header=BB430_9 Depth=1
	s_andn2_saveexec_b64 s[14:15], s[14:15]
; %bb.20:                               ;   in Loop: Header=BB430_9 Depth=1
	v_mul_f32_e32 v6, v5, v5
	v_fmamk_f32 v10, v6, 0xba1345e1, v14
	v_fmaak_f32 v10, v6, v10, 0xbcdac9b8
	v_fmaak_f32 v10, v6, v10, 0x3de703be
	;; [unrolled: 1-line block ×4, first 2 shown]
	v_fma_f32 v6, |v5|, v6, |v5|
; %bb.21:                               ;   in Loop: Header=BB430_9 Depth=1
	s_or_b64 exec, exec, s[14:15]
	v_and_b32_e32 v10, 0xffff0000, v13
	v_add_f32_e32 v7, v7, v10
	v_mul_f32_e32 v10, 0x3f3504f3, v7
	v_cmp_nlt_f32_e64 s[14:15], |v10|, 1.0
                                        ; implicit-def: $vgpr12
	s_and_saveexec_b64 s[40:41], s[14:15]
	s_xor_b64 s[14:15], exec, s[40:41]
	s_cbranch_execz .LBB430_23
; %bb.22:                               ;   in Loop: Header=BB430_9 Depth=1
	v_fma_f32 v12, |v10|, s28, v15
	v_fma_f32 v12, |v10|, v12, s29
	;; [unrolled: 1-line block ×6, first 2 shown]
	v_fma_f32 v12, |v10|, v12, |v10|
	v_mul_f32_e32 v13, 0xbfb8aa3b, v12
	v_fma_f32 v18, v12, s35, -v13
	v_rndne_f32_e32 v19, v13
	v_fmac_f32_e32 v18, 0xb2a5705f, v12
	v_sub_f32_e32 v13, v13, v19
	v_add_f32_e32 v13, v13, v18
	v_cvt_i32_f32_e32 v18, v19
	v_exp_f32_e32 v13, v13
	v_cmp_nlt_f32_e32 vcc, s36, v12
	v_ldexp_f32 v13, v13, v18
	s_nop 0
	v_cndmask_b32_e32 v13, 0, v13, vcc
	v_cmp_ngt_f32_e32 vcc, s37, v12
	s_nop 1
	v_cndmask_b32_e32 v12, v16, v13, vcc
	v_sub_f32_e32 v12, 1.0, v12
.LBB430_23:                             ;   in Loop: Header=BB430_9 Depth=1
	s_andn2_saveexec_b64 s[14:15], s[14:15]
	s_cbranch_execz .LBB430_8
; %bb.24:                               ;   in Loop: Header=BB430_9 Depth=1
	v_mul_f32_e32 v12, v10, v10
	v_fmamk_f32 v13, v12, 0xba1345e1, v14
	v_fmaak_f32 v13, v12, v13, 0xbcdac9b8
	v_fmaak_f32 v13, v12, v13, 0x3de703be
	;; [unrolled: 1-line block ×4, first 2 shown]
	v_fma_f32 v12, |v10|, v12, |v10|
	s_branch .LBB430_8
.LBB430_25:
	s_endpgm
	.section	.rodata,"a",@progbits
	.p2align	6, 0x0
	.amdhsa_kernel _ZN5aiter23act_and_mul_bias_kernelIttsfTnPFfRKT2_EXadL_ZNS_11gelu_kernelIfEEfRKT_EELi4EEEvPT0_PS8_PKT1_PS2_il
		.amdhsa_group_segment_fixed_size 0
		.amdhsa_private_segment_fixed_size 0
		.amdhsa_kernarg_size 304
		.amdhsa_user_sgpr_count 2
		.amdhsa_user_sgpr_dispatch_ptr 0
		.amdhsa_user_sgpr_queue_ptr 0
		.amdhsa_user_sgpr_kernarg_segment_ptr 1
		.amdhsa_user_sgpr_dispatch_id 0
		.amdhsa_user_sgpr_kernarg_preload_length 0
		.amdhsa_user_sgpr_kernarg_preload_offset 0
		.amdhsa_user_sgpr_private_segment_size 0
		.amdhsa_uses_dynamic_stack 0
		.amdhsa_enable_private_segment 0
		.amdhsa_system_sgpr_workgroup_id_x 1
		.amdhsa_system_sgpr_workgroup_id_y 0
		.amdhsa_system_sgpr_workgroup_id_z 0
		.amdhsa_system_sgpr_workgroup_info 0
		.amdhsa_system_vgpr_workitem_id 0
		.amdhsa_next_free_vgpr 24
		.amdhsa_next_free_sgpr 42
		.amdhsa_accum_offset 24
		.amdhsa_reserve_vcc 1
		.amdhsa_float_round_mode_32 0
		.amdhsa_float_round_mode_16_64 0
		.amdhsa_float_denorm_mode_32 3
		.amdhsa_float_denorm_mode_16_64 3
		.amdhsa_dx10_clamp 1
		.amdhsa_ieee_mode 1
		.amdhsa_fp16_overflow 0
		.amdhsa_tg_split 0
		.amdhsa_exception_fp_ieee_invalid_op 0
		.amdhsa_exception_fp_denorm_src 0
		.amdhsa_exception_fp_ieee_div_zero 0
		.amdhsa_exception_fp_ieee_overflow 0
		.amdhsa_exception_fp_ieee_underflow 0
		.amdhsa_exception_fp_ieee_inexact 0
		.amdhsa_exception_int_div_zero 0
	.end_amdhsa_kernel
	.section	.text._ZN5aiter23act_and_mul_bias_kernelIttsfTnPFfRKT2_EXadL_ZNS_11gelu_kernelIfEEfRKT_EELi4EEEvPT0_PS8_PKT1_PS2_il,"axG",@progbits,_ZN5aiter23act_and_mul_bias_kernelIttsfTnPFfRKT2_EXadL_ZNS_11gelu_kernelIfEEfRKT_EELi4EEEvPT0_PS8_PKT1_PS2_il,comdat
.Lfunc_end430:
	.size	_ZN5aiter23act_and_mul_bias_kernelIttsfTnPFfRKT2_EXadL_ZNS_11gelu_kernelIfEEfRKT_EELi4EEEvPT0_PS8_PKT1_PS2_il, .Lfunc_end430-_ZN5aiter23act_and_mul_bias_kernelIttsfTnPFfRKT2_EXadL_ZNS_11gelu_kernelIfEEfRKT_EELi4EEEvPT0_PS8_PKT1_PS2_il
                                        ; -- End function
	.section	.AMDGPU.csdata,"",@progbits
; Kernel info:
; codeLenInByte = 1820
; NumSgprs: 48
; NumVgprs: 24
; NumAgprs: 0
; TotalNumVgprs: 24
; ScratchSize: 0
; MemoryBound: 0
; FloatMode: 240
; IeeeMode: 1
; LDSByteSize: 0 bytes/workgroup (compile time only)
; SGPRBlocks: 5
; VGPRBlocks: 2
; NumSGPRsForWavesPerEU: 48
; NumVGPRsForWavesPerEU: 24
; AccumOffset: 24
; Occupancy: 8
; WaveLimiterHint : 0
; COMPUTE_PGM_RSRC2:SCRATCH_EN: 0
; COMPUTE_PGM_RSRC2:USER_SGPR: 2
; COMPUTE_PGM_RSRC2:TRAP_HANDLER: 0
; COMPUTE_PGM_RSRC2:TGID_X_EN: 1
; COMPUTE_PGM_RSRC2:TGID_Y_EN: 0
; COMPUTE_PGM_RSRC2:TGID_Z_EN: 0
; COMPUTE_PGM_RSRC2:TIDIG_COMP_CNT: 0
; COMPUTE_PGM_RSRC3_GFX90A:ACCUM_OFFSET: 5
; COMPUTE_PGM_RSRC3_GFX90A:TG_SPLIT: 0
	.section	.text._ZN5aiter23act_and_mul_bias_kernelIttsfTnPFfRKT2_EXadL_ZNS_11gelu_kernelIfEEfRKT_EELi2EEEvPT0_PS8_PKT1_PS2_il,"axG",@progbits,_ZN5aiter23act_and_mul_bias_kernelIttsfTnPFfRKT2_EXadL_ZNS_11gelu_kernelIfEEfRKT_EELi2EEEvPT0_PS8_PKT1_PS2_il,comdat
	.protected	_ZN5aiter23act_and_mul_bias_kernelIttsfTnPFfRKT2_EXadL_ZNS_11gelu_kernelIfEEfRKT_EELi2EEEvPT0_PS8_PKT1_PS2_il ; -- Begin function _ZN5aiter23act_and_mul_bias_kernelIttsfTnPFfRKT2_EXadL_ZNS_11gelu_kernelIfEEfRKT_EELi2EEEvPT0_PS8_PKT1_PS2_il
	.globl	_ZN5aiter23act_and_mul_bias_kernelIttsfTnPFfRKT2_EXadL_ZNS_11gelu_kernelIfEEfRKT_EELi2EEEvPT0_PS8_PKT1_PS2_il
	.p2align	8
	.type	_ZN5aiter23act_and_mul_bias_kernelIttsfTnPFfRKT2_EXadL_ZNS_11gelu_kernelIfEEfRKT_EELi2EEEvPT0_PS8_PKT1_PS2_il,@function
_ZN5aiter23act_and_mul_bias_kernelIttsfTnPFfRKT2_EXadL_ZNS_11gelu_kernelIfEEfRKT_EELi2EEEvPT0_PS8_PKT1_PS2_il: ; @_ZN5aiter23act_and_mul_bias_kernelIttsfTnPFfRKT2_EXadL_ZNS_11gelu_kernelIfEEfRKT_EELi2EEEvPT0_PS8_PKT1_PS2_il
; %bb.0:
	s_load_dword s24, s[0:1], 0x20
	s_load_dwordx2 s[4:5], s[0:1], 0x10
	s_load_dwordx2 s[6:7], s[0:1], 0x28
	s_mov_b32 s3, 0
	s_lshl_b64 s[8:9], s[2:3], 1
	s_waitcnt lgkmcnt(0)
	s_ashr_i32 s25, s24, 31
	s_add_u32 s4, s4, s8
	s_addc_u32 s5, s5, s9
	v_mov_b32_e32 v1, 0
	global_load_ushort v1, v1, s[4:5]
	s_mul_hi_u32 s3, s24, s2
	v_mov_b64_e32 v[2:3], s[6:7]
	s_mul_i32 s6, s25, s2
	s_add_i32 s7, s24, 1
	s_add_i32 s9, s3, s6
	s_lshr_b32 s3, s7, 31
	s_load_dwordx2 s[4:5], s[0:1], 0x0
	s_add_i32 s7, s7, s3
	s_lshl_b32 s3, s7, 1
	s_mul_i32 s8, s24, s2
	s_and_b32 s6, s3, -4
	s_lshl_b64 s[12:13], s[8:9], 1
	s_mov_b64 s[10:11], -1
	s_waitcnt vmcnt(0)
	v_readfirstlane_b32 s3, v1
	s_sext_i32_i16 s8, s3
	s_ashr_i32 s9, s8, 31
	s_waitcnt lgkmcnt(0)
	s_add_u32 s4, s4, s12
	s_addc_u32 s3, s5, s13
	s_and_b32 s5, s3, 0xffff
	s_cmp_gt_i32 s8, -1
	v_cmp_lt_i64_e32 vcc, s[8:9], v[2:3]
	s_cselect_b64 s[12:13], -1, 0
	s_and_b64 s[12:13], s[12:13], vcc
	s_and_b64 vcc, exec, s[12:13]
	v_lshlrev_b32_e32 v2, 1, v0
	s_cbranch_vccnz .LBB431_5
; %bb.1:
	v_cmp_gt_i32_e32 vcc, s24, v2
	s_and_saveexec_b64 s[10:11], vcc
	s_cbranch_execz .LBB431_4
; %bb.2:
	s_load_dword s3, s[0:1], 0x3c
	v_mov_b32_e32 v3, 0
	s_mov_b32 s13, 0
	v_lshlrev_b32_e32 v4, 2, v0
	s_mov_b64 s[14:15], 0
	s_waitcnt lgkmcnt(0)
	s_and_b32 s3, s3, 0xffff
	s_lshl_b32 s12, s3, 1
	s_lshl_b32 s3, s3, 2
	s_mov_b32 s7, 0x20000
	v_mov_b64_e32 v[0:1], v[2:3]
.LBB431_3:                              ; =>This Inner Loop Header: Depth=1
	v_lshl_add_u64 v[0:1], s[12:13], 0, v[0:1]
	v_cmp_le_i64_e32 vcc, s[24:25], v[0:1]
	buffer_store_dword v3, v4, s[4:7], 0 offen
	s_or_b64 s[14:15], vcc, s[14:15]
	v_add_u32_e32 v4, s3, v4
	s_andn2_b64 exec, exec, s[14:15]
	s_cbranch_execnz .LBB431_3
.LBB431_4:
	s_or_b64 exec, exec, s[10:11]
	s_mov_b64 s[10:11], 0
.LBB431_5:
	s_andn2_b64 vcc, exec, s[10:11]
	s_cbranch_vccnz .LBB431_13
; %bb.6:
	v_cmp_gt_i32_e32 vcc, s24, v2
	s_and_saveexec_b64 s[10:11], vcc
	s_cbranch_execz .LBB431_13
; %bb.7:
	s_load_dwordx2 s[10:11], s[0:1], 0x18
	s_load_dwordx2 s[14:15], s[0:1], 0x8
	s_mul_hi_i32 s9, s24, s8
	s_mul_i32 s8, s24, s8
	s_lshl_b64 s[8:9], s[8:9], 3
	s_waitcnt lgkmcnt(0)
	s_add_u32 s8, s10, s8
	s_addc_u32 s3, s11, s9
	s_lshl_b64 s[10:11], s[24:25], 2
	s_add_u32 s12, s8, s10
	s_addc_u32 s13, s3, s11
	s_and_b32 s9, s3, 0xffff
	s_mul_i32 s3, s2, s25
	s_mul_hi_u32 s16, s2, s24
	s_add_i32 s3, s16, s3
	s_mul_i32 s2, s2, s24
	s_lshl_b32 s10, s24, 2
	s_and_b32 s13, s13, 0xffff
	s_lshl_b64 s[2:3], s[2:3], 2
	s_add_u32 s16, s14, s2
	s_addc_u32 s14, s15, s3
	s_lshl_b64 s[2:3], s[24:25], 1
	s_add_u32 s20, s16, s2
	s_addc_u32 s2, s14, s3
	s_and_b32 s17, s14, 0xffff
	s_and_b32 s21, s2, 0xffff
	s_mov_b32 s7, 0x20000
	s_add_u32 s0, s0, 48
	s_mov_b32 s11, s7
	s_mov_b64 s[22:23], s[6:7]
	v_mov_b32_e32 v3, 0
	s_addc_u32 s1, s1, 0
	s_mov_b64 s[2:3], 0
	s_mov_b32 s18, s6
	s_mov_b32 s19, s7
	;; [unrolled: 1-line block ×13, first 2 shown]
	v_mov_b32_e32 v10, 0x3ba10414
	v_mov_b32_e32 v11, 0xb9c68948
	;; [unrolled: 1-line block ×3, first 2 shown]
	s_brev_b32 s39, -2
	s_mov_b32 s40, 0x7060302
                                        ; implicit-def: $vgpr0
                                        ; implicit-def: $vgpr0
	;; [unrolled: 1-line block ×4, first 2 shown]
	s_branch .LBB431_9
.LBB431_8:                              ;   in Loop: Header=BB431_9 Depth=1
	s_or_b64 exec, exec, s[14:15]
	v_fma_f32 v8, |v1|, s29, v11
	v_fma_f32 v8, |v1|, v8, s30
	;; [unrolled: 1-line block ×6, first 2 shown]
	v_fma_f32 v8, |v1|, v8, |v1|
	v_mul_f32_e32 v16, 0xbfb8aa3b, v8
	v_fma_f32 v17, v8, s36, -v16
	v_rndne_f32_e32 v18, v16
	v_fmac_f32_e32 v17, 0xb2a5705f, v8
	v_sub_f32_e32 v16, v16, v18
	v_add_f32_e32 v16, v16, v17
	v_exp_f32_e32 v19, v16
	v_cvt_i32_f32_e32 v18, v18
	v_and_b32_e32 v17, 0xffff0000, v14
	v_lshlrev_b32_e32 v16, 16, v14
	v_cmp_nlt_f32_e32 vcc, s37, v8
	v_ldexp_f32 v14, v19, v18
	v_bfi_b32 v0, s39, v15, v0
	v_cndmask_b32_e32 v14, 0, v14, vcc
	v_cmp_ngt_f32_e32 vcc, s38, v8
	v_mul_f32_e32 v5, 0.5, v5
	v_mul_f32_e32 v4, 0.5, v4
	v_cndmask_b32_e32 v8, v12, v14, vcc
	v_fmamk_f32 v14, v9, 0xba1345e1, v10
	v_fmaak_f32 v14, v9, v14, 0xbcdac9b8
	v_fmaak_f32 v14, v9, v14, 0x3de703be
	;; [unrolled: 1-line block ×4, first 2 shown]
	v_sub_f32_e32 v8, 1.0, v8
	v_fma_f32 v9, |v1|, v9, |v1|
	v_cmp_lt_f32_e64 vcc, |v1|, 1.0
	s_waitcnt vmcnt(0)
	v_pk_add_f32 v[6:7], v[6:7], v[16:17]
	v_cndmask_b32_e32 v8, v8, v9, vcc
	v_bfi_b32 v1, s39, v8, v1
	v_pk_add_f32 v[0:1], v[0:1], 1.0 op_sel_hi:[1,0]
	s_nop 0
	v_pk_mul_f32 v[0:1], v[4:5], v[0:1]
	s_nop 0
	;;#ASMSTART
	v_pk_mul_f32 v[0:1], v[0:1], v[6:7]
	;;#ASMEND
	s_load_dword s14, s[0:1], 0xc
	v_perm_b32 v0, v1, v0, s40
	buffer_store_dword v0, v13, s[4:7], 0 offen
	s_waitcnt lgkmcnt(0)
	s_and_b32 s14, s14, 0xffff
	s_lshl_b32 s26, s14, 1
	v_lshl_add_u64 v[2:3], s[26:27], 0, v[2:3]
	v_cmp_le_i64_e32 vcc, s[24:25], v[2:3]
	s_or_b64 s[2:3], vcc, s[2:3]
	s_andn2_b64 exec, exec, s[2:3]
	s_cbranch_execz .LBB431_13
.LBB431_9:                              ; =>This Inner Loop Header: Depth=1
	v_lshlrev_b32_e32 v13, 1, v2
	v_lshlrev_b32_e32 v5, 2, v2
	buffer_load_dword v4, v13, s[16:19], 0 offen
	buffer_load_dword v14, v13, s[20:23], 0 offen
	buffer_load_dwordx2 v[0:1], v5, s[8:11], 0 offen
	s_mov_b32 s14, s10
	s_mov_b32 s15, s11
	buffer_load_dwordx2 v[6:7], v5, s[12:15], 0 offen
                                        ; implicit-def: $vgpr15
	s_waitcnt vmcnt(3)
	v_and_b32_e32 v5, 0xffff0000, v4
	v_lshlrev_b32_e32 v4, 16, v4
	s_waitcnt vmcnt(1)
	v_pk_add_f32 v[4:5], v[0:1], v[4:5]
	s_nop 0
	v_pk_mul_f32 v[0:1], v[4:5], s[28:29] op_sel_hi:[1,0]
	s_nop 0
	v_cmp_nlt_f32_e64 s[14:15], |v0|, 1.0
	s_and_saveexec_b64 s[42:43], s[14:15]
	s_xor_b64 s[14:15], exec, s[42:43]
	s_cbranch_execz .LBB431_11
; %bb.10:                               ;   in Loop: Header=BB431_9 Depth=1
	v_fma_f32 v8, |v0|, s29, v11
	v_fma_f32 v8, |v0|, v8, s30
	;; [unrolled: 1-line block ×6, first 2 shown]
	v_fma_f32 v8, |v0|, v8, |v0|
	v_mul_f32_e32 v9, 0xbfb8aa3b, v8
	v_fma_f32 v15, v8, s36, -v9
	v_rndne_f32_e32 v16, v9
	v_fmac_f32_e32 v15, 0xb2a5705f, v8
	v_sub_f32_e32 v9, v9, v16
	v_add_f32_e32 v9, v9, v15
	v_cvt_i32_f32_e32 v15, v16
	v_exp_f32_e32 v9, v9
	v_cmp_nlt_f32_e32 vcc, s37, v8
	v_ldexp_f32 v9, v9, v15
	s_nop 0
	v_cndmask_b32_e32 v9, 0, v9, vcc
	v_cmp_ngt_f32_e32 vcc, s38, v8
	s_nop 1
	v_cndmask_b32_e32 v8, v12, v9, vcc
	v_sub_f32_e32 v15, 1.0, v8
.LBB431_11:                             ;   in Loop: Header=BB431_9 Depth=1
	s_or_saveexec_b64 s[14:15], s[14:15]
	v_pk_mul_f32 v[8:9], v[0:1], v[0:1]
	s_xor_b64 exec, exec, s[14:15]
	s_cbranch_execz .LBB431_8
; %bb.12:                               ;   in Loop: Header=BB431_9 Depth=1
	v_fmamk_f32 v15, v8, 0xba1345e1, v10
	v_fmaak_f32 v15, v8, v15, 0xbcdac9b8
	v_fmaak_f32 v15, v8, v15, 0x3de703be
	;; [unrolled: 1-line block ×4, first 2 shown]
	v_fma_f32 v15, |v0|, v8, |v0|
	s_branch .LBB431_8
.LBB431_13:
	s_endpgm
	.section	.rodata,"a",@progbits
	.p2align	6, 0x0
	.amdhsa_kernel _ZN5aiter23act_and_mul_bias_kernelIttsfTnPFfRKT2_EXadL_ZNS_11gelu_kernelIfEEfRKT_EELi2EEEvPT0_PS8_PKT1_PS2_il
		.amdhsa_group_segment_fixed_size 0
		.amdhsa_private_segment_fixed_size 0
		.amdhsa_kernarg_size 304
		.amdhsa_user_sgpr_count 2
		.amdhsa_user_sgpr_dispatch_ptr 0
		.amdhsa_user_sgpr_queue_ptr 0
		.amdhsa_user_sgpr_kernarg_segment_ptr 1
		.amdhsa_user_sgpr_dispatch_id 0
		.amdhsa_user_sgpr_kernarg_preload_length 0
		.amdhsa_user_sgpr_kernarg_preload_offset 0
		.amdhsa_user_sgpr_private_segment_size 0
		.amdhsa_uses_dynamic_stack 0
		.amdhsa_enable_private_segment 0
		.amdhsa_system_sgpr_workgroup_id_x 1
		.amdhsa_system_sgpr_workgroup_id_y 0
		.amdhsa_system_sgpr_workgroup_id_z 0
		.amdhsa_system_sgpr_workgroup_info 0
		.amdhsa_system_vgpr_workitem_id 0
		.amdhsa_next_free_vgpr 20
		.amdhsa_next_free_sgpr 44
		.amdhsa_accum_offset 20
		.amdhsa_reserve_vcc 1
		.amdhsa_float_round_mode_32 0
		.amdhsa_float_round_mode_16_64 0
		.amdhsa_float_denorm_mode_32 3
		.amdhsa_float_denorm_mode_16_64 3
		.amdhsa_dx10_clamp 1
		.amdhsa_ieee_mode 1
		.amdhsa_fp16_overflow 0
		.amdhsa_tg_split 0
		.amdhsa_exception_fp_ieee_invalid_op 0
		.amdhsa_exception_fp_denorm_src 0
		.amdhsa_exception_fp_ieee_div_zero 0
		.amdhsa_exception_fp_ieee_overflow 0
		.amdhsa_exception_fp_ieee_underflow 0
		.amdhsa_exception_fp_ieee_inexact 0
		.amdhsa_exception_int_div_zero 0
	.end_amdhsa_kernel
	.section	.text._ZN5aiter23act_and_mul_bias_kernelIttsfTnPFfRKT2_EXadL_ZNS_11gelu_kernelIfEEfRKT_EELi2EEEvPT0_PS8_PKT1_PS2_il,"axG",@progbits,_ZN5aiter23act_and_mul_bias_kernelIttsfTnPFfRKT2_EXadL_ZNS_11gelu_kernelIfEEfRKT_EELi2EEEvPT0_PS8_PKT1_PS2_il,comdat
.Lfunc_end431:
	.size	_ZN5aiter23act_and_mul_bias_kernelIttsfTnPFfRKT2_EXadL_ZNS_11gelu_kernelIfEEfRKT_EELi2EEEvPT0_PS8_PKT1_PS2_il, .Lfunc_end431-_ZN5aiter23act_and_mul_bias_kernelIttsfTnPFfRKT2_EXadL_ZNS_11gelu_kernelIfEEfRKT_EELi2EEEvPT0_PS8_PKT1_PS2_il
                                        ; -- End function
	.section	.AMDGPU.csdata,"",@progbits
; Kernel info:
; codeLenInByte = 1264
; NumSgprs: 50
; NumVgprs: 20
; NumAgprs: 0
; TotalNumVgprs: 20
; ScratchSize: 0
; MemoryBound: 0
; FloatMode: 240
; IeeeMode: 1
; LDSByteSize: 0 bytes/workgroup (compile time only)
; SGPRBlocks: 6
; VGPRBlocks: 2
; NumSGPRsForWavesPerEU: 50
; NumVGPRsForWavesPerEU: 20
; AccumOffset: 20
; Occupancy: 8
; WaveLimiterHint : 0
; COMPUTE_PGM_RSRC2:SCRATCH_EN: 0
; COMPUTE_PGM_RSRC2:USER_SGPR: 2
; COMPUTE_PGM_RSRC2:TRAP_HANDLER: 0
; COMPUTE_PGM_RSRC2:TGID_X_EN: 1
; COMPUTE_PGM_RSRC2:TGID_Y_EN: 0
; COMPUTE_PGM_RSRC2:TGID_Z_EN: 0
; COMPUTE_PGM_RSRC2:TIDIG_COMP_CNT: 0
; COMPUTE_PGM_RSRC3_GFX90A:ACCUM_OFFSET: 4
; COMPUTE_PGM_RSRC3_GFX90A:TG_SPLIT: 0
	.section	.text._ZN5aiter23act_and_mul_bias_kernelIttsfTnPFfRKT2_EXadL_ZNS_11gelu_kernelIfEEfRKT_EELi1EEEvPT0_PS8_PKT1_PS2_il,"axG",@progbits,_ZN5aiter23act_and_mul_bias_kernelIttsfTnPFfRKT2_EXadL_ZNS_11gelu_kernelIfEEfRKT_EELi1EEEvPT0_PS8_PKT1_PS2_il,comdat
	.protected	_ZN5aiter23act_and_mul_bias_kernelIttsfTnPFfRKT2_EXadL_ZNS_11gelu_kernelIfEEfRKT_EELi1EEEvPT0_PS8_PKT1_PS2_il ; -- Begin function _ZN5aiter23act_and_mul_bias_kernelIttsfTnPFfRKT2_EXadL_ZNS_11gelu_kernelIfEEfRKT_EELi1EEEvPT0_PS8_PKT1_PS2_il
	.globl	_ZN5aiter23act_and_mul_bias_kernelIttsfTnPFfRKT2_EXadL_ZNS_11gelu_kernelIfEEfRKT_EELi1EEEvPT0_PS8_PKT1_PS2_il
	.p2align	8
	.type	_ZN5aiter23act_and_mul_bias_kernelIttsfTnPFfRKT2_EXadL_ZNS_11gelu_kernelIfEEfRKT_EELi1EEEvPT0_PS8_PKT1_PS2_il,@function
_ZN5aiter23act_and_mul_bias_kernelIttsfTnPFfRKT2_EXadL_ZNS_11gelu_kernelIfEEfRKT_EELi1EEEvPT0_PS8_PKT1_PS2_il: ; @_ZN5aiter23act_and_mul_bias_kernelIttsfTnPFfRKT2_EXadL_ZNS_11gelu_kernelIfEEfRKT_EELi1EEEvPT0_PS8_PKT1_PS2_il
; %bb.0:
	s_load_dword s20, s[0:1], 0x20
	s_load_dwordx2 s[4:5], s[0:1], 0x10
	s_load_dwordx2 s[6:7], s[0:1], 0x28
	s_mov_b32 s3, 0
	s_lshl_b64 s[8:9], s[2:3], 1
	s_waitcnt lgkmcnt(0)
	s_ashr_i32 s21, s20, 31
	s_add_u32 s4, s4, s8
	s_addc_u32 s5, s5, s9
	v_mov_b32_e32 v1, 0
	global_load_ushort v1, v1, s[4:5]
	s_mul_hi_u32 s3, s20, s2
	v_mov_b64_e32 v[2:3], s[6:7]
	s_mul_i32 s6, s21, s2
	s_add_i32 s7, s20, 1
	s_add_i32 s9, s3, s6
	s_lshr_b32 s3, s7, 31
	s_load_dwordx2 s[4:5], s[0:1], 0x0
	s_add_i32 s7, s7, s3
	s_lshl_b32 s3, s7, 1
	s_and_b32 s10, s3, -4
	s_mul_i32 s8, s20, s2
	s_lshl_b64 s[8:9], s[8:9], 1
	s_mov_b64 s[12:13], -1
	s_waitcnt vmcnt(0)
	v_readfirstlane_b32 s3, v1
	s_sext_i32_i16 s6, s3
	s_ashr_i32 s7, s6, 31
	s_waitcnt lgkmcnt(0)
	s_add_u32 s8, s4, s8
	s_addc_u32 s3, s5, s9
	s_and_b32 s9, s3, 0xffff
	s_cmp_gt_i32 s6, -1
	v_cmp_lt_i64_e32 vcc, s[6:7], v[2:3]
	s_cselect_b64 s[4:5], -1, 0
	s_and_b64 s[4:5], s[4:5], vcc
	s_and_b64 vcc, exec, s[4:5]
	v_cmp_gt_i32_e64 s[4:5], s20, v0
	s_cbranch_vccnz .LBB432_5
; %bb.1:
	s_and_saveexec_b64 s[12:13], s[4:5]
	s_cbranch_execz .LBB432_4
; %bb.2:
	s_load_dword s3, s[0:1], 0x3c
	v_mov_b32_e32 v1, 0
	s_mov_b32 s5, 0
	v_lshlrev_b32_e32 v4, 1, v0
	s_mov_b64 s[14:15], 0
	s_waitcnt lgkmcnt(0)
	s_and_b32 s4, s3, 0xffff
	s_lshl_b32 s3, s4, 1
	s_mov_b32 s11, 0x20000
	v_mov_b64_e32 v[2:3], v[0:1]
.LBB432_3:                              ; =>This Inner Loop Header: Depth=1
	v_lshl_add_u64 v[2:3], v[2:3], 0, s[4:5]
	v_cmp_le_i64_e32 vcc, s[20:21], v[2:3]
	buffer_store_short v1, v4, s[8:11], 0 offen
	s_or_b64 s[14:15], vcc, s[14:15]
	v_add_u32_e32 v4, s3, v4
	s_andn2_b64 exec, exec, s[14:15]
	s_cbranch_execnz .LBB432_3
.LBB432_4:
	s_or_b64 exec, exec, s[12:13]
	s_mov_b64 s[12:13], 0
.LBB432_5:
	s_andn2_b64 vcc, exec, s[12:13]
	s_cbranch_vccnz .LBB432_13
; %bb.6:
	v_cmp_gt_i32_e32 vcc, s20, v0
	s_and_saveexec_b64 s[4:5], vcc
	s_cbranch_execz .LBB432_13
; %bb.7:
	s_load_dwordx2 s[12:13], s[0:1], 0x8
	s_load_dwordx2 s[4:5], s[0:1], 0x18
	s_mul_hi_i32 s7, s20, s6
	s_mul_i32 s6, s20, s6
	s_lshl_b64 s[6:7], s[6:7], 3
	s_load_dword s14, s[0:1], 0x3c
	s_waitcnt lgkmcnt(0)
	s_add_u32 s4, s4, s6
	s_addc_u32 s3, s5, s7
	s_lshl_b64 s[0:1], s[20:21], 2
	s_add_u32 s0, s4, s0
	s_addc_u32 s1, s3, s1
	s_and_b32 s5, s3, 0xffff
	s_mul_i32 s3, s2, s21
	s_mul_hi_u32 s15, s2, s20
	s_add_i32 s3, s15, s3
	s_mul_i32 s2, s2, s20
	s_lshl_b32 s6, s20, 2
	s_and_b32 s1, s1, 0xffff
	s_lshl_b64 s[2:3], s[2:3], 2
	s_add_u32 s12, s12, s2
	s_addc_u32 s13, s13, s3
	s_lshl_b64 s[2:3], s[20:21], 1
	s_add_u32 s16, s12, s2
	s_mov_b32 s11, 0x20000
	s_addc_u32 s2, s13, s3
	s_and_b32 s22, s14, 0xffff
                                        ; implicit-def: $vgpr5
                                        ; implicit-def: $vgpr5
                                        ; implicit-def: $vgpr5
                                        ; implicit-def: $vgpr5
	s_mov_b32 s7, s11
	s_and_b32 s13, s13, 0xffff
	s_mov_b64 s[18:19], s[10:11]
	s_and_b32 s17, s2, 0xffff
	s_mov_b32 s23, 0
	v_mov_b32_e32 v1, 0
	v_lshlrev_b32_e32 v2, 2, v0
	s_lshl_b32 s26, s22, 2
	v_lshlrev_b32_e32 v3, 1, v0
	s_lshl_b32 s27, s22, 1
	s_mov_b64 s[24:25], 0
	s_mov_b32 s14, s10
	s_mov_b32 s15, s11
	;; [unrolled: 1-line block ×11, first 2 shown]
	v_mov_b32_e32 v4, 0x3ba10414
	s_brev_b32 s38, -2
	v_mov_b32_e32 v5, 0xb9c68948
	v_mov_b32_e32 v6, 0x7f800000
	s_branch .LBB432_9
.LBB432_8:                              ;   in Loop: Header=BB432_9 Depth=1
	s_or_b64 exec, exec, s[2:3]
	v_lshlrev_b32_e32 v7, 16, v7
	s_waitcnt vmcnt(0)
	v_add_f32_e32 v7, v7, v8
	v_mul_f32_e32 v8, 0.5, v9
	v_bfi_b32 v9, s38, v11, v10
	v_add_f32_e32 v9, 1.0, v9
	v_mul_f32_e32 v8, v8, v9
	v_mul_f32_e32 v7, v7, v8
	v_lshl_add_u64 v[0:1], v[0:1], 0, s[22:23]
	v_lshrrev_b32_e32 v7, 16, v7
	v_cmp_le_i64_e32 vcc, s[20:21], v[0:1]
	buffer_store_short v7, v3, s[8:11], 0 offen
	v_add_u32_e32 v2, s26, v2
	s_or_b64 s[24:25], vcc, s[24:25]
	v_add_u32_e32 v3, s27, v3
	s_andn2_b64 exec, exec, s[24:25]
	s_cbranch_execz .LBB432_13
.LBB432_9:                              ; =>This Inner Loop Header: Depth=1
	buffer_load_ushort v9, v3, s[12:15], 0 offen
	buffer_load_ushort v7, v3, s[16:19], 0 offen
	buffer_load_dword v10, v2, s[4:7], 0 offen
	s_mov_b32 s2, s6
	s_mov_b32 s3, s7
	buffer_load_dword v8, v2, s[0:3], 0 offen
                                        ; implicit-def: $vgpr11
	s_waitcnt vmcnt(3)
	v_lshlrev_b32_e32 v9, 16, v9
	s_waitcnt vmcnt(1)
	v_add_f32_e32 v9, v9, v10
	v_mul_f32_e32 v10, 0x3f3504f3, v9
	v_cmp_nlt_f32_e64 s[2:3], |v10|, 1.0
	s_and_saveexec_b64 s[40:41], s[2:3]
	s_xor_b64 s[2:3], exec, s[40:41]
	s_cbranch_execz .LBB432_11
; %bb.10:                               ;   in Loop: Header=BB432_9 Depth=1
	v_fma_f32 v11, |v10|, s28, v5
	v_fma_f32 v11, |v10|, v11, s29
	;; [unrolled: 1-line block ×6, first 2 shown]
	v_fma_f32 v11, |v10|, v11, |v10|
	v_mul_f32_e32 v12, 0xbfb8aa3b, v11
	v_fma_f32 v13, v11, s35, -v12
	v_rndne_f32_e32 v14, v12
	v_fmac_f32_e32 v13, 0xb2a5705f, v11
	v_sub_f32_e32 v12, v12, v14
	v_add_f32_e32 v12, v12, v13
	v_cvt_i32_f32_e32 v13, v14
	v_exp_f32_e32 v12, v12
	v_cmp_nlt_f32_e32 vcc, s36, v11
	v_ldexp_f32 v12, v12, v13
	s_nop 0
	v_cndmask_b32_e32 v12, 0, v12, vcc
	v_cmp_ngt_f32_e32 vcc, s37, v11
	s_nop 1
	v_cndmask_b32_e32 v11, v6, v12, vcc
	v_sub_f32_e32 v11, 1.0, v11
.LBB432_11:                             ;   in Loop: Header=BB432_9 Depth=1
	s_andn2_saveexec_b64 s[2:3], s[2:3]
	s_cbranch_execz .LBB432_8
; %bb.12:                               ;   in Loop: Header=BB432_9 Depth=1
	v_mul_f32_e32 v11, v10, v10
	v_fmamk_f32 v12, v11, 0xba1345e1, v4
	v_fmaak_f32 v12, v11, v12, 0xbcdac9b8
	v_fmaak_f32 v12, v11, v12, 0x3de703be
	;; [unrolled: 1-line block ×4, first 2 shown]
	v_fma_f32 v11, |v10|, v11, |v10|
	s_branch .LBB432_8
.LBB432_13:
	s_endpgm
	.section	.rodata,"a",@progbits
	.p2align	6, 0x0
	.amdhsa_kernel _ZN5aiter23act_and_mul_bias_kernelIttsfTnPFfRKT2_EXadL_ZNS_11gelu_kernelIfEEfRKT_EELi1EEEvPT0_PS8_PKT1_PS2_il
		.amdhsa_group_segment_fixed_size 0
		.amdhsa_private_segment_fixed_size 0
		.amdhsa_kernarg_size 304
		.amdhsa_user_sgpr_count 2
		.amdhsa_user_sgpr_dispatch_ptr 0
		.amdhsa_user_sgpr_queue_ptr 0
		.amdhsa_user_sgpr_kernarg_segment_ptr 1
		.amdhsa_user_sgpr_dispatch_id 0
		.amdhsa_user_sgpr_kernarg_preload_length 0
		.amdhsa_user_sgpr_kernarg_preload_offset 0
		.amdhsa_user_sgpr_private_segment_size 0
		.amdhsa_uses_dynamic_stack 0
		.amdhsa_enable_private_segment 0
		.amdhsa_system_sgpr_workgroup_id_x 1
		.amdhsa_system_sgpr_workgroup_id_y 0
		.amdhsa_system_sgpr_workgroup_id_z 0
		.amdhsa_system_sgpr_workgroup_info 0
		.amdhsa_system_vgpr_workitem_id 0
		.amdhsa_next_free_vgpr 15
		.amdhsa_next_free_sgpr 42
		.amdhsa_accum_offset 16
		.amdhsa_reserve_vcc 1
		.amdhsa_float_round_mode_32 0
		.amdhsa_float_round_mode_16_64 0
		.amdhsa_float_denorm_mode_32 3
		.amdhsa_float_denorm_mode_16_64 3
		.amdhsa_dx10_clamp 1
		.amdhsa_ieee_mode 1
		.amdhsa_fp16_overflow 0
		.amdhsa_tg_split 0
		.amdhsa_exception_fp_ieee_invalid_op 0
		.amdhsa_exception_fp_denorm_src 0
		.amdhsa_exception_fp_ieee_div_zero 0
		.amdhsa_exception_fp_ieee_overflow 0
		.amdhsa_exception_fp_ieee_underflow 0
		.amdhsa_exception_fp_ieee_inexact 0
		.amdhsa_exception_int_div_zero 0
	.end_amdhsa_kernel
	.section	.text._ZN5aiter23act_and_mul_bias_kernelIttsfTnPFfRKT2_EXadL_ZNS_11gelu_kernelIfEEfRKT_EELi1EEEvPT0_PS8_PKT1_PS2_il,"axG",@progbits,_ZN5aiter23act_and_mul_bias_kernelIttsfTnPFfRKT2_EXadL_ZNS_11gelu_kernelIfEEfRKT_EELi1EEEvPT0_PS8_PKT1_PS2_il,comdat
.Lfunc_end432:
	.size	_ZN5aiter23act_and_mul_bias_kernelIttsfTnPFfRKT2_EXadL_ZNS_11gelu_kernelIfEEfRKT_EELi1EEEvPT0_PS8_PKT1_PS2_il, .Lfunc_end432-_ZN5aiter23act_and_mul_bias_kernelIttsfTnPFfRKT2_EXadL_ZNS_11gelu_kernelIfEEfRKT_EELi1EEEvPT0_PS8_PKT1_PS2_il
                                        ; -- End function
	.section	.AMDGPU.csdata,"",@progbits
; Kernel info:
; codeLenInByte = 980
; NumSgprs: 48
; NumVgprs: 15
; NumAgprs: 0
; TotalNumVgprs: 15
; ScratchSize: 0
; MemoryBound: 0
; FloatMode: 240
; IeeeMode: 1
; LDSByteSize: 0 bytes/workgroup (compile time only)
; SGPRBlocks: 5
; VGPRBlocks: 1
; NumSGPRsForWavesPerEU: 48
; NumVGPRsForWavesPerEU: 15
; AccumOffset: 16
; Occupancy: 8
; WaveLimiterHint : 0
; COMPUTE_PGM_RSRC2:SCRATCH_EN: 0
; COMPUTE_PGM_RSRC2:USER_SGPR: 2
; COMPUTE_PGM_RSRC2:TRAP_HANDLER: 0
; COMPUTE_PGM_RSRC2:TGID_X_EN: 1
; COMPUTE_PGM_RSRC2:TGID_Y_EN: 0
; COMPUTE_PGM_RSRC2:TGID_Z_EN: 0
; COMPUTE_PGM_RSRC2:TIDIG_COMP_CNT: 0
; COMPUTE_PGM_RSRC3_GFX90A:ACCUM_OFFSET: 3
; COMPUTE_PGM_RSRC3_GFX90A:TG_SPLIT: 0
	.section	.text._ZN5aiter23act_and_mul_bias_kernelIftifTnPFfRKT2_EXadL_ZNS_11gelu_kernelIfEEfRKT_EELi16EEEvPT0_PS8_PKT1_PS2_il,"axG",@progbits,_ZN5aiter23act_and_mul_bias_kernelIftifTnPFfRKT2_EXadL_ZNS_11gelu_kernelIfEEfRKT_EELi16EEEvPT0_PS8_PKT1_PS2_il,comdat
	.protected	_ZN5aiter23act_and_mul_bias_kernelIftifTnPFfRKT2_EXadL_ZNS_11gelu_kernelIfEEfRKT_EELi16EEEvPT0_PS8_PKT1_PS2_il ; -- Begin function _ZN5aiter23act_and_mul_bias_kernelIftifTnPFfRKT2_EXadL_ZNS_11gelu_kernelIfEEfRKT_EELi16EEEvPT0_PS8_PKT1_PS2_il
	.globl	_ZN5aiter23act_and_mul_bias_kernelIftifTnPFfRKT2_EXadL_ZNS_11gelu_kernelIfEEfRKT_EELi16EEEvPT0_PS8_PKT1_PS2_il
	.p2align	8
	.type	_ZN5aiter23act_and_mul_bias_kernelIftifTnPFfRKT2_EXadL_ZNS_11gelu_kernelIfEEfRKT_EELi16EEEvPT0_PS8_PKT1_PS2_il,@function
_ZN5aiter23act_and_mul_bias_kernelIftifTnPFfRKT2_EXadL_ZNS_11gelu_kernelIfEEfRKT_EELi16EEEvPT0_PS8_PKT1_PS2_il: ; @_ZN5aiter23act_and_mul_bias_kernelIftifTnPFfRKT2_EXadL_ZNS_11gelu_kernelIfEEfRKT_EELi16EEEvPT0_PS8_PKT1_PS2_il
; %bb.0:
	s_load_dwordx2 s[4:5], s[0:1], 0x10
	s_load_dword s24, s[0:1], 0x20
	s_load_dwordx2 s[12:13], s[0:1], 0x28
	s_mov_b32 s3, 0
	s_lshl_b64 s[6:7], s[2:3], 2
	s_waitcnt lgkmcnt(0)
	s_add_u32 s4, s4, s6
	s_addc_u32 s5, s5, s7
	s_load_dword s8, s[4:5], 0x0
	s_load_dwordx2 s[6:7], s[0:1], 0x0
	s_ashr_i32 s25, s24, 31
	s_mul_hi_u32 s3, s24, s2
	s_mul_i32 s4, s25, s2
	s_add_i32 s5, s3, s4
	s_mul_i32 s4, s24, s2
	s_waitcnt lgkmcnt(0)
	s_ashr_i32 s9, s8, 31
	s_lshl_b64 s[4:5], s[4:5], 1
	s_add_u32 s4, s6, s4
	s_addc_u32 s3, s7, s5
	s_add_i32 s5, s24, 1
	s_lshr_b32 s6, s5, 31
	v_mov_b64_e32 v[2:3], s[12:13]
	v_cmp_gt_i64_e64 s[14:15], s[8:9], -1
	s_add_i32 s5, s5, s6
	v_cmp_lt_i64_e32 vcc, s[8:9], v[2:3]
	s_lshl_b32 s5, s5, 1
	s_and_b64 s[12:13], s[14:15], vcc
	s_mov_b64 s[10:11], -1
	s_and_b32 s6, s5, -4
	s_and_b32 s5, s3, 0xffff
	s_and_b64 vcc, exec, s[12:13]
	v_lshlrev_b32_e32 v64, 4, v0
	s_cbranch_vccnz .LBB433_5
; %bb.1:
	v_cmp_gt_i32_e32 vcc, s24, v64
	s_and_saveexec_b64 s[10:11], vcc
	s_cbranch_execz .LBB433_4
; %bb.2:
	s_load_dword s3, s[0:1], 0x3c
	s_mov_b32 s13, 0
	s_mov_b32 s16, s13
	s_mov_b32 s17, s13
	v_mov_b32_e32 v65, 0
	v_lshlrev_b32_e32 v6, 5, v0
	s_waitcnt lgkmcnt(0)
	s_and_b32 s3, s3, 0xffff
	s_mov_b32 s18, s13
	s_mov_b32 s19, s13
	v_mov_b64_e32 v[0:1], s[16:17]
	s_lshl_b32 s12, s3, 4
	s_lshl_b32 s3, s3, 5
	s_mov_b64 s[14:15], 0
	s_mov_b32 s7, 0x20000
	v_mov_b64_e32 v[2:3], s[18:19]
	v_mov_b64_e32 v[4:5], v[64:65]
.LBB433_3:                              ; =>This Inner Loop Header: Depth=1
	v_lshl_add_u64 v[4:5], s[12:13], 0, v[4:5]
	v_cmp_le_i64_e32 vcc, s[24:25], v[4:5]
	buffer_store_dwordx4 v[0:3], v6, s[4:7], 0 offen
	buffer_store_dwordx4 v[0:3], v6, s[4:7], 16 offen
	s_or_b64 s[14:15], vcc, s[14:15]
	v_add_u32_e32 v6, s3, v6
	s_andn2_b64 exec, exec, s[14:15]
	s_cbranch_execnz .LBB433_3
.LBB433_4:
	s_or_b64 exec, exec, s[10:11]
	s_mov_b64 s[10:11], 0
.LBB433_5:
	s_andn2_b64 vcc, exec, s[10:11]
	s_cbranch_vccnz .LBB433_73
; %bb.6:
	v_cmp_gt_i32_e32 vcc, s24, v64
	s_and_saveexec_b64 s[10:11], vcc
	s_cbranch_execz .LBB433_73
; %bb.7:
	s_load_dwordx2 s[14:15], s[0:1], 0x8
	s_load_dwordx2 s[12:13], s[0:1], 0x18
	s_mul_hi_i32 s9, s24, s8
	s_mul_i32 s8, s24, s8
	s_lshl_b32 s10, s24, 2
	s_lshl_b64 s[8:9], s[8:9], 3
	s_waitcnt lgkmcnt(0)
	s_add_u32 s12, s12, s8
	s_addc_u32 s3, s13, s9
	s_lshl_b64 s[8:9], s[24:25], 2
	s_add_u32 s16, s12, s8
	s_addc_u32 s17, s3, s9
	s_and_b32 s13, s3, 0xffff
	s_mul_i32 s3, s2, s25
	s_mul_hi_u32 s18, s2, s24
	s_add_i32 s3, s18, s3
	s_mul_i32 s2, s2, s24
	s_and_b32 s17, s17, 0xffff
	s_lshl_b64 s[2:3], s[2:3], 3
	s_add_u32 s20, s14, s2
	s_addc_u32 s2, s15, s3
	s_add_u32 s8, s20, s8
	s_addc_u32 s3, s2, s9
	s_and_b32 s21, s2, 0xffff
	s_and_b32 s9, s3, 0xffff
	s_mov_b32 s7, 0x20000
	s_add_u32 s0, s0, 48
	s_mov_b32 s11, s7
	v_mov_b32_e32 v65, 0
	s_addc_u32 s1, s1, 0
	s_mov_b64 s[2:3], 0
	s_mov_b32 s22, s10
	s_mov_b32 s23, s7
	;; [unrolled: 1-line block ×12, first 2 shown]
	v_mov_b32_e32 v66, 0x3ba10414
	s_brev_b32 s38, -2
	s_mov_b32 s39, 0x7060302
	v_mov_b32_e32 v67, 0xb9c68948
	v_mov_b32_e32 v68, 0x7f800000
                                        ; implicit-def: $vgpr0
                                        ; implicit-def: $vgpr0
	;; [unrolled: 1-line block ×4, first 2 shown]
	s_branch .LBB433_9
.LBB433_8:                              ;   in Loop: Header=BB433_9 Depth=1
	s_or_b64 exec, exec, s[14:15]
	v_bfi_b32 v5, s38, v8, v5
	v_mul_f32_e32 v4, 0.5, v4
	v_add_f32_e32 v5, 1.0, v5
	v_add_f32_e32 v2, v2, v6
	v_bfi_b32 v6, s38, v11, v10
	v_mul_f32_e32 v4, v4, v5
	v_mul_f32_e32 v5, 0.5, v9
	v_add_f32_e32 v6, 1.0, v6
	v_add_f32_e32 v3, v3, v7
	v_mul_f32_e32 v5, v5, v6
	;;#ASMSTART
	v_pk_mul_f32 v[6:7], v[4:5], v[2:3]
	;;#ASMEND
	s_load_dword s14, s[0:1], 0xc
	v_lshlrev_b32_e32 v8, 1, v64
	v_perm_b32 v5, v35, v34, s39
	v_perm_b32 v4, v33, v32, s39
	;; [unrolled: 1-line block ×3, first 2 shown]
	s_waitcnt lgkmcnt(0)
	s_and_b32 s14, s14, 0xffff
	s_lshl_b32 s26, s14, 4
	v_lshl_add_u64 v[64:65], s[26:27], 0, v[64:65]
	v_perm_b32 v2, v49, v48, s39
	v_cmp_le_i64_e32 vcc, s[24:25], v[64:65]
	buffer_store_dwordx4 v[2:5], v8, s[4:7], 0 offen
	s_or_b64 s[2:3], vcc, s[2:3]
	s_nop 0
	v_perm_b32 v3, v7, v6, s39
	v_perm_b32 v2, v1, v0, s39
	;; [unrolled: 1-line block ×4, first 2 shown]
	buffer_store_dwordx4 v[0:3], v8, s[4:7], 16 offen
	s_andn2_b64 exec, exec, s[2:3]
	s_cbranch_execz .LBB433_73
.LBB433_9:                              ; =>This Inner Loop Header: Depth=1
	v_lshlrev_b32_e32 v4, 2, v64
	s_mov_b32 s14, s10
	s_mov_b32 s15, s11
	;; [unrolled: 1-line block ×4, first 2 shown]
	buffer_load_dwordx4 v[56:59], v4, s[20:23], 0 offen
	buffer_load_dwordx4 v[40:43], v4, s[20:23], 16 offen
	;; [unrolled: 1-line block ×15, first 2 shown]
	s_nop 0
	buffer_load_dwordx4 v[4:7], v4, s[16:19], 48 offen
                                        ; implicit-def: $vgpr69
	s_waitcnt vmcnt(7)
	v_add_f32_e32 v56, v56, v60
	v_mul_f32_e32 v60, 0x3f3504f3, v56
	v_cmp_nlt_f32_e64 s[14:15], |v60|, 1.0
	s_and_saveexec_b64 s[18:19], s[14:15]
	s_xor_b64 s[14:15], exec, s[18:19]
	s_cbranch_execz .LBB433_11
; %bb.10:                               ;   in Loop: Header=BB433_9 Depth=1
	v_fma_f32 v69, |v60|, s28, v67
	v_fma_f32 v69, |v60|, v69, s29
	;; [unrolled: 1-line block ×6, first 2 shown]
	v_fma_f32 v69, |v60|, v69, |v60|
	v_mul_f32_e32 v70, 0xbfb8aa3b, v69
	v_fma_f32 v71, v69, s35, -v70
	v_rndne_f32_e32 v72, v70
	v_fmac_f32_e32 v71, 0xb2a5705f, v69
	v_sub_f32_e32 v70, v70, v72
	v_add_f32_e32 v70, v70, v71
	v_cvt_i32_f32_e32 v71, v72
	v_exp_f32_e32 v70, v70
	v_cmp_nlt_f32_e32 vcc, s36, v69
	v_ldexp_f32 v70, v70, v71
	s_nop 0
	v_cndmask_b32_e32 v70, 0, v70, vcc
	v_cmp_ngt_f32_e32 vcc, s37, v69
	s_nop 1
	v_cndmask_b32_e32 v69, v68, v70, vcc
	v_sub_f32_e32 v69, 1.0, v69
.LBB433_11:                             ;   in Loop: Header=BB433_9 Depth=1
	s_andn2_saveexec_b64 s[14:15], s[14:15]
; %bb.12:                               ;   in Loop: Header=BB433_9 Depth=1
	v_mul_f32_e32 v69, v60, v60
	v_fmamk_f32 v70, v69, 0xba1345e1, v66
	v_fmaak_f32 v70, v69, v70, 0xbcdac9b8
	v_fmaak_f32 v70, v69, v70, 0x3de703be
	;; [unrolled: 1-line block ×4, first 2 shown]
	v_fma_f32 v69, |v60|, v69, |v60|
; %bb.13:                               ;   in Loop: Header=BB433_9 Depth=1
	s_or_b64 exec, exec, s[14:15]
	v_add_f32_e32 v57, v57, v61
	v_mul_f32_e32 v61, 0x3f3504f3, v57
	v_cmp_nlt_f32_e64 s[14:15], |v61|, 1.0
                                        ; implicit-def: $vgpr70
	s_and_saveexec_b64 s[18:19], s[14:15]
	s_xor_b64 s[14:15], exec, s[18:19]
	s_cbranch_execz .LBB433_15
; %bb.14:                               ;   in Loop: Header=BB433_9 Depth=1
	v_fma_f32 v70, |v61|, s28, v67
	v_fma_f32 v70, |v61|, v70, s29
	;; [unrolled: 1-line block ×6, first 2 shown]
	v_fma_f32 v70, |v61|, v70, |v61|
	v_mul_f32_e32 v71, 0xbfb8aa3b, v70
	v_fma_f32 v72, v70, s35, -v71
	v_rndne_f32_e32 v73, v71
	v_fmac_f32_e32 v72, 0xb2a5705f, v70
	v_sub_f32_e32 v71, v71, v73
	v_add_f32_e32 v71, v71, v72
	v_cvt_i32_f32_e32 v72, v73
	v_exp_f32_e32 v71, v71
	v_cmp_nlt_f32_e32 vcc, s36, v70
	v_ldexp_f32 v71, v71, v72
	s_nop 0
	v_cndmask_b32_e32 v71, 0, v71, vcc
	v_cmp_ngt_f32_e32 vcc, s37, v70
	s_nop 1
	v_cndmask_b32_e32 v70, v68, v71, vcc
	v_sub_f32_e32 v70, 1.0, v70
.LBB433_15:                             ;   in Loop: Header=BB433_9 Depth=1
	s_andn2_saveexec_b64 s[14:15], s[14:15]
; %bb.16:                               ;   in Loop: Header=BB433_9 Depth=1
	v_mul_f32_e32 v70, v61, v61
	v_fmamk_f32 v71, v70, 0xba1345e1, v66
	v_fmaak_f32 v71, v70, v71, 0xbcdac9b8
	v_fmaak_f32 v71, v70, v71, 0x3de703be
	;; [unrolled: 1-line block ×4, first 2 shown]
	v_fma_f32 v70, |v61|, v70, |v61|
; %bb.17:                               ;   in Loop: Header=BB433_9 Depth=1
	s_or_b64 exec, exec, s[14:15]
	s_waitcnt vmcnt(3)
	v_add_f32_e32 v49, v49, v53
	v_bfi_b32 v53, s38, v70, v61
	v_add_f32_e32 v48, v48, v52
	v_mul_f32_e32 v52, 0.5, v57
	v_add_f32_e32 v53, 1.0, v53
	v_bfi_b32 v60, s38, v69, v60
	v_mul_f32_e32 v57, v52, v53
	v_add_f32_e32 v52, v58, v62
	v_mul_f32_e32 v56, 0.5, v56
	v_add_f32_e32 v60, 1.0, v60
	v_mul_f32_e32 v53, 0x3f3504f3, v52
	v_mul_f32_e32 v56, v56, v60
	v_cmp_nlt_f32_e64 s[14:15], |v53|, 1.0
	;;#ASMSTART
	v_pk_mul_f32 v[48:49], v[56:57], v[48:49]
	;;#ASMEND
                                        ; implicit-def: $vgpr56
	s_and_saveexec_b64 s[18:19], s[14:15]
	s_xor_b64 s[14:15], exec, s[18:19]
	s_cbranch_execz .LBB433_19
; %bb.18:                               ;   in Loop: Header=BB433_9 Depth=1
	v_fma_f32 v56, |v53|, s28, v67
	v_fma_f32 v56, |v53|, v56, s29
	;; [unrolled: 1-line block ×6, first 2 shown]
	v_fma_f32 v56, |v53|, v56, |v53|
	v_mul_f32_e32 v57, 0xbfb8aa3b, v56
	v_fma_f32 v58, v56, s35, -v57
	v_rndne_f32_e32 v60, v57
	v_fmac_f32_e32 v58, 0xb2a5705f, v56
	v_sub_f32_e32 v57, v57, v60
	v_add_f32_e32 v57, v57, v58
	v_cvt_i32_f32_e32 v58, v60
	v_exp_f32_e32 v57, v57
	v_cmp_nlt_f32_e32 vcc, s36, v56
	v_ldexp_f32 v57, v57, v58
	s_nop 0
	v_cndmask_b32_e32 v57, 0, v57, vcc
	v_cmp_ngt_f32_e32 vcc, s37, v56
	s_nop 1
	v_cndmask_b32_e32 v56, v68, v57, vcc
	v_sub_f32_e32 v56, 1.0, v56
.LBB433_19:                             ;   in Loop: Header=BB433_9 Depth=1
	s_andn2_saveexec_b64 s[14:15], s[14:15]
; %bb.20:                               ;   in Loop: Header=BB433_9 Depth=1
	v_mul_f32_e32 v56, v53, v53
	v_fmamk_f32 v57, v56, 0xba1345e1, v66
	v_fmaak_f32 v57, v56, v57, 0xbcdac9b8
	v_fmaak_f32 v57, v56, v57, 0x3de703be
	;; [unrolled: 1-line block ×4, first 2 shown]
	v_fma_f32 v56, |v53|, v56, |v53|
; %bb.21:                               ;   in Loop: Header=BB433_9 Depth=1
	s_or_b64 exec, exec, s[14:15]
	v_add_f32_e32 v57, v59, v63
	v_mul_f32_e32 v58, 0x3f3504f3, v57
	v_cmp_nlt_f32_e64 s[14:15], |v58|, 1.0
                                        ; implicit-def: $vgpr59
	s_and_saveexec_b64 s[18:19], s[14:15]
	s_xor_b64 s[14:15], exec, s[18:19]
	s_cbranch_execz .LBB433_23
; %bb.22:                               ;   in Loop: Header=BB433_9 Depth=1
	v_fma_f32 v59, |v58|, s28, v67
	v_fma_f32 v59, |v58|, v59, s29
	;; [unrolled: 1-line block ×6, first 2 shown]
	v_fma_f32 v59, |v58|, v59, |v58|
	v_mul_f32_e32 v60, 0xbfb8aa3b, v59
	v_fma_f32 v61, v59, s35, -v60
	v_rndne_f32_e32 v62, v60
	v_fmac_f32_e32 v61, 0xb2a5705f, v59
	v_sub_f32_e32 v60, v60, v62
	v_add_f32_e32 v60, v60, v61
	v_cvt_i32_f32_e32 v61, v62
	v_exp_f32_e32 v60, v60
	v_cmp_nlt_f32_e32 vcc, s36, v59
	v_ldexp_f32 v60, v60, v61
	s_nop 0
	v_cndmask_b32_e32 v60, 0, v60, vcc
	v_cmp_ngt_f32_e32 vcc, s37, v59
	s_nop 1
	v_cndmask_b32_e32 v59, v68, v60, vcc
	v_sub_f32_e32 v59, 1.0, v59
.LBB433_23:                             ;   in Loop: Header=BB433_9 Depth=1
	s_andn2_saveexec_b64 s[14:15], s[14:15]
; %bb.24:                               ;   in Loop: Header=BB433_9 Depth=1
	v_mul_f32_e32 v59, v58, v58
	v_fmamk_f32 v60, v59, 0xba1345e1, v66
	v_fmaak_f32 v60, v59, v60, 0xbcdac9b8
	v_fmaak_f32 v60, v59, v60, 0x3de703be
	;; [unrolled: 1-line block ×4, first 2 shown]
	v_fma_f32 v59, |v58|, v59, |v58|
; %bb.25:                               ;   in Loop: Header=BB433_9 Depth=1
	s_or_b64 exec, exec, s[14:15]
	v_bfi_b32 v53, s38, v56, v53
	v_add_f32_e32 v40, v40, v44
	v_mul_f32_e32 v52, 0.5, v52
	v_add_f32_e32 v53, 1.0, v53
	v_add_f32_e32 v50, v50, v54
	v_bfi_b32 v54, s38, v59, v58
	v_mul_f32_e32 v44, 0x3f3504f3, v40
	v_mul_f32_e32 v52, v52, v53
	v_add_f32_e32 v51, v51, v55
	v_mul_f32_e32 v53, 0.5, v57
	v_add_f32_e32 v54, 1.0, v54
	v_cmp_nlt_f32_e64 s[14:15], |v44|, 1.0
	v_mul_f32_e32 v53, v53, v54
	;;#ASMSTART
	v_pk_mul_f32 v[50:51], v[52:53], v[50:51]
	;;#ASMEND
                                        ; implicit-def: $vgpr52
	s_and_saveexec_b64 s[18:19], s[14:15]
	s_xor_b64 s[14:15], exec, s[18:19]
	s_cbranch_execz .LBB433_27
; %bb.26:                               ;   in Loop: Header=BB433_9 Depth=1
	v_fma_f32 v52, |v44|, s28, v67
	v_fma_f32 v52, |v44|, v52, s29
	;; [unrolled: 1-line block ×6, first 2 shown]
	v_fma_f32 v52, |v44|, v52, |v44|
	v_mul_f32_e32 v53, 0xbfb8aa3b, v52
	v_fma_f32 v54, v52, s35, -v53
	v_rndne_f32_e32 v55, v53
	v_fmac_f32_e32 v54, 0xb2a5705f, v52
	v_sub_f32_e32 v53, v53, v55
	v_add_f32_e32 v53, v53, v54
	v_cvt_i32_f32_e32 v54, v55
	v_exp_f32_e32 v53, v53
	v_cmp_nlt_f32_e32 vcc, s36, v52
	v_ldexp_f32 v53, v53, v54
	s_nop 0
	v_cndmask_b32_e32 v53, 0, v53, vcc
	v_cmp_ngt_f32_e32 vcc, s37, v52
	s_nop 1
	v_cndmask_b32_e32 v52, v68, v53, vcc
	v_sub_f32_e32 v52, 1.0, v52
.LBB433_27:                             ;   in Loop: Header=BB433_9 Depth=1
	s_andn2_saveexec_b64 s[14:15], s[14:15]
; %bb.28:                               ;   in Loop: Header=BB433_9 Depth=1
	v_mul_f32_e32 v52, v44, v44
	v_fmamk_f32 v53, v52, 0xba1345e1, v66
	v_fmaak_f32 v53, v52, v53, 0xbcdac9b8
	v_fmaak_f32 v53, v52, v53, 0x3de703be
	;; [unrolled: 1-line block ×4, first 2 shown]
	v_fma_f32 v52, |v44|, v52, |v44|
; %bb.29:                               ;   in Loop: Header=BB433_9 Depth=1
	s_or_b64 exec, exec, s[14:15]
	v_add_f32_e32 v41, v41, v45
	v_mul_f32_e32 v45, 0x3f3504f3, v41
	v_cmp_nlt_f32_e64 s[14:15], |v45|, 1.0
                                        ; implicit-def: $vgpr53
	s_and_saveexec_b64 s[18:19], s[14:15]
	s_xor_b64 s[14:15], exec, s[18:19]
	s_cbranch_execz .LBB433_31
; %bb.30:                               ;   in Loop: Header=BB433_9 Depth=1
	v_fma_f32 v53, |v45|, s28, v67
	v_fma_f32 v53, |v45|, v53, s29
	;; [unrolled: 1-line block ×6, first 2 shown]
	v_fma_f32 v53, |v45|, v53, |v45|
	v_mul_f32_e32 v54, 0xbfb8aa3b, v53
	v_fma_f32 v55, v53, s35, -v54
	v_rndne_f32_e32 v56, v54
	v_fmac_f32_e32 v55, 0xb2a5705f, v53
	v_sub_f32_e32 v54, v54, v56
	v_add_f32_e32 v54, v54, v55
	v_cvt_i32_f32_e32 v55, v56
	v_exp_f32_e32 v54, v54
	v_cmp_nlt_f32_e32 vcc, s36, v53
	v_ldexp_f32 v54, v54, v55
	s_nop 0
	v_cndmask_b32_e32 v54, 0, v54, vcc
	v_cmp_ngt_f32_e32 vcc, s37, v53
	s_nop 1
	v_cndmask_b32_e32 v53, v68, v54, vcc
	v_sub_f32_e32 v53, 1.0, v53
.LBB433_31:                             ;   in Loop: Header=BB433_9 Depth=1
	s_andn2_saveexec_b64 s[14:15], s[14:15]
; %bb.32:                               ;   in Loop: Header=BB433_9 Depth=1
	v_mul_f32_e32 v53, v45, v45
	v_fmamk_f32 v54, v53, 0xba1345e1, v66
	v_fmaak_f32 v54, v53, v54, 0xbcdac9b8
	v_fmaak_f32 v54, v53, v54, 0x3de703be
	;; [unrolled: 1-line block ×4, first 2 shown]
	v_fma_f32 v53, |v45|, v53, |v45|
; %bb.33:                               ;   in Loop: Header=BB433_9 Depth=1
	s_or_b64 exec, exec, s[14:15]
	s_waitcnt vmcnt(2)
	v_add_f32_e32 v33, v33, v37
	v_bfi_b32 v37, s38, v53, v45
	v_add_f32_e32 v32, v32, v36
	v_mul_f32_e32 v36, 0.5, v41
	v_add_f32_e32 v37, 1.0, v37
	v_bfi_b32 v44, s38, v52, v44
	v_mul_f32_e32 v41, v36, v37
	v_add_f32_e32 v36, v42, v46
	v_mul_f32_e32 v40, 0.5, v40
	v_add_f32_e32 v44, 1.0, v44
	v_mul_f32_e32 v37, 0x3f3504f3, v36
	v_mul_f32_e32 v40, v40, v44
	v_cmp_nlt_f32_e64 s[14:15], |v37|, 1.0
	;;#ASMSTART
	v_pk_mul_f32 v[32:33], v[40:41], v[32:33]
	;;#ASMEND
                                        ; implicit-def: $vgpr40
	s_and_saveexec_b64 s[18:19], s[14:15]
	s_xor_b64 s[14:15], exec, s[18:19]
	s_cbranch_execz .LBB433_35
; %bb.34:                               ;   in Loop: Header=BB433_9 Depth=1
	v_fma_f32 v40, |v37|, s28, v67
	v_fma_f32 v40, |v37|, v40, s29
	;; [unrolled: 1-line block ×6, first 2 shown]
	v_fma_f32 v40, |v37|, v40, |v37|
	v_mul_f32_e32 v41, 0xbfb8aa3b, v40
	v_fma_f32 v42, v40, s35, -v41
	v_rndne_f32_e32 v44, v41
	v_fmac_f32_e32 v42, 0xb2a5705f, v40
	v_sub_f32_e32 v41, v41, v44
	v_add_f32_e32 v41, v41, v42
	v_cvt_i32_f32_e32 v42, v44
	v_exp_f32_e32 v41, v41
	v_cmp_nlt_f32_e32 vcc, s36, v40
	v_ldexp_f32 v41, v41, v42
	s_nop 0
	v_cndmask_b32_e32 v41, 0, v41, vcc
	v_cmp_ngt_f32_e32 vcc, s37, v40
	s_nop 1
	v_cndmask_b32_e32 v40, v68, v41, vcc
	v_sub_f32_e32 v40, 1.0, v40
.LBB433_35:                             ;   in Loop: Header=BB433_9 Depth=1
	s_andn2_saveexec_b64 s[14:15], s[14:15]
; %bb.36:                               ;   in Loop: Header=BB433_9 Depth=1
	v_mul_f32_e32 v40, v37, v37
	v_fmamk_f32 v41, v40, 0xba1345e1, v66
	v_fmaak_f32 v41, v40, v41, 0xbcdac9b8
	v_fmaak_f32 v41, v40, v41, 0x3de703be
	;; [unrolled: 1-line block ×4, first 2 shown]
	v_fma_f32 v40, |v37|, v40, |v37|
; %bb.37:                               ;   in Loop: Header=BB433_9 Depth=1
	s_or_b64 exec, exec, s[14:15]
	v_add_f32_e32 v41, v43, v47
	v_mul_f32_e32 v42, 0x3f3504f3, v41
	v_cmp_nlt_f32_e64 s[14:15], |v42|, 1.0
                                        ; implicit-def: $vgpr43
	s_and_saveexec_b64 s[18:19], s[14:15]
	s_xor_b64 s[14:15], exec, s[18:19]
	s_cbranch_execz .LBB433_39
; %bb.38:                               ;   in Loop: Header=BB433_9 Depth=1
	v_fma_f32 v43, |v42|, s28, v67
	v_fma_f32 v43, |v42|, v43, s29
	;; [unrolled: 1-line block ×6, first 2 shown]
	v_fma_f32 v43, |v42|, v43, |v42|
	v_mul_f32_e32 v44, 0xbfb8aa3b, v43
	v_fma_f32 v45, v43, s35, -v44
	v_rndne_f32_e32 v46, v44
	v_fmac_f32_e32 v45, 0xb2a5705f, v43
	v_sub_f32_e32 v44, v44, v46
	v_add_f32_e32 v44, v44, v45
	v_cvt_i32_f32_e32 v45, v46
	v_exp_f32_e32 v44, v44
	v_cmp_nlt_f32_e32 vcc, s36, v43
	v_ldexp_f32 v44, v44, v45
	s_nop 0
	v_cndmask_b32_e32 v44, 0, v44, vcc
	v_cmp_ngt_f32_e32 vcc, s37, v43
	s_nop 1
	v_cndmask_b32_e32 v43, v68, v44, vcc
	v_sub_f32_e32 v43, 1.0, v43
.LBB433_39:                             ;   in Loop: Header=BB433_9 Depth=1
	s_andn2_saveexec_b64 s[14:15], s[14:15]
; %bb.40:                               ;   in Loop: Header=BB433_9 Depth=1
	v_mul_f32_e32 v43, v42, v42
	v_fmamk_f32 v44, v43, 0xba1345e1, v66
	v_fmaak_f32 v44, v43, v44, 0xbcdac9b8
	v_fmaak_f32 v44, v43, v44, 0x3de703be
	;; [unrolled: 1-line block ×4, first 2 shown]
	v_fma_f32 v43, |v42|, v43, |v42|
; %bb.41:                               ;   in Loop: Header=BB433_9 Depth=1
	s_or_b64 exec, exec, s[14:15]
	v_bfi_b32 v37, s38, v40, v37
	v_add_f32_e32 v24, v24, v28
	v_mul_f32_e32 v36, 0.5, v36
	v_add_f32_e32 v37, 1.0, v37
	v_add_f32_e32 v34, v34, v38
	v_bfi_b32 v38, s38, v43, v42
	v_mul_f32_e32 v28, 0x3f3504f3, v24
	v_mul_f32_e32 v36, v36, v37
	v_add_f32_e32 v35, v35, v39
	v_mul_f32_e32 v37, 0.5, v41
	v_add_f32_e32 v38, 1.0, v38
	v_cmp_nlt_f32_e64 s[14:15], |v28|, 1.0
	v_mul_f32_e32 v37, v37, v38
	;;#ASMSTART
	v_pk_mul_f32 v[34:35], v[36:37], v[34:35]
	;;#ASMEND
                                        ; implicit-def: $vgpr36
	s_and_saveexec_b64 s[18:19], s[14:15]
	s_xor_b64 s[14:15], exec, s[18:19]
	s_cbranch_execz .LBB433_43
; %bb.42:                               ;   in Loop: Header=BB433_9 Depth=1
	v_fma_f32 v36, |v28|, s28, v67
	v_fma_f32 v36, |v28|, v36, s29
	;; [unrolled: 1-line block ×6, first 2 shown]
	v_fma_f32 v36, |v28|, v36, |v28|
	v_mul_f32_e32 v37, 0xbfb8aa3b, v36
	v_fma_f32 v38, v36, s35, -v37
	v_rndne_f32_e32 v39, v37
	v_fmac_f32_e32 v38, 0xb2a5705f, v36
	v_sub_f32_e32 v37, v37, v39
	v_add_f32_e32 v37, v37, v38
	v_cvt_i32_f32_e32 v38, v39
	v_exp_f32_e32 v37, v37
	v_cmp_nlt_f32_e32 vcc, s36, v36
	v_ldexp_f32 v37, v37, v38
	s_nop 0
	v_cndmask_b32_e32 v37, 0, v37, vcc
	v_cmp_ngt_f32_e32 vcc, s37, v36
	s_nop 1
	v_cndmask_b32_e32 v36, v68, v37, vcc
	v_sub_f32_e32 v36, 1.0, v36
.LBB433_43:                             ;   in Loop: Header=BB433_9 Depth=1
	s_andn2_saveexec_b64 s[14:15], s[14:15]
; %bb.44:                               ;   in Loop: Header=BB433_9 Depth=1
	v_mul_f32_e32 v36, v28, v28
	v_fmamk_f32 v37, v36, 0xba1345e1, v66
	v_fmaak_f32 v37, v36, v37, 0xbcdac9b8
	v_fmaak_f32 v37, v36, v37, 0x3de703be
	;; [unrolled: 1-line block ×4, first 2 shown]
	v_fma_f32 v36, |v28|, v36, |v28|
; %bb.45:                               ;   in Loop: Header=BB433_9 Depth=1
	s_or_b64 exec, exec, s[14:15]
	v_add_f32_e32 v25, v25, v29
	v_mul_f32_e32 v29, 0x3f3504f3, v25
	v_cmp_nlt_f32_e64 s[14:15], |v29|, 1.0
                                        ; implicit-def: $vgpr37
	s_and_saveexec_b64 s[18:19], s[14:15]
	s_xor_b64 s[14:15], exec, s[18:19]
	s_cbranch_execz .LBB433_47
; %bb.46:                               ;   in Loop: Header=BB433_9 Depth=1
	v_fma_f32 v37, |v29|, s28, v67
	v_fma_f32 v37, |v29|, v37, s29
	;; [unrolled: 1-line block ×6, first 2 shown]
	v_fma_f32 v37, |v29|, v37, |v29|
	v_mul_f32_e32 v38, 0xbfb8aa3b, v37
	v_fma_f32 v39, v37, s35, -v38
	v_rndne_f32_e32 v40, v38
	v_fmac_f32_e32 v39, 0xb2a5705f, v37
	v_sub_f32_e32 v38, v38, v40
	v_add_f32_e32 v38, v38, v39
	v_cvt_i32_f32_e32 v39, v40
	v_exp_f32_e32 v38, v38
	v_cmp_nlt_f32_e32 vcc, s36, v37
	v_ldexp_f32 v38, v38, v39
	s_nop 0
	v_cndmask_b32_e32 v38, 0, v38, vcc
	v_cmp_ngt_f32_e32 vcc, s37, v37
	s_nop 1
	v_cndmask_b32_e32 v37, v68, v38, vcc
	v_sub_f32_e32 v37, 1.0, v37
.LBB433_47:                             ;   in Loop: Header=BB433_9 Depth=1
	s_andn2_saveexec_b64 s[14:15], s[14:15]
; %bb.48:                               ;   in Loop: Header=BB433_9 Depth=1
	v_mul_f32_e32 v37, v29, v29
	v_fmamk_f32 v38, v37, 0xba1345e1, v66
	v_fmaak_f32 v38, v37, v38, 0xbcdac9b8
	v_fmaak_f32 v38, v37, v38, 0x3de703be
	;; [unrolled: 1-line block ×4, first 2 shown]
	v_fma_f32 v37, |v29|, v37, |v29|
; %bb.49:                               ;   in Loop: Header=BB433_9 Depth=1
	s_or_b64 exec, exec, s[14:15]
	s_waitcnt vmcnt(1)
	v_add_f32_e32 v17, v17, v21
	v_bfi_b32 v21, s38, v37, v29
	v_add_f32_e32 v16, v16, v20
	v_mul_f32_e32 v20, 0.5, v25
	v_add_f32_e32 v21, 1.0, v21
	v_bfi_b32 v28, s38, v36, v28
	v_mul_f32_e32 v25, v20, v21
	v_add_f32_e32 v20, v26, v30
	v_mul_f32_e32 v24, 0.5, v24
	v_add_f32_e32 v28, 1.0, v28
	v_mul_f32_e32 v21, 0x3f3504f3, v20
	v_mul_f32_e32 v24, v24, v28
	v_cmp_nlt_f32_e64 s[14:15], |v21|, 1.0
	;;#ASMSTART
	v_pk_mul_f32 v[16:17], v[24:25], v[16:17]
	;;#ASMEND
                                        ; implicit-def: $vgpr24
	s_and_saveexec_b64 s[18:19], s[14:15]
	s_xor_b64 s[14:15], exec, s[18:19]
	s_cbranch_execz .LBB433_51
; %bb.50:                               ;   in Loop: Header=BB433_9 Depth=1
	v_fma_f32 v24, |v21|, s28, v67
	v_fma_f32 v24, |v21|, v24, s29
	;; [unrolled: 1-line block ×6, first 2 shown]
	v_fma_f32 v24, |v21|, v24, |v21|
	v_mul_f32_e32 v25, 0xbfb8aa3b, v24
	v_fma_f32 v26, v24, s35, -v25
	v_rndne_f32_e32 v28, v25
	v_fmac_f32_e32 v26, 0xb2a5705f, v24
	v_sub_f32_e32 v25, v25, v28
	v_add_f32_e32 v25, v25, v26
	v_cvt_i32_f32_e32 v26, v28
	v_exp_f32_e32 v25, v25
	v_cmp_nlt_f32_e32 vcc, s36, v24
	v_ldexp_f32 v25, v25, v26
	s_nop 0
	v_cndmask_b32_e32 v25, 0, v25, vcc
	v_cmp_ngt_f32_e32 vcc, s37, v24
	s_nop 1
	v_cndmask_b32_e32 v24, v68, v25, vcc
	v_sub_f32_e32 v24, 1.0, v24
.LBB433_51:                             ;   in Loop: Header=BB433_9 Depth=1
	s_andn2_saveexec_b64 s[14:15], s[14:15]
; %bb.52:                               ;   in Loop: Header=BB433_9 Depth=1
	v_mul_f32_e32 v24, v21, v21
	v_fmamk_f32 v25, v24, 0xba1345e1, v66
	v_fmaak_f32 v25, v24, v25, 0xbcdac9b8
	v_fmaak_f32 v25, v24, v25, 0x3de703be
	;; [unrolled: 1-line block ×4, first 2 shown]
	v_fma_f32 v24, |v21|, v24, |v21|
; %bb.53:                               ;   in Loop: Header=BB433_9 Depth=1
	s_or_b64 exec, exec, s[14:15]
	v_add_f32_e32 v25, v27, v31
	v_mul_f32_e32 v26, 0x3f3504f3, v25
	v_cmp_nlt_f32_e64 s[14:15], |v26|, 1.0
                                        ; implicit-def: $vgpr27
	s_and_saveexec_b64 s[18:19], s[14:15]
	s_xor_b64 s[14:15], exec, s[18:19]
	s_cbranch_execz .LBB433_55
; %bb.54:                               ;   in Loop: Header=BB433_9 Depth=1
	v_fma_f32 v27, |v26|, s28, v67
	v_fma_f32 v27, |v26|, v27, s29
	v_fma_f32 v27, |v26|, v27, s30
	v_fma_f32 v27, |v26|, v27, s31
	v_fma_f32 v27, |v26|, v27, s33
	v_fma_f32 v27, |v26|, v27, s34
	v_fma_f32 v27, |v26|, v27, |v26|
	v_mul_f32_e32 v28, 0xbfb8aa3b, v27
	v_fma_f32 v29, v27, s35, -v28
	v_rndne_f32_e32 v30, v28
	v_fmac_f32_e32 v29, 0xb2a5705f, v27
	v_sub_f32_e32 v28, v28, v30
	v_add_f32_e32 v28, v28, v29
	v_cvt_i32_f32_e32 v29, v30
	v_exp_f32_e32 v28, v28
	v_cmp_nlt_f32_e32 vcc, s36, v27
	v_ldexp_f32 v28, v28, v29
	s_nop 0
	v_cndmask_b32_e32 v28, 0, v28, vcc
	v_cmp_ngt_f32_e32 vcc, s37, v27
	s_nop 1
	v_cndmask_b32_e32 v27, v68, v28, vcc
	v_sub_f32_e32 v27, 1.0, v27
.LBB433_55:                             ;   in Loop: Header=BB433_9 Depth=1
	s_andn2_saveexec_b64 s[14:15], s[14:15]
; %bb.56:                               ;   in Loop: Header=BB433_9 Depth=1
	v_mul_f32_e32 v27, v26, v26
	v_fmamk_f32 v28, v27, 0xba1345e1, v66
	v_fmaak_f32 v28, v27, v28, 0xbcdac9b8
	v_fmaak_f32 v28, v27, v28, 0x3de703be
	;; [unrolled: 1-line block ×4, first 2 shown]
	v_fma_f32 v27, |v26|, v27, |v26|
; %bb.57:                               ;   in Loop: Header=BB433_9 Depth=1
	s_or_b64 exec, exec, s[14:15]
	v_bfi_b32 v21, s38, v24, v21
	v_add_f32_e32 v8, v8, v12
	v_mul_f32_e32 v20, 0.5, v20
	v_add_f32_e32 v21, 1.0, v21
	v_add_f32_e32 v18, v18, v22
	v_bfi_b32 v22, s38, v27, v26
	v_mul_f32_e32 v12, 0x3f3504f3, v8
	v_mul_f32_e32 v20, v20, v21
	v_add_f32_e32 v19, v19, v23
	v_mul_f32_e32 v21, 0.5, v25
	v_add_f32_e32 v22, 1.0, v22
	v_cmp_nlt_f32_e64 s[14:15], |v12|, 1.0
	v_mul_f32_e32 v21, v21, v22
	;;#ASMSTART
	v_pk_mul_f32 v[18:19], v[20:21], v[18:19]
	;;#ASMEND
                                        ; implicit-def: $vgpr20
	s_and_saveexec_b64 s[18:19], s[14:15]
	s_xor_b64 s[14:15], exec, s[18:19]
	s_cbranch_execz .LBB433_59
; %bb.58:                               ;   in Loop: Header=BB433_9 Depth=1
	v_fma_f32 v20, |v12|, s28, v67
	v_fma_f32 v20, |v12|, v20, s29
	;; [unrolled: 1-line block ×6, first 2 shown]
	v_fma_f32 v20, |v12|, v20, |v12|
	v_mul_f32_e32 v21, 0xbfb8aa3b, v20
	v_fma_f32 v22, v20, s35, -v21
	v_rndne_f32_e32 v23, v21
	v_fmac_f32_e32 v22, 0xb2a5705f, v20
	v_sub_f32_e32 v21, v21, v23
	v_add_f32_e32 v21, v21, v22
	v_cvt_i32_f32_e32 v22, v23
	v_exp_f32_e32 v21, v21
	v_cmp_nlt_f32_e32 vcc, s36, v20
	v_ldexp_f32 v21, v21, v22
	s_nop 0
	v_cndmask_b32_e32 v21, 0, v21, vcc
	v_cmp_ngt_f32_e32 vcc, s37, v20
	s_nop 1
	v_cndmask_b32_e32 v20, v68, v21, vcc
	v_sub_f32_e32 v20, 1.0, v20
.LBB433_59:                             ;   in Loop: Header=BB433_9 Depth=1
	s_andn2_saveexec_b64 s[14:15], s[14:15]
; %bb.60:                               ;   in Loop: Header=BB433_9 Depth=1
	v_mul_f32_e32 v20, v12, v12
	v_fmamk_f32 v21, v20, 0xba1345e1, v66
	v_fmaak_f32 v21, v20, v21, 0xbcdac9b8
	v_fmaak_f32 v21, v20, v21, 0x3de703be
	;; [unrolled: 1-line block ×4, first 2 shown]
	v_fma_f32 v20, |v12|, v20, |v12|
; %bb.61:                               ;   in Loop: Header=BB433_9 Depth=1
	s_or_b64 exec, exec, s[14:15]
	v_add_f32_e32 v9, v9, v13
	v_mul_f32_e32 v13, 0x3f3504f3, v9
	v_cmp_nlt_f32_e64 s[14:15], |v13|, 1.0
                                        ; implicit-def: $vgpr21
	s_and_saveexec_b64 s[18:19], s[14:15]
	s_xor_b64 s[14:15], exec, s[18:19]
	s_cbranch_execz .LBB433_63
; %bb.62:                               ;   in Loop: Header=BB433_9 Depth=1
	v_fma_f32 v21, |v13|, s28, v67
	v_fma_f32 v21, |v13|, v21, s29
	v_fma_f32 v21, |v13|, v21, s30
	v_fma_f32 v21, |v13|, v21, s31
	v_fma_f32 v21, |v13|, v21, s33
	v_fma_f32 v21, |v13|, v21, s34
	v_fma_f32 v21, |v13|, v21, |v13|
	v_mul_f32_e32 v22, 0xbfb8aa3b, v21
	v_fma_f32 v23, v21, s35, -v22
	v_rndne_f32_e32 v24, v22
	v_fmac_f32_e32 v23, 0xb2a5705f, v21
	v_sub_f32_e32 v22, v22, v24
	v_add_f32_e32 v22, v22, v23
	v_cvt_i32_f32_e32 v23, v24
	v_exp_f32_e32 v22, v22
	v_cmp_nlt_f32_e32 vcc, s36, v21
	v_ldexp_f32 v22, v22, v23
	s_nop 0
	v_cndmask_b32_e32 v22, 0, v22, vcc
	v_cmp_ngt_f32_e32 vcc, s37, v21
	s_nop 1
	v_cndmask_b32_e32 v21, v68, v22, vcc
	v_sub_f32_e32 v21, 1.0, v21
.LBB433_63:                             ;   in Loop: Header=BB433_9 Depth=1
	s_andn2_saveexec_b64 s[14:15], s[14:15]
; %bb.64:                               ;   in Loop: Header=BB433_9 Depth=1
	v_mul_f32_e32 v21, v13, v13
	v_fmamk_f32 v22, v21, 0xba1345e1, v66
	v_fmaak_f32 v22, v21, v22, 0xbcdac9b8
	v_fmaak_f32 v22, v21, v22, 0x3de703be
	v_fmaak_f32 v22, v21, v22, 0xbec09330
	v_fmaak_f32 v21, v21, v22, 0x3e0375d0
	v_fma_f32 v21, |v13|, v21, |v13|
; %bb.65:                               ;   in Loop: Header=BB433_9 Depth=1
	s_or_b64 exec, exec, s[14:15]
	s_waitcnt vmcnt(0)
	v_add_f32_e32 v1, v1, v5
	v_bfi_b32 v5, s38, v21, v13
	v_add_f32_e32 v0, v0, v4
	v_mul_f32_e32 v4, 0.5, v9
	v_add_f32_e32 v5, 1.0, v5
	v_bfi_b32 v12, s38, v20, v12
	v_mul_f32_e32 v9, v4, v5
	v_add_f32_e32 v4, v10, v14
	v_mul_f32_e32 v8, 0.5, v8
	v_add_f32_e32 v12, 1.0, v12
	v_mul_f32_e32 v5, 0x3f3504f3, v4
	v_mul_f32_e32 v8, v8, v12
	v_cmp_nlt_f32_e64 s[14:15], |v5|, 1.0
	;;#ASMSTART
	v_pk_mul_f32 v[0:1], v[8:9], v[0:1]
	;;#ASMEND
                                        ; implicit-def: $vgpr8
	s_and_saveexec_b64 s[18:19], s[14:15]
	s_xor_b64 s[14:15], exec, s[18:19]
	s_cbranch_execz .LBB433_67
; %bb.66:                               ;   in Loop: Header=BB433_9 Depth=1
	v_fma_f32 v8, |v5|, s28, v67
	v_fma_f32 v8, |v5|, v8, s29
	v_fma_f32 v8, |v5|, v8, s30
	v_fma_f32 v8, |v5|, v8, s31
	v_fma_f32 v8, |v5|, v8, s33
	v_fma_f32 v8, |v5|, v8, s34
	v_fma_f32 v8, |v5|, v8, |v5|
	v_mul_f32_e32 v9, 0xbfb8aa3b, v8
	v_fma_f32 v10, v8, s35, -v9
	v_rndne_f32_e32 v12, v9
	v_fmac_f32_e32 v10, 0xb2a5705f, v8
	v_sub_f32_e32 v9, v9, v12
	v_add_f32_e32 v9, v9, v10
	v_cvt_i32_f32_e32 v10, v12
	v_exp_f32_e32 v9, v9
	v_cmp_nlt_f32_e32 vcc, s36, v8
	v_ldexp_f32 v9, v9, v10
	s_nop 0
	v_cndmask_b32_e32 v9, 0, v9, vcc
	v_cmp_ngt_f32_e32 vcc, s37, v8
	s_nop 1
	v_cndmask_b32_e32 v8, v68, v9, vcc
	v_sub_f32_e32 v8, 1.0, v8
.LBB433_67:                             ;   in Loop: Header=BB433_9 Depth=1
	s_andn2_saveexec_b64 s[14:15], s[14:15]
; %bb.68:                               ;   in Loop: Header=BB433_9 Depth=1
	v_mul_f32_e32 v8, v5, v5
	v_fmamk_f32 v9, v8, 0xba1345e1, v66
	v_fmaak_f32 v9, v8, v9, 0xbcdac9b8
	v_fmaak_f32 v9, v8, v9, 0x3de703be
	;; [unrolled: 1-line block ×4, first 2 shown]
	v_fma_f32 v8, |v5|, v8, |v5|
; %bb.69:                               ;   in Loop: Header=BB433_9 Depth=1
	s_or_b64 exec, exec, s[14:15]
	v_add_f32_e32 v9, v11, v15
	v_mul_f32_e32 v10, 0x3f3504f3, v9
	v_cmp_nlt_f32_e64 s[14:15], |v10|, 1.0
                                        ; implicit-def: $vgpr11
	s_and_saveexec_b64 s[18:19], s[14:15]
	s_xor_b64 s[14:15], exec, s[18:19]
	s_cbranch_execz .LBB433_71
; %bb.70:                               ;   in Loop: Header=BB433_9 Depth=1
	v_fma_f32 v11, |v10|, s28, v67
	v_fma_f32 v11, |v10|, v11, s29
	v_fma_f32 v11, |v10|, v11, s30
	v_fma_f32 v11, |v10|, v11, s31
	v_fma_f32 v11, |v10|, v11, s33
	v_fma_f32 v11, |v10|, v11, s34
	v_fma_f32 v11, |v10|, v11, |v10|
	v_mul_f32_e32 v12, 0xbfb8aa3b, v11
	v_fma_f32 v13, v11, s35, -v12
	v_rndne_f32_e32 v14, v12
	v_fmac_f32_e32 v13, 0xb2a5705f, v11
	v_sub_f32_e32 v12, v12, v14
	v_add_f32_e32 v12, v12, v13
	v_cvt_i32_f32_e32 v13, v14
	v_exp_f32_e32 v12, v12
	v_cmp_nlt_f32_e32 vcc, s36, v11
	v_ldexp_f32 v12, v12, v13
	s_nop 0
	v_cndmask_b32_e32 v12, 0, v12, vcc
	v_cmp_ngt_f32_e32 vcc, s37, v11
	s_nop 1
	v_cndmask_b32_e32 v11, v68, v12, vcc
	v_sub_f32_e32 v11, 1.0, v11
.LBB433_71:                             ;   in Loop: Header=BB433_9 Depth=1
	s_andn2_saveexec_b64 s[14:15], s[14:15]
	s_cbranch_execz .LBB433_8
; %bb.72:                               ;   in Loop: Header=BB433_9 Depth=1
	v_mul_f32_e32 v11, v10, v10
	v_fmamk_f32 v12, v11, 0xba1345e1, v66
	v_fmaak_f32 v12, v11, v12, 0xbcdac9b8
	v_fmaak_f32 v12, v11, v12, 0x3de703be
	;; [unrolled: 1-line block ×4, first 2 shown]
	v_fma_f32 v11, |v10|, v11, |v10|
	s_branch .LBB433_8
.LBB433_73:
	s_endpgm
	.section	.rodata,"a",@progbits
	.p2align	6, 0x0
	.amdhsa_kernel _ZN5aiter23act_and_mul_bias_kernelIftifTnPFfRKT2_EXadL_ZNS_11gelu_kernelIfEEfRKT_EELi16EEEvPT0_PS8_PKT1_PS2_il
		.amdhsa_group_segment_fixed_size 0
		.amdhsa_private_segment_fixed_size 0
		.amdhsa_kernarg_size 304
		.amdhsa_user_sgpr_count 2
		.amdhsa_user_sgpr_dispatch_ptr 0
		.amdhsa_user_sgpr_queue_ptr 0
		.amdhsa_user_sgpr_kernarg_segment_ptr 1
		.amdhsa_user_sgpr_dispatch_id 0
		.amdhsa_user_sgpr_kernarg_preload_length 0
		.amdhsa_user_sgpr_kernarg_preload_offset 0
		.amdhsa_user_sgpr_private_segment_size 0
		.amdhsa_uses_dynamic_stack 0
		.amdhsa_enable_private_segment 0
		.amdhsa_system_sgpr_workgroup_id_x 1
		.amdhsa_system_sgpr_workgroup_id_y 0
		.amdhsa_system_sgpr_workgroup_id_z 0
		.amdhsa_system_sgpr_workgroup_info 0
		.amdhsa_system_vgpr_workitem_id 0
		.amdhsa_next_free_vgpr 74
		.amdhsa_next_free_sgpr 40
		.amdhsa_accum_offset 76
		.amdhsa_reserve_vcc 1
		.amdhsa_float_round_mode_32 0
		.amdhsa_float_round_mode_16_64 0
		.amdhsa_float_denorm_mode_32 3
		.amdhsa_float_denorm_mode_16_64 3
		.amdhsa_dx10_clamp 1
		.amdhsa_ieee_mode 1
		.amdhsa_fp16_overflow 0
		.amdhsa_tg_split 0
		.amdhsa_exception_fp_ieee_invalid_op 0
		.amdhsa_exception_fp_denorm_src 0
		.amdhsa_exception_fp_ieee_div_zero 0
		.amdhsa_exception_fp_ieee_overflow 0
		.amdhsa_exception_fp_ieee_underflow 0
		.amdhsa_exception_fp_ieee_inexact 0
		.amdhsa_exception_int_div_zero 0
	.end_amdhsa_kernel
	.section	.text._ZN5aiter23act_and_mul_bias_kernelIftifTnPFfRKT2_EXadL_ZNS_11gelu_kernelIfEEfRKT_EELi16EEEvPT0_PS8_PKT1_PS2_il,"axG",@progbits,_ZN5aiter23act_and_mul_bias_kernelIftifTnPFfRKT2_EXadL_ZNS_11gelu_kernelIfEEfRKT_EELi16EEEvPT0_PS8_PKT1_PS2_il,comdat
.Lfunc_end433:
	.size	_ZN5aiter23act_and_mul_bias_kernelIftifTnPFfRKT2_EXadL_ZNS_11gelu_kernelIfEEfRKT_EELi16EEEvPT0_PS8_PKT1_PS2_il, .Lfunc_end433-_ZN5aiter23act_and_mul_bias_kernelIftifTnPFfRKT2_EXadL_ZNS_11gelu_kernelIfEEfRKT_EELi16EEEvPT0_PS8_PKT1_PS2_il
                                        ; -- End function
	.section	.AMDGPU.csdata,"",@progbits
; Kernel info:
; codeLenInByte = 5020
; NumSgprs: 46
; NumVgprs: 74
; NumAgprs: 0
; TotalNumVgprs: 74
; ScratchSize: 0
; MemoryBound: 0
; FloatMode: 240
; IeeeMode: 1
; LDSByteSize: 0 bytes/workgroup (compile time only)
; SGPRBlocks: 5
; VGPRBlocks: 9
; NumSGPRsForWavesPerEU: 46
; NumVGPRsForWavesPerEU: 74
; AccumOffset: 76
; Occupancy: 6
; WaveLimiterHint : 0
; COMPUTE_PGM_RSRC2:SCRATCH_EN: 0
; COMPUTE_PGM_RSRC2:USER_SGPR: 2
; COMPUTE_PGM_RSRC2:TRAP_HANDLER: 0
; COMPUTE_PGM_RSRC2:TGID_X_EN: 1
; COMPUTE_PGM_RSRC2:TGID_Y_EN: 0
; COMPUTE_PGM_RSRC2:TGID_Z_EN: 0
; COMPUTE_PGM_RSRC2:TIDIG_COMP_CNT: 0
; COMPUTE_PGM_RSRC3_GFX90A:ACCUM_OFFSET: 18
; COMPUTE_PGM_RSRC3_GFX90A:TG_SPLIT: 0
	.section	.text._ZN5aiter23act_and_mul_bias_kernelIftifTnPFfRKT2_EXadL_ZNS_11gelu_kernelIfEEfRKT_EELi8EEEvPT0_PS8_PKT1_PS2_il,"axG",@progbits,_ZN5aiter23act_and_mul_bias_kernelIftifTnPFfRKT2_EXadL_ZNS_11gelu_kernelIfEEfRKT_EELi8EEEvPT0_PS8_PKT1_PS2_il,comdat
	.protected	_ZN5aiter23act_and_mul_bias_kernelIftifTnPFfRKT2_EXadL_ZNS_11gelu_kernelIfEEfRKT_EELi8EEEvPT0_PS8_PKT1_PS2_il ; -- Begin function _ZN5aiter23act_and_mul_bias_kernelIftifTnPFfRKT2_EXadL_ZNS_11gelu_kernelIfEEfRKT_EELi8EEEvPT0_PS8_PKT1_PS2_il
	.globl	_ZN5aiter23act_and_mul_bias_kernelIftifTnPFfRKT2_EXadL_ZNS_11gelu_kernelIfEEfRKT_EELi8EEEvPT0_PS8_PKT1_PS2_il
	.p2align	8
	.type	_ZN5aiter23act_and_mul_bias_kernelIftifTnPFfRKT2_EXadL_ZNS_11gelu_kernelIfEEfRKT_EELi8EEEvPT0_PS8_PKT1_PS2_il,@function
_ZN5aiter23act_and_mul_bias_kernelIftifTnPFfRKT2_EXadL_ZNS_11gelu_kernelIfEEfRKT_EELi8EEEvPT0_PS8_PKT1_PS2_il: ; @_ZN5aiter23act_and_mul_bias_kernelIftifTnPFfRKT2_EXadL_ZNS_11gelu_kernelIfEEfRKT_EELi8EEEvPT0_PS8_PKT1_PS2_il
; %bb.0:
	s_load_dwordx2 s[4:5], s[0:1], 0x10
	s_load_dword s24, s[0:1], 0x20
	s_load_dwordx2 s[12:13], s[0:1], 0x28
	s_mov_b32 s3, 0
	s_lshl_b64 s[6:7], s[2:3], 2
	s_waitcnt lgkmcnt(0)
	s_add_u32 s4, s4, s6
	s_addc_u32 s5, s5, s7
	s_load_dword s8, s[4:5], 0x0
	s_load_dwordx2 s[6:7], s[0:1], 0x0
	s_ashr_i32 s25, s24, 31
	s_mul_hi_u32 s3, s24, s2
	s_mul_i32 s4, s25, s2
	s_add_i32 s5, s3, s4
	s_mul_i32 s4, s24, s2
	s_waitcnt lgkmcnt(0)
	s_ashr_i32 s9, s8, 31
	s_lshl_b64 s[4:5], s[4:5], 1
	s_add_u32 s4, s6, s4
	s_addc_u32 s3, s7, s5
	s_add_i32 s5, s24, 1
	s_lshr_b32 s6, s5, 31
	v_mov_b64_e32 v[2:3], s[12:13]
	v_cmp_gt_i64_e64 s[14:15], s[8:9], -1
	s_add_i32 s5, s5, s6
	v_cmp_lt_i64_e32 vcc, s[8:9], v[2:3]
	s_lshl_b32 s5, s5, 1
	s_and_b64 s[12:13], s[14:15], vcc
	s_mov_b64 s[10:11], -1
	s_and_b32 s6, s5, -4
	s_and_b32 s5, s3, 0xffff
	s_and_b64 vcc, exec, s[12:13]
	v_lshlrev_b32_e32 v32, 3, v0
	s_cbranch_vccnz .LBB434_5
; %bb.1:
	v_cmp_gt_i32_e32 vcc, s24, v32
	s_and_saveexec_b64 s[10:11], vcc
	s_cbranch_execz .LBB434_4
; %bb.2:
	s_load_dword s3, s[0:1], 0x3c
	v_mov_b32_e32 v33, 0
	s_mov_b32 s13, 0
	v_lshlrev_b32_e32 v6, 4, v0
	s_mov_b64 s[14:15], 0
	s_waitcnt lgkmcnt(0)
	s_and_b32 s3, s3, 0xffff
	s_lshl_b32 s12, s3, 3
	s_lshl_b32 s3, s3, 4
	s_mov_b32 s7, 0x20000
	v_mov_b32_e32 v0, v33
	v_mov_b32_e32 v1, v33
	;; [unrolled: 1-line block ×4, first 2 shown]
	v_mov_b64_e32 v[4:5], v[32:33]
.LBB434_3:                              ; =>This Inner Loop Header: Depth=1
	v_lshl_add_u64 v[4:5], s[12:13], 0, v[4:5]
	v_cmp_le_i64_e32 vcc, s[24:25], v[4:5]
	buffer_store_dwordx4 v[0:3], v6, s[4:7], 0 offen
	s_or_b64 s[14:15], vcc, s[14:15]
	v_add_u32_e32 v6, s3, v6
	s_andn2_b64 exec, exec, s[14:15]
	s_cbranch_execnz .LBB434_3
.LBB434_4:
	s_or_b64 exec, exec, s[10:11]
	s_mov_b64 s[10:11], 0
.LBB434_5:
	s_andn2_b64 vcc, exec, s[10:11]
	s_cbranch_vccnz .LBB434_41
; %bb.6:
	v_cmp_gt_i32_e32 vcc, s24, v32
	s_and_saveexec_b64 s[10:11], vcc
	s_cbranch_execz .LBB434_41
; %bb.7:
	s_load_dwordx2 s[14:15], s[0:1], 0x8
	s_load_dwordx2 s[12:13], s[0:1], 0x18
	s_mul_hi_i32 s9, s24, s8
	s_mul_i32 s8, s24, s8
	s_lshl_b32 s10, s24, 2
	s_lshl_b64 s[8:9], s[8:9], 3
	s_waitcnt lgkmcnt(0)
	s_add_u32 s8, s12, s8
	s_addc_u32 s3, s13, s9
	s_lshl_b64 s[18:19], s[24:25], 2
	s_add_u32 s12, s8, s18
	s_addc_u32 s13, s3, s19
	s_and_b32 s9, s3, 0xffff
	s_mul_i32 s3, s2, s25
	s_mul_hi_u32 s16, s2, s24
	s_add_i32 s3, s16, s3
	s_mul_i32 s2, s2, s24
	s_and_b32 s13, s13, 0xffff
	s_lshl_b64 s[2:3], s[2:3], 3
	s_add_u32 s16, s14, s2
	s_addc_u32 s2, s15, s3
	s_add_u32 s20, s16, s18
	s_addc_u32 s3, s2, s19
	s_and_b32 s17, s2, 0xffff
	s_and_b32 s21, s3, 0xffff
	s_mov_b32 s7, 0x20000
	s_add_u32 s0, s0, 48
	s_mov_b32 s11, s7
	v_mov_b32_e32 v33, 0
	s_addc_u32 s1, s1, 0
	s_mov_b64 s[2:3], 0
	s_mov_b32 s23, s7
	s_mov_b32 s22, s10
	;; [unrolled: 1-line block ×14, first 2 shown]
	v_mov_b32_e32 v34, 0x3ba10414
	s_brev_b32 s38, -2
	s_mov_b32 s39, 0x7060302
	v_mov_b32_e32 v35, 0xb9c68948
	v_mov_b32_e32 v36, 0x7f800000
                                        ; implicit-def: $vgpr0
                                        ; implicit-def: $vgpr0
	;; [unrolled: 1-line block ×4, first 2 shown]
	s_branch .LBB434_9
.LBB434_8:                              ;   in Loop: Header=BB434_9 Depth=1
	s_or_b64 exec, exec, s[14:15]
	v_bfi_b32 v5, s38, v8, v5
	v_mul_f32_e32 v4, 0.5, v4
	v_add_f32_e32 v5, 1.0, v5
	v_add_f32_e32 v2, v2, v6
	v_bfi_b32 v6, s38, v11, v10
	v_mul_f32_e32 v4, v4, v5
	v_add_f32_e32 v3, v3, v7
	v_mul_f32_e32 v5, 0.5, v9
	v_add_f32_e32 v6, 1.0, v6
	v_mul_f32_e32 v5, v5, v6
	;;#ASMSTART
	v_pk_mul_f32 v[2:3], v[4:5], v[2:3]
	;;#ASMEND
	s_load_dword s14, s[0:1], 0xc
	v_lshlrev_b32_e32 v4, 1, v32
	v_perm_b32 v3, v3, v2, s39
	v_perm_b32 v2, v1, v0, s39
	;; [unrolled: 1-line block ×3, first 2 shown]
	s_waitcnt lgkmcnt(0)
	s_and_b32 s14, s14, 0xffff
	s_lshl_b32 s26, s14, 3
	v_lshl_add_u64 v[32:33], s[26:27], 0, v[32:33]
	v_cmp_le_i64_e32 vcc, s[24:25], v[32:33]
	v_perm_b32 v0, v17, v16, s39
	s_or_b64 s[2:3], vcc, s[2:3]
	buffer_store_dwordx4 v[0:3], v4, s[4:7], 0 offen
	s_andn2_b64 exec, exec, s[2:3]
	s_cbranch_execz .LBB434_41
.LBB434_9:                              ; =>This Inner Loop Header: Depth=1
	v_lshlrev_b32_e32 v37, 2, v32
	buffer_load_dwordx4 v[24:27], v37, s[16:19], 0 offen
	buffer_load_dwordx4 v[8:11], v37, s[16:19], 16 offen
	buffer_load_dwordx4 v[16:19], v37, s[20:23], 0 offen
	buffer_load_dwordx4 v[0:3], v37, s[20:23], 16 offen
	buffer_load_dwordx4 v[28:31], v37, s[8:11], 0 offen
	buffer_load_dwordx4 v[12:15], v37, s[8:11], 16 offen
	s_mov_b32 s14, s10
	s_mov_b32 s15, s11
	buffer_load_dwordx4 v[20:23], v37, s[12:15], 0 offen
	buffer_load_dwordx4 v[4:7], v37, s[12:15], 16 offen
                                        ; implicit-def: $vgpr37
	s_waitcnt vmcnt(3)
	v_add_f32_e32 v24, v24, v28
	v_mul_f32_e32 v28, 0x3f3504f3, v24
	v_cmp_nlt_f32_e64 s[14:15], |v28|, 1.0
	s_and_saveexec_b64 s[40:41], s[14:15]
	s_xor_b64 s[14:15], exec, s[40:41]
	s_cbranch_execz .LBB434_11
; %bb.10:                               ;   in Loop: Header=BB434_9 Depth=1
	v_fma_f32 v37, |v28|, s28, v35
	v_fma_f32 v37, |v28|, v37, s29
	;; [unrolled: 1-line block ×6, first 2 shown]
	v_fma_f32 v37, |v28|, v37, |v28|
	v_mul_f32_e32 v38, 0xbfb8aa3b, v37
	v_fma_f32 v39, v37, s35, -v38
	v_rndne_f32_e32 v40, v38
	v_fmac_f32_e32 v39, 0xb2a5705f, v37
	v_sub_f32_e32 v38, v38, v40
	v_add_f32_e32 v38, v38, v39
	v_cvt_i32_f32_e32 v39, v40
	v_exp_f32_e32 v38, v38
	v_cmp_nlt_f32_e32 vcc, s36, v37
	v_ldexp_f32 v38, v38, v39
	s_nop 0
	v_cndmask_b32_e32 v38, 0, v38, vcc
	v_cmp_ngt_f32_e32 vcc, s37, v37
	s_nop 1
	v_cndmask_b32_e32 v37, v36, v38, vcc
	v_sub_f32_e32 v37, 1.0, v37
.LBB434_11:                             ;   in Loop: Header=BB434_9 Depth=1
	s_andn2_saveexec_b64 s[14:15], s[14:15]
; %bb.12:                               ;   in Loop: Header=BB434_9 Depth=1
	v_mul_f32_e32 v37, v28, v28
	v_fmamk_f32 v38, v37, 0xba1345e1, v34
	v_fmaak_f32 v38, v37, v38, 0xbcdac9b8
	v_fmaak_f32 v38, v37, v38, 0x3de703be
	;; [unrolled: 1-line block ×4, first 2 shown]
	v_fma_f32 v37, |v28|, v37, |v28|
; %bb.13:                               ;   in Loop: Header=BB434_9 Depth=1
	s_or_b64 exec, exec, s[14:15]
	v_add_f32_e32 v25, v25, v29
	v_mul_f32_e32 v29, 0x3f3504f3, v25
	v_cmp_nlt_f32_e64 s[14:15], |v29|, 1.0
                                        ; implicit-def: $vgpr38
	s_and_saveexec_b64 s[40:41], s[14:15]
	s_xor_b64 s[14:15], exec, s[40:41]
	s_cbranch_execz .LBB434_15
; %bb.14:                               ;   in Loop: Header=BB434_9 Depth=1
	v_fma_f32 v38, |v29|, s28, v35
	v_fma_f32 v38, |v29|, v38, s29
	;; [unrolled: 1-line block ×6, first 2 shown]
	v_fma_f32 v38, |v29|, v38, |v29|
	v_mul_f32_e32 v39, 0xbfb8aa3b, v38
	v_fma_f32 v40, v38, s35, -v39
	v_rndne_f32_e32 v41, v39
	v_fmac_f32_e32 v40, 0xb2a5705f, v38
	v_sub_f32_e32 v39, v39, v41
	v_add_f32_e32 v39, v39, v40
	v_cvt_i32_f32_e32 v40, v41
	v_exp_f32_e32 v39, v39
	v_cmp_nlt_f32_e32 vcc, s36, v38
	v_ldexp_f32 v39, v39, v40
	s_nop 0
	v_cndmask_b32_e32 v39, 0, v39, vcc
	v_cmp_ngt_f32_e32 vcc, s37, v38
	s_nop 1
	v_cndmask_b32_e32 v38, v36, v39, vcc
	v_sub_f32_e32 v38, 1.0, v38
.LBB434_15:                             ;   in Loop: Header=BB434_9 Depth=1
	s_andn2_saveexec_b64 s[14:15], s[14:15]
; %bb.16:                               ;   in Loop: Header=BB434_9 Depth=1
	v_mul_f32_e32 v38, v29, v29
	v_fmamk_f32 v39, v38, 0xba1345e1, v34
	v_fmaak_f32 v39, v38, v39, 0xbcdac9b8
	v_fmaak_f32 v39, v38, v39, 0x3de703be
	;; [unrolled: 1-line block ×4, first 2 shown]
	v_fma_f32 v38, |v29|, v38, |v29|
; %bb.17:                               ;   in Loop: Header=BB434_9 Depth=1
	s_or_b64 exec, exec, s[14:15]
	s_waitcnt vmcnt(1)
	v_add_f32_e32 v17, v17, v21
	v_bfi_b32 v21, s38, v38, v29
	v_add_f32_e32 v16, v16, v20
	v_mul_f32_e32 v20, 0.5, v25
	v_add_f32_e32 v21, 1.0, v21
	v_bfi_b32 v28, s38, v37, v28
	v_mul_f32_e32 v25, v20, v21
	v_add_f32_e32 v20, v26, v30
	v_mul_f32_e32 v24, 0.5, v24
	v_add_f32_e32 v28, 1.0, v28
	v_mul_f32_e32 v21, 0x3f3504f3, v20
	v_mul_f32_e32 v24, v24, v28
	v_cmp_nlt_f32_e64 s[14:15], |v21|, 1.0
	;;#ASMSTART
	v_pk_mul_f32 v[16:17], v[24:25], v[16:17]
	;;#ASMEND
                                        ; implicit-def: $vgpr24
	s_and_saveexec_b64 s[40:41], s[14:15]
	s_xor_b64 s[14:15], exec, s[40:41]
	s_cbranch_execz .LBB434_19
; %bb.18:                               ;   in Loop: Header=BB434_9 Depth=1
	v_fma_f32 v24, |v21|, s28, v35
	v_fma_f32 v24, |v21|, v24, s29
	;; [unrolled: 1-line block ×6, first 2 shown]
	v_fma_f32 v24, |v21|, v24, |v21|
	v_mul_f32_e32 v25, 0xbfb8aa3b, v24
	v_fma_f32 v26, v24, s35, -v25
	v_rndne_f32_e32 v28, v25
	v_fmac_f32_e32 v26, 0xb2a5705f, v24
	v_sub_f32_e32 v25, v25, v28
	v_add_f32_e32 v25, v25, v26
	v_cvt_i32_f32_e32 v26, v28
	v_exp_f32_e32 v25, v25
	v_cmp_nlt_f32_e32 vcc, s36, v24
	v_ldexp_f32 v25, v25, v26
	s_nop 0
	v_cndmask_b32_e32 v25, 0, v25, vcc
	v_cmp_ngt_f32_e32 vcc, s37, v24
	s_nop 1
	v_cndmask_b32_e32 v24, v36, v25, vcc
	v_sub_f32_e32 v24, 1.0, v24
.LBB434_19:                             ;   in Loop: Header=BB434_9 Depth=1
	s_andn2_saveexec_b64 s[14:15], s[14:15]
; %bb.20:                               ;   in Loop: Header=BB434_9 Depth=1
	v_mul_f32_e32 v24, v21, v21
	v_fmamk_f32 v25, v24, 0xba1345e1, v34
	v_fmaak_f32 v25, v24, v25, 0xbcdac9b8
	v_fmaak_f32 v25, v24, v25, 0x3de703be
	;; [unrolled: 1-line block ×4, first 2 shown]
	v_fma_f32 v24, |v21|, v24, |v21|
; %bb.21:                               ;   in Loop: Header=BB434_9 Depth=1
	s_or_b64 exec, exec, s[14:15]
	v_add_f32_e32 v25, v27, v31
	v_mul_f32_e32 v26, 0x3f3504f3, v25
	v_cmp_nlt_f32_e64 s[14:15], |v26|, 1.0
                                        ; implicit-def: $vgpr27
	s_and_saveexec_b64 s[40:41], s[14:15]
	s_xor_b64 s[14:15], exec, s[40:41]
	s_cbranch_execz .LBB434_23
; %bb.22:                               ;   in Loop: Header=BB434_9 Depth=1
	v_fma_f32 v27, |v26|, s28, v35
	v_fma_f32 v27, |v26|, v27, s29
	;; [unrolled: 1-line block ×6, first 2 shown]
	v_fma_f32 v27, |v26|, v27, |v26|
	v_mul_f32_e32 v28, 0xbfb8aa3b, v27
	v_fma_f32 v29, v27, s35, -v28
	v_rndne_f32_e32 v30, v28
	v_fmac_f32_e32 v29, 0xb2a5705f, v27
	v_sub_f32_e32 v28, v28, v30
	v_add_f32_e32 v28, v28, v29
	v_cvt_i32_f32_e32 v29, v30
	v_exp_f32_e32 v28, v28
	v_cmp_nlt_f32_e32 vcc, s36, v27
	v_ldexp_f32 v28, v28, v29
	s_nop 0
	v_cndmask_b32_e32 v28, 0, v28, vcc
	v_cmp_ngt_f32_e32 vcc, s37, v27
	s_nop 1
	v_cndmask_b32_e32 v27, v36, v28, vcc
	v_sub_f32_e32 v27, 1.0, v27
.LBB434_23:                             ;   in Loop: Header=BB434_9 Depth=1
	s_andn2_saveexec_b64 s[14:15], s[14:15]
; %bb.24:                               ;   in Loop: Header=BB434_9 Depth=1
	v_mul_f32_e32 v27, v26, v26
	v_fmamk_f32 v28, v27, 0xba1345e1, v34
	v_fmaak_f32 v28, v27, v28, 0xbcdac9b8
	v_fmaak_f32 v28, v27, v28, 0x3de703be
	;; [unrolled: 1-line block ×4, first 2 shown]
	v_fma_f32 v27, |v26|, v27, |v26|
; %bb.25:                               ;   in Loop: Header=BB434_9 Depth=1
	s_or_b64 exec, exec, s[14:15]
	v_bfi_b32 v21, s38, v24, v21
	v_add_f32_e32 v8, v8, v12
	v_mul_f32_e32 v20, 0.5, v20
	v_add_f32_e32 v21, 1.0, v21
	v_add_f32_e32 v18, v18, v22
	v_bfi_b32 v22, s38, v27, v26
	v_mul_f32_e32 v12, 0x3f3504f3, v8
	v_mul_f32_e32 v20, v20, v21
	v_add_f32_e32 v19, v19, v23
	v_mul_f32_e32 v21, 0.5, v25
	v_add_f32_e32 v22, 1.0, v22
	v_cmp_nlt_f32_e64 s[14:15], |v12|, 1.0
	v_mul_f32_e32 v21, v21, v22
	;;#ASMSTART
	v_pk_mul_f32 v[18:19], v[20:21], v[18:19]
	;;#ASMEND
                                        ; implicit-def: $vgpr20
	s_and_saveexec_b64 s[40:41], s[14:15]
	s_xor_b64 s[14:15], exec, s[40:41]
	s_cbranch_execz .LBB434_27
; %bb.26:                               ;   in Loop: Header=BB434_9 Depth=1
	v_fma_f32 v20, |v12|, s28, v35
	v_fma_f32 v20, |v12|, v20, s29
	;; [unrolled: 1-line block ×6, first 2 shown]
	v_fma_f32 v20, |v12|, v20, |v12|
	v_mul_f32_e32 v21, 0xbfb8aa3b, v20
	v_fma_f32 v22, v20, s35, -v21
	v_rndne_f32_e32 v23, v21
	v_fmac_f32_e32 v22, 0xb2a5705f, v20
	v_sub_f32_e32 v21, v21, v23
	v_add_f32_e32 v21, v21, v22
	v_cvt_i32_f32_e32 v22, v23
	v_exp_f32_e32 v21, v21
	v_cmp_nlt_f32_e32 vcc, s36, v20
	v_ldexp_f32 v21, v21, v22
	s_nop 0
	v_cndmask_b32_e32 v21, 0, v21, vcc
	v_cmp_ngt_f32_e32 vcc, s37, v20
	s_nop 1
	v_cndmask_b32_e32 v20, v36, v21, vcc
	v_sub_f32_e32 v20, 1.0, v20
.LBB434_27:                             ;   in Loop: Header=BB434_9 Depth=1
	s_andn2_saveexec_b64 s[14:15], s[14:15]
; %bb.28:                               ;   in Loop: Header=BB434_9 Depth=1
	v_mul_f32_e32 v20, v12, v12
	v_fmamk_f32 v21, v20, 0xba1345e1, v34
	v_fmaak_f32 v21, v20, v21, 0xbcdac9b8
	v_fmaak_f32 v21, v20, v21, 0x3de703be
	;; [unrolled: 1-line block ×4, first 2 shown]
	v_fma_f32 v20, |v12|, v20, |v12|
; %bb.29:                               ;   in Loop: Header=BB434_9 Depth=1
	s_or_b64 exec, exec, s[14:15]
	v_add_f32_e32 v9, v9, v13
	v_mul_f32_e32 v13, 0x3f3504f3, v9
	v_cmp_nlt_f32_e64 s[14:15], |v13|, 1.0
                                        ; implicit-def: $vgpr21
	s_and_saveexec_b64 s[40:41], s[14:15]
	s_xor_b64 s[14:15], exec, s[40:41]
	s_cbranch_execz .LBB434_31
; %bb.30:                               ;   in Loop: Header=BB434_9 Depth=1
	v_fma_f32 v21, |v13|, s28, v35
	v_fma_f32 v21, |v13|, v21, s29
	;; [unrolled: 1-line block ×6, first 2 shown]
	v_fma_f32 v21, |v13|, v21, |v13|
	v_mul_f32_e32 v22, 0xbfb8aa3b, v21
	v_fma_f32 v23, v21, s35, -v22
	v_rndne_f32_e32 v24, v22
	v_fmac_f32_e32 v23, 0xb2a5705f, v21
	v_sub_f32_e32 v22, v22, v24
	v_add_f32_e32 v22, v22, v23
	v_cvt_i32_f32_e32 v23, v24
	v_exp_f32_e32 v22, v22
	v_cmp_nlt_f32_e32 vcc, s36, v21
	v_ldexp_f32 v22, v22, v23
	s_nop 0
	v_cndmask_b32_e32 v22, 0, v22, vcc
	v_cmp_ngt_f32_e32 vcc, s37, v21
	s_nop 1
	v_cndmask_b32_e32 v21, v36, v22, vcc
	v_sub_f32_e32 v21, 1.0, v21
.LBB434_31:                             ;   in Loop: Header=BB434_9 Depth=1
	s_andn2_saveexec_b64 s[14:15], s[14:15]
; %bb.32:                               ;   in Loop: Header=BB434_9 Depth=1
	v_mul_f32_e32 v21, v13, v13
	v_fmamk_f32 v22, v21, 0xba1345e1, v34
	v_fmaak_f32 v22, v21, v22, 0xbcdac9b8
	v_fmaak_f32 v22, v21, v22, 0x3de703be
	;; [unrolled: 1-line block ×4, first 2 shown]
	v_fma_f32 v21, |v13|, v21, |v13|
; %bb.33:                               ;   in Loop: Header=BB434_9 Depth=1
	s_or_b64 exec, exec, s[14:15]
	s_waitcnt vmcnt(0)
	v_add_f32_e32 v1, v1, v5
	v_bfi_b32 v5, s38, v21, v13
	v_add_f32_e32 v0, v0, v4
	v_mul_f32_e32 v4, 0.5, v9
	v_add_f32_e32 v5, 1.0, v5
	v_bfi_b32 v12, s38, v20, v12
	v_mul_f32_e32 v9, v4, v5
	v_add_f32_e32 v4, v10, v14
	v_mul_f32_e32 v8, 0.5, v8
	v_add_f32_e32 v12, 1.0, v12
	v_mul_f32_e32 v5, 0x3f3504f3, v4
	v_mul_f32_e32 v8, v8, v12
	v_cmp_nlt_f32_e64 s[14:15], |v5|, 1.0
	;;#ASMSTART
	v_pk_mul_f32 v[0:1], v[8:9], v[0:1]
	;;#ASMEND
                                        ; implicit-def: $vgpr8
	s_and_saveexec_b64 s[40:41], s[14:15]
	s_xor_b64 s[14:15], exec, s[40:41]
	s_cbranch_execz .LBB434_35
; %bb.34:                               ;   in Loop: Header=BB434_9 Depth=1
	v_fma_f32 v8, |v5|, s28, v35
	v_fma_f32 v8, |v5|, v8, s29
	;; [unrolled: 1-line block ×6, first 2 shown]
	v_fma_f32 v8, |v5|, v8, |v5|
	v_mul_f32_e32 v9, 0xbfb8aa3b, v8
	v_fma_f32 v10, v8, s35, -v9
	v_rndne_f32_e32 v12, v9
	v_fmac_f32_e32 v10, 0xb2a5705f, v8
	v_sub_f32_e32 v9, v9, v12
	v_add_f32_e32 v9, v9, v10
	v_cvt_i32_f32_e32 v10, v12
	v_exp_f32_e32 v9, v9
	v_cmp_nlt_f32_e32 vcc, s36, v8
	v_ldexp_f32 v9, v9, v10
	s_nop 0
	v_cndmask_b32_e32 v9, 0, v9, vcc
	v_cmp_ngt_f32_e32 vcc, s37, v8
	s_nop 1
	v_cndmask_b32_e32 v8, v36, v9, vcc
	v_sub_f32_e32 v8, 1.0, v8
.LBB434_35:                             ;   in Loop: Header=BB434_9 Depth=1
	s_andn2_saveexec_b64 s[14:15], s[14:15]
; %bb.36:                               ;   in Loop: Header=BB434_9 Depth=1
	v_mul_f32_e32 v8, v5, v5
	v_fmamk_f32 v9, v8, 0xba1345e1, v34
	v_fmaak_f32 v9, v8, v9, 0xbcdac9b8
	v_fmaak_f32 v9, v8, v9, 0x3de703be
	;; [unrolled: 1-line block ×4, first 2 shown]
	v_fma_f32 v8, |v5|, v8, |v5|
; %bb.37:                               ;   in Loop: Header=BB434_9 Depth=1
	s_or_b64 exec, exec, s[14:15]
	v_add_f32_e32 v9, v11, v15
	v_mul_f32_e32 v10, 0x3f3504f3, v9
	v_cmp_nlt_f32_e64 s[14:15], |v10|, 1.0
                                        ; implicit-def: $vgpr11
	s_and_saveexec_b64 s[40:41], s[14:15]
	s_xor_b64 s[14:15], exec, s[40:41]
	s_cbranch_execz .LBB434_39
; %bb.38:                               ;   in Loop: Header=BB434_9 Depth=1
	v_fma_f32 v11, |v10|, s28, v35
	v_fma_f32 v11, |v10|, v11, s29
	;; [unrolled: 1-line block ×6, first 2 shown]
	v_fma_f32 v11, |v10|, v11, |v10|
	v_mul_f32_e32 v12, 0xbfb8aa3b, v11
	v_fma_f32 v13, v11, s35, -v12
	v_rndne_f32_e32 v14, v12
	v_fmac_f32_e32 v13, 0xb2a5705f, v11
	v_sub_f32_e32 v12, v12, v14
	v_add_f32_e32 v12, v12, v13
	v_cvt_i32_f32_e32 v13, v14
	v_exp_f32_e32 v12, v12
	v_cmp_nlt_f32_e32 vcc, s36, v11
	v_ldexp_f32 v12, v12, v13
	s_nop 0
	v_cndmask_b32_e32 v12, 0, v12, vcc
	v_cmp_ngt_f32_e32 vcc, s37, v11
	s_nop 1
	v_cndmask_b32_e32 v11, v36, v12, vcc
	v_sub_f32_e32 v11, 1.0, v11
.LBB434_39:                             ;   in Loop: Header=BB434_9 Depth=1
	s_andn2_saveexec_b64 s[14:15], s[14:15]
	s_cbranch_execz .LBB434_8
; %bb.40:                               ;   in Loop: Header=BB434_9 Depth=1
	v_mul_f32_e32 v11, v10, v10
	v_fmamk_f32 v12, v11, 0xba1345e1, v34
	v_fmaak_f32 v12, v11, v12, 0xbcdac9b8
	v_fmaak_f32 v12, v11, v12, 0x3de703be
	v_fmaak_f32 v12, v11, v12, 0xbec09330
	v_fmaak_f32 v11, v11, v12, 0x3e0375d0
	v_fma_f32 v11, |v10|, v11, |v10|
	s_branch .LBB434_8
.LBB434_41:
	s_endpgm
	.section	.rodata,"a",@progbits
	.p2align	6, 0x0
	.amdhsa_kernel _ZN5aiter23act_and_mul_bias_kernelIftifTnPFfRKT2_EXadL_ZNS_11gelu_kernelIfEEfRKT_EELi8EEEvPT0_PS8_PKT1_PS2_il
		.amdhsa_group_segment_fixed_size 0
		.amdhsa_private_segment_fixed_size 0
		.amdhsa_kernarg_size 304
		.amdhsa_user_sgpr_count 2
		.amdhsa_user_sgpr_dispatch_ptr 0
		.amdhsa_user_sgpr_queue_ptr 0
		.amdhsa_user_sgpr_kernarg_segment_ptr 1
		.amdhsa_user_sgpr_dispatch_id 0
		.amdhsa_user_sgpr_kernarg_preload_length 0
		.amdhsa_user_sgpr_kernarg_preload_offset 0
		.amdhsa_user_sgpr_private_segment_size 0
		.amdhsa_uses_dynamic_stack 0
		.amdhsa_enable_private_segment 0
		.amdhsa_system_sgpr_workgroup_id_x 1
		.amdhsa_system_sgpr_workgroup_id_y 0
		.amdhsa_system_sgpr_workgroup_id_z 0
		.amdhsa_system_sgpr_workgroup_info 0
		.amdhsa_system_vgpr_workitem_id 0
		.amdhsa_next_free_vgpr 42
		.amdhsa_next_free_sgpr 42
		.amdhsa_accum_offset 44
		.amdhsa_reserve_vcc 1
		.amdhsa_float_round_mode_32 0
		.amdhsa_float_round_mode_16_64 0
		.amdhsa_float_denorm_mode_32 3
		.amdhsa_float_denorm_mode_16_64 3
		.amdhsa_dx10_clamp 1
		.amdhsa_ieee_mode 1
		.amdhsa_fp16_overflow 0
		.amdhsa_tg_split 0
		.amdhsa_exception_fp_ieee_invalid_op 0
		.amdhsa_exception_fp_denorm_src 0
		.amdhsa_exception_fp_ieee_div_zero 0
		.amdhsa_exception_fp_ieee_overflow 0
		.amdhsa_exception_fp_ieee_underflow 0
		.amdhsa_exception_fp_ieee_inexact 0
		.amdhsa_exception_int_div_zero 0
	.end_amdhsa_kernel
	.section	.text._ZN5aiter23act_and_mul_bias_kernelIftifTnPFfRKT2_EXadL_ZNS_11gelu_kernelIfEEfRKT_EELi8EEEvPT0_PS8_PKT1_PS2_il,"axG",@progbits,_ZN5aiter23act_and_mul_bias_kernelIftifTnPFfRKT2_EXadL_ZNS_11gelu_kernelIfEEfRKT_EELi8EEEvPT0_PS8_PKT1_PS2_il,comdat
.Lfunc_end434:
	.size	_ZN5aiter23act_and_mul_bias_kernelIftifTnPFfRKT2_EXadL_ZNS_11gelu_kernelIfEEfRKT_EELi8EEEvPT0_PS8_PKT1_PS2_il, .Lfunc_end434-_ZN5aiter23act_and_mul_bias_kernelIftifTnPFfRKT2_EXadL_ZNS_11gelu_kernelIfEEfRKT_EELi8EEEvPT0_PS8_PKT1_PS2_il
                                        ; -- End function
	.section	.AMDGPU.csdata,"",@progbits
; Kernel info:
; codeLenInByte = 2836
; NumSgprs: 48
; NumVgprs: 42
; NumAgprs: 0
; TotalNumVgprs: 42
; ScratchSize: 0
; MemoryBound: 0
; FloatMode: 240
; IeeeMode: 1
; LDSByteSize: 0 bytes/workgroup (compile time only)
; SGPRBlocks: 5
; VGPRBlocks: 5
; NumSGPRsForWavesPerEU: 48
; NumVGPRsForWavesPerEU: 42
; AccumOffset: 44
; Occupancy: 8
; WaveLimiterHint : 0
; COMPUTE_PGM_RSRC2:SCRATCH_EN: 0
; COMPUTE_PGM_RSRC2:USER_SGPR: 2
; COMPUTE_PGM_RSRC2:TRAP_HANDLER: 0
; COMPUTE_PGM_RSRC2:TGID_X_EN: 1
; COMPUTE_PGM_RSRC2:TGID_Y_EN: 0
; COMPUTE_PGM_RSRC2:TGID_Z_EN: 0
; COMPUTE_PGM_RSRC2:TIDIG_COMP_CNT: 0
; COMPUTE_PGM_RSRC3_GFX90A:ACCUM_OFFSET: 10
; COMPUTE_PGM_RSRC3_GFX90A:TG_SPLIT: 0
	.section	.text._ZN5aiter23act_and_mul_bias_kernelIftifTnPFfRKT2_EXadL_ZNS_11gelu_kernelIfEEfRKT_EELi4EEEvPT0_PS8_PKT1_PS2_il,"axG",@progbits,_ZN5aiter23act_and_mul_bias_kernelIftifTnPFfRKT2_EXadL_ZNS_11gelu_kernelIfEEfRKT_EELi4EEEvPT0_PS8_PKT1_PS2_il,comdat
	.protected	_ZN5aiter23act_and_mul_bias_kernelIftifTnPFfRKT2_EXadL_ZNS_11gelu_kernelIfEEfRKT_EELi4EEEvPT0_PS8_PKT1_PS2_il ; -- Begin function _ZN5aiter23act_and_mul_bias_kernelIftifTnPFfRKT2_EXadL_ZNS_11gelu_kernelIfEEfRKT_EELi4EEEvPT0_PS8_PKT1_PS2_il
	.globl	_ZN5aiter23act_and_mul_bias_kernelIftifTnPFfRKT2_EXadL_ZNS_11gelu_kernelIfEEfRKT_EELi4EEEvPT0_PS8_PKT1_PS2_il
	.p2align	8
	.type	_ZN5aiter23act_and_mul_bias_kernelIftifTnPFfRKT2_EXadL_ZNS_11gelu_kernelIfEEfRKT_EELi4EEEvPT0_PS8_PKT1_PS2_il,@function
_ZN5aiter23act_and_mul_bias_kernelIftifTnPFfRKT2_EXadL_ZNS_11gelu_kernelIfEEfRKT_EELi4EEEvPT0_PS8_PKT1_PS2_il: ; @_ZN5aiter23act_and_mul_bias_kernelIftifTnPFfRKT2_EXadL_ZNS_11gelu_kernelIfEEfRKT_EELi4EEEvPT0_PS8_PKT1_PS2_il
; %bb.0:
	s_load_dwordx2 s[4:5], s[0:1], 0x10
	s_load_dword s24, s[0:1], 0x20
	s_load_dwordx2 s[12:13], s[0:1], 0x28
	s_mov_b32 s3, 0
	s_lshl_b64 s[6:7], s[2:3], 2
	s_waitcnt lgkmcnt(0)
	s_add_u32 s4, s4, s6
	s_addc_u32 s5, s5, s7
	s_load_dword s8, s[4:5], 0x0
	s_load_dwordx2 s[6:7], s[0:1], 0x0
	s_ashr_i32 s25, s24, 31
	s_mul_hi_u32 s3, s24, s2
	s_mul_i32 s4, s25, s2
	s_add_i32 s5, s3, s4
	s_mul_i32 s4, s24, s2
	s_waitcnt lgkmcnt(0)
	s_ashr_i32 s9, s8, 31
	s_lshl_b64 s[4:5], s[4:5], 1
	s_add_u32 s4, s6, s4
	s_addc_u32 s3, s7, s5
	s_add_i32 s5, s24, 1
	s_lshr_b32 s6, s5, 31
	v_mov_b64_e32 v[2:3], s[12:13]
	v_cmp_gt_i64_e64 s[14:15], s[8:9], -1
	s_add_i32 s5, s5, s6
	v_cmp_lt_i64_e32 vcc, s[8:9], v[2:3]
	s_lshl_b32 s5, s5, 1
	s_and_b64 s[12:13], s[14:15], vcc
	s_mov_b64 s[10:11], -1
	s_and_b32 s6, s5, -4
	s_and_b32 s5, s3, 0xffff
	s_and_b64 vcc, exec, s[12:13]
	v_lshlrev_b32_e32 v16, 2, v0
	s_cbranch_vccnz .LBB435_5
; %bb.1:
	v_cmp_gt_i32_e32 vcc, s24, v16
	s_and_saveexec_b64 s[10:11], vcc
	s_cbranch_execz .LBB435_4
; %bb.2:
	s_load_dword s3, s[0:1], 0x3c
	v_mov_b32_e32 v17, 0
	s_mov_b32 s13, 0
	v_lshlrev_b32_e32 v4, 3, v0
	s_mov_b64 s[14:15], 0
	s_waitcnt lgkmcnt(0)
	s_and_b32 s3, s3, 0xffff
	s_lshl_b32 s12, s3, 2
	s_lshl_b32 s3, s3, 3
	s_mov_b32 s7, 0x20000
	v_mov_b32_e32 v0, v17
	v_mov_b32_e32 v1, v17
	v_mov_b64_e32 v[2:3], v[16:17]
.LBB435_3:                              ; =>This Inner Loop Header: Depth=1
	v_lshl_add_u64 v[2:3], s[12:13], 0, v[2:3]
	v_cmp_le_i64_e32 vcc, s[24:25], v[2:3]
	buffer_store_dwordx2 v[0:1], v4, s[4:7], 0 offen
	s_or_b64 s[14:15], vcc, s[14:15]
	v_add_u32_e32 v4, s3, v4
	s_andn2_b64 exec, exec, s[14:15]
	s_cbranch_execnz .LBB435_3
.LBB435_4:
	s_or_b64 exec, exec, s[10:11]
	s_mov_b64 s[10:11], 0
.LBB435_5:
	s_andn2_b64 vcc, exec, s[10:11]
	s_cbranch_vccnz .LBB435_25
; %bb.6:
	v_cmp_gt_i32_e32 vcc, s24, v16
	s_and_saveexec_b64 s[10:11], vcc
	s_cbranch_execz .LBB435_25
; %bb.7:
	s_load_dwordx2 s[14:15], s[0:1], 0x8
	s_load_dwordx2 s[12:13], s[0:1], 0x18
	s_mul_hi_i32 s9, s24, s8
	s_mul_i32 s8, s24, s8
	s_lshl_b32 s10, s24, 2
	s_lshl_b64 s[8:9], s[8:9], 3
	s_waitcnt lgkmcnt(0)
	s_add_u32 s8, s12, s8
	s_addc_u32 s3, s13, s9
	s_lshl_b64 s[18:19], s[24:25], 2
	s_add_u32 s12, s8, s18
	s_addc_u32 s13, s3, s19
	s_and_b32 s9, s3, 0xffff
	s_mul_i32 s3, s2, s25
	s_mul_hi_u32 s16, s2, s24
	s_add_i32 s3, s16, s3
	s_mul_i32 s2, s2, s24
	s_and_b32 s13, s13, 0xffff
	s_lshl_b64 s[2:3], s[2:3], 3
	s_add_u32 s16, s14, s2
	s_addc_u32 s2, s15, s3
	s_add_u32 s20, s16, s18
	s_addc_u32 s3, s2, s19
	s_and_b32 s17, s2, 0xffff
	s_and_b32 s21, s3, 0xffff
	s_mov_b32 s7, 0x20000
	s_add_u32 s0, s0, 48
	s_mov_b32 s11, s7
	v_mov_b32_e32 v17, 0
	s_addc_u32 s1, s1, 0
	s_mov_b64 s[2:3], 0
	s_mov_b32 s23, s7
	s_mov_b32 s22, s10
	;; [unrolled: 1-line block ×14, first 2 shown]
	v_mov_b32_e32 v18, 0x3ba10414
	s_brev_b32 s38, -2
	s_mov_b32 s39, 0x7060302
	v_mov_b32_e32 v19, 0xb9c68948
	v_mov_b32_e32 v20, 0x7f800000
                                        ; implicit-def: $vgpr0
                                        ; implicit-def: $vgpr0
	;; [unrolled: 1-line block ×4, first 2 shown]
	s_branch .LBB435_9
.LBB435_8:                              ;   in Loop: Header=BB435_9 Depth=1
	s_or_b64 exec, exec, s[14:15]
	v_bfi_b32 v5, s38, v8, v5
	v_mul_f32_e32 v4, 0.5, v4
	v_add_f32_e32 v5, 1.0, v5
	v_add_f32_e32 v2, v2, v6
	v_bfi_b32 v6, s38, v11, v10
	v_mul_f32_e32 v4, v4, v5
	v_add_f32_e32 v3, v3, v7
	v_mul_f32_e32 v5, 0.5, v9
	v_add_f32_e32 v6, 1.0, v6
	v_mul_f32_e32 v5, v5, v6
	;;#ASMSTART
	v_pk_mul_f32 v[2:3], v[4:5], v[2:3]
	;;#ASMEND
	s_load_dword s14, s[0:1], 0xc
	v_perm_b32 v3, v3, v2, s39
	v_perm_b32 v2, v1, v0, s39
	v_lshlrev_b32_e32 v0, 1, v16
	buffer_store_dwordx2 v[2:3], v0, s[4:7], 0 offen
	s_waitcnt lgkmcnt(0)
	s_and_b32 s14, s14, 0xffff
	s_lshl_b32 s26, s14, 2
	v_lshl_add_u64 v[16:17], s[26:27], 0, v[16:17]
	v_cmp_le_i64_e32 vcc, s[24:25], v[16:17]
	s_or_b64 s[2:3], vcc, s[2:3]
	s_andn2_b64 exec, exec, s[2:3]
	s_cbranch_execz .LBB435_25
.LBB435_9:                              ; =>This Inner Loop Header: Depth=1
	v_lshlrev_b32_e32 v4, 2, v16
	buffer_load_dwordx4 v[8:11], v4, s[16:19], 0 offen
	buffer_load_dwordx4 v[0:3], v4, s[20:23], 0 offen
	;; [unrolled: 1-line block ×3, first 2 shown]
	s_mov_b32 s14, s10
	s_mov_b32 s15, s11
	buffer_load_dwordx4 v[4:7], v4, s[12:15], 0 offen
                                        ; implicit-def: $vgpr21
	s_waitcnt vmcnt(1)
	v_add_f32_e32 v8, v8, v12
	v_mul_f32_e32 v12, 0x3f3504f3, v8
	v_cmp_nlt_f32_e64 s[14:15], |v12|, 1.0
	s_and_saveexec_b64 s[40:41], s[14:15]
	s_xor_b64 s[14:15], exec, s[40:41]
	s_cbranch_execz .LBB435_11
; %bb.10:                               ;   in Loop: Header=BB435_9 Depth=1
	v_fma_f32 v21, |v12|, s28, v19
	v_fma_f32 v21, |v12|, v21, s29
	;; [unrolled: 1-line block ×6, first 2 shown]
	v_fma_f32 v21, |v12|, v21, |v12|
	v_mul_f32_e32 v22, 0xbfb8aa3b, v21
	v_fma_f32 v23, v21, s35, -v22
	v_rndne_f32_e32 v24, v22
	v_fmac_f32_e32 v23, 0xb2a5705f, v21
	v_sub_f32_e32 v22, v22, v24
	v_add_f32_e32 v22, v22, v23
	v_cvt_i32_f32_e32 v23, v24
	v_exp_f32_e32 v22, v22
	v_cmp_nlt_f32_e32 vcc, s36, v21
	v_ldexp_f32 v22, v22, v23
	s_nop 0
	v_cndmask_b32_e32 v22, 0, v22, vcc
	v_cmp_ngt_f32_e32 vcc, s37, v21
	s_nop 1
	v_cndmask_b32_e32 v21, v20, v22, vcc
	v_sub_f32_e32 v21, 1.0, v21
.LBB435_11:                             ;   in Loop: Header=BB435_9 Depth=1
	s_andn2_saveexec_b64 s[14:15], s[14:15]
; %bb.12:                               ;   in Loop: Header=BB435_9 Depth=1
	v_mul_f32_e32 v21, v12, v12
	v_fmamk_f32 v22, v21, 0xba1345e1, v18
	v_fmaak_f32 v22, v21, v22, 0xbcdac9b8
	v_fmaak_f32 v22, v21, v22, 0x3de703be
	;; [unrolled: 1-line block ×4, first 2 shown]
	v_fma_f32 v21, |v12|, v21, |v12|
; %bb.13:                               ;   in Loop: Header=BB435_9 Depth=1
	s_or_b64 exec, exec, s[14:15]
	v_add_f32_e32 v9, v9, v13
	v_mul_f32_e32 v13, 0x3f3504f3, v9
	v_cmp_nlt_f32_e64 s[14:15], |v13|, 1.0
                                        ; implicit-def: $vgpr22
	s_and_saveexec_b64 s[40:41], s[14:15]
	s_xor_b64 s[14:15], exec, s[40:41]
	s_cbranch_execz .LBB435_15
; %bb.14:                               ;   in Loop: Header=BB435_9 Depth=1
	v_fma_f32 v22, |v13|, s28, v19
	v_fma_f32 v22, |v13|, v22, s29
	;; [unrolled: 1-line block ×6, first 2 shown]
	v_fma_f32 v22, |v13|, v22, |v13|
	v_mul_f32_e32 v23, 0xbfb8aa3b, v22
	v_fma_f32 v24, v22, s35, -v23
	v_rndne_f32_e32 v25, v23
	v_fmac_f32_e32 v24, 0xb2a5705f, v22
	v_sub_f32_e32 v23, v23, v25
	v_add_f32_e32 v23, v23, v24
	v_cvt_i32_f32_e32 v24, v25
	v_exp_f32_e32 v23, v23
	v_cmp_nlt_f32_e32 vcc, s36, v22
	v_ldexp_f32 v23, v23, v24
	s_nop 0
	v_cndmask_b32_e32 v23, 0, v23, vcc
	v_cmp_ngt_f32_e32 vcc, s37, v22
	s_nop 1
	v_cndmask_b32_e32 v22, v20, v23, vcc
	v_sub_f32_e32 v22, 1.0, v22
.LBB435_15:                             ;   in Loop: Header=BB435_9 Depth=1
	s_andn2_saveexec_b64 s[14:15], s[14:15]
; %bb.16:                               ;   in Loop: Header=BB435_9 Depth=1
	v_mul_f32_e32 v22, v13, v13
	v_fmamk_f32 v23, v22, 0xba1345e1, v18
	v_fmaak_f32 v23, v22, v23, 0xbcdac9b8
	v_fmaak_f32 v23, v22, v23, 0x3de703be
	;; [unrolled: 1-line block ×4, first 2 shown]
	v_fma_f32 v22, |v13|, v22, |v13|
; %bb.17:                               ;   in Loop: Header=BB435_9 Depth=1
	s_or_b64 exec, exec, s[14:15]
	s_waitcnt vmcnt(0)
	v_add_f32_e32 v1, v1, v5
	v_bfi_b32 v5, s38, v22, v13
	v_add_f32_e32 v0, v0, v4
	v_mul_f32_e32 v4, 0.5, v9
	v_add_f32_e32 v5, 1.0, v5
	v_bfi_b32 v12, s38, v21, v12
	v_mul_f32_e32 v9, v4, v5
	v_add_f32_e32 v4, v10, v14
	v_mul_f32_e32 v8, 0.5, v8
	v_add_f32_e32 v12, 1.0, v12
	v_mul_f32_e32 v5, 0x3f3504f3, v4
	v_mul_f32_e32 v8, v8, v12
	v_cmp_nlt_f32_e64 s[14:15], |v5|, 1.0
	;;#ASMSTART
	v_pk_mul_f32 v[0:1], v[8:9], v[0:1]
	;;#ASMEND
                                        ; implicit-def: $vgpr8
	s_and_saveexec_b64 s[40:41], s[14:15]
	s_xor_b64 s[14:15], exec, s[40:41]
	s_cbranch_execz .LBB435_19
; %bb.18:                               ;   in Loop: Header=BB435_9 Depth=1
	v_fma_f32 v8, |v5|, s28, v19
	v_fma_f32 v8, |v5|, v8, s29
	;; [unrolled: 1-line block ×6, first 2 shown]
	v_fma_f32 v8, |v5|, v8, |v5|
	v_mul_f32_e32 v9, 0xbfb8aa3b, v8
	v_fma_f32 v10, v8, s35, -v9
	v_rndne_f32_e32 v12, v9
	v_fmac_f32_e32 v10, 0xb2a5705f, v8
	v_sub_f32_e32 v9, v9, v12
	v_add_f32_e32 v9, v9, v10
	v_cvt_i32_f32_e32 v10, v12
	v_exp_f32_e32 v9, v9
	v_cmp_nlt_f32_e32 vcc, s36, v8
	v_ldexp_f32 v9, v9, v10
	s_nop 0
	v_cndmask_b32_e32 v9, 0, v9, vcc
	v_cmp_ngt_f32_e32 vcc, s37, v8
	s_nop 1
	v_cndmask_b32_e32 v8, v20, v9, vcc
	v_sub_f32_e32 v8, 1.0, v8
.LBB435_19:                             ;   in Loop: Header=BB435_9 Depth=1
	s_andn2_saveexec_b64 s[14:15], s[14:15]
; %bb.20:                               ;   in Loop: Header=BB435_9 Depth=1
	v_mul_f32_e32 v8, v5, v5
	v_fmamk_f32 v9, v8, 0xba1345e1, v18
	v_fmaak_f32 v9, v8, v9, 0xbcdac9b8
	v_fmaak_f32 v9, v8, v9, 0x3de703be
	;; [unrolled: 1-line block ×4, first 2 shown]
	v_fma_f32 v8, |v5|, v8, |v5|
; %bb.21:                               ;   in Loop: Header=BB435_9 Depth=1
	s_or_b64 exec, exec, s[14:15]
	v_add_f32_e32 v9, v11, v15
	v_mul_f32_e32 v10, 0x3f3504f3, v9
	v_cmp_nlt_f32_e64 s[14:15], |v10|, 1.0
                                        ; implicit-def: $vgpr11
	s_and_saveexec_b64 s[40:41], s[14:15]
	s_xor_b64 s[14:15], exec, s[40:41]
	s_cbranch_execz .LBB435_23
; %bb.22:                               ;   in Loop: Header=BB435_9 Depth=1
	v_fma_f32 v11, |v10|, s28, v19
	v_fma_f32 v11, |v10|, v11, s29
	;; [unrolled: 1-line block ×6, first 2 shown]
	v_fma_f32 v11, |v10|, v11, |v10|
	v_mul_f32_e32 v12, 0xbfb8aa3b, v11
	v_fma_f32 v13, v11, s35, -v12
	v_rndne_f32_e32 v14, v12
	v_fmac_f32_e32 v13, 0xb2a5705f, v11
	v_sub_f32_e32 v12, v12, v14
	v_add_f32_e32 v12, v12, v13
	v_cvt_i32_f32_e32 v13, v14
	v_exp_f32_e32 v12, v12
	v_cmp_nlt_f32_e32 vcc, s36, v11
	v_ldexp_f32 v12, v12, v13
	s_nop 0
	v_cndmask_b32_e32 v12, 0, v12, vcc
	v_cmp_ngt_f32_e32 vcc, s37, v11
	s_nop 1
	v_cndmask_b32_e32 v11, v20, v12, vcc
	v_sub_f32_e32 v11, 1.0, v11
.LBB435_23:                             ;   in Loop: Header=BB435_9 Depth=1
	s_andn2_saveexec_b64 s[14:15], s[14:15]
	s_cbranch_execz .LBB435_8
; %bb.24:                               ;   in Loop: Header=BB435_9 Depth=1
	v_mul_f32_e32 v11, v10, v10
	v_fmamk_f32 v12, v11, 0xba1345e1, v18
	v_fmaak_f32 v12, v11, v12, 0xbcdac9b8
	v_fmaak_f32 v12, v11, v12, 0x3de703be
	;; [unrolled: 1-line block ×4, first 2 shown]
	v_fma_f32 v11, |v10|, v11, |v10|
	s_branch .LBB435_8
.LBB435_25:
	s_endpgm
	.section	.rodata,"a",@progbits
	.p2align	6, 0x0
	.amdhsa_kernel _ZN5aiter23act_and_mul_bias_kernelIftifTnPFfRKT2_EXadL_ZNS_11gelu_kernelIfEEfRKT_EELi4EEEvPT0_PS8_PKT1_PS2_il
		.amdhsa_group_segment_fixed_size 0
		.amdhsa_private_segment_fixed_size 0
		.amdhsa_kernarg_size 304
		.amdhsa_user_sgpr_count 2
		.amdhsa_user_sgpr_dispatch_ptr 0
		.amdhsa_user_sgpr_queue_ptr 0
		.amdhsa_user_sgpr_kernarg_segment_ptr 1
		.amdhsa_user_sgpr_dispatch_id 0
		.amdhsa_user_sgpr_kernarg_preload_length 0
		.amdhsa_user_sgpr_kernarg_preload_offset 0
		.amdhsa_user_sgpr_private_segment_size 0
		.amdhsa_uses_dynamic_stack 0
		.amdhsa_enable_private_segment 0
		.amdhsa_system_sgpr_workgroup_id_x 1
		.amdhsa_system_sgpr_workgroup_id_y 0
		.amdhsa_system_sgpr_workgroup_id_z 0
		.amdhsa_system_sgpr_workgroup_info 0
		.amdhsa_system_vgpr_workitem_id 0
		.amdhsa_next_free_vgpr 26
		.amdhsa_next_free_sgpr 42
		.amdhsa_accum_offset 28
		.amdhsa_reserve_vcc 1
		.amdhsa_float_round_mode_32 0
		.amdhsa_float_round_mode_16_64 0
		.amdhsa_float_denorm_mode_32 3
		.amdhsa_float_denorm_mode_16_64 3
		.amdhsa_dx10_clamp 1
		.amdhsa_ieee_mode 1
		.amdhsa_fp16_overflow 0
		.amdhsa_tg_split 0
		.amdhsa_exception_fp_ieee_invalid_op 0
		.amdhsa_exception_fp_denorm_src 0
		.amdhsa_exception_fp_ieee_div_zero 0
		.amdhsa_exception_fp_ieee_overflow 0
		.amdhsa_exception_fp_ieee_underflow 0
		.amdhsa_exception_fp_ieee_inexact 0
		.amdhsa_exception_int_div_zero 0
	.end_amdhsa_kernel
	.section	.text._ZN5aiter23act_and_mul_bias_kernelIftifTnPFfRKT2_EXadL_ZNS_11gelu_kernelIfEEfRKT_EELi4EEEvPT0_PS8_PKT1_PS2_il,"axG",@progbits,_ZN5aiter23act_and_mul_bias_kernelIftifTnPFfRKT2_EXadL_ZNS_11gelu_kernelIfEEfRKT_EELi4EEEvPT0_PS8_PKT1_PS2_il,comdat
.Lfunc_end435:
	.size	_ZN5aiter23act_and_mul_bias_kernelIftifTnPFfRKT2_EXadL_ZNS_11gelu_kernelIfEEfRKT_EELi4EEEvPT0_PS8_PKT1_PS2_il, .Lfunc_end435-_ZN5aiter23act_and_mul_bias_kernelIftifTnPFfRKT2_EXadL_ZNS_11gelu_kernelIfEEfRKT_EELi4EEEvPT0_PS8_PKT1_PS2_il
                                        ; -- End function
	.section	.AMDGPU.csdata,"",@progbits
; Kernel info:
; codeLenInByte = 1752
; NumSgprs: 48
; NumVgprs: 26
; NumAgprs: 0
; TotalNumVgprs: 26
; ScratchSize: 0
; MemoryBound: 0
; FloatMode: 240
; IeeeMode: 1
; LDSByteSize: 0 bytes/workgroup (compile time only)
; SGPRBlocks: 5
; VGPRBlocks: 3
; NumSGPRsForWavesPerEU: 48
; NumVGPRsForWavesPerEU: 26
; AccumOffset: 28
; Occupancy: 8
; WaveLimiterHint : 0
; COMPUTE_PGM_RSRC2:SCRATCH_EN: 0
; COMPUTE_PGM_RSRC2:USER_SGPR: 2
; COMPUTE_PGM_RSRC2:TRAP_HANDLER: 0
; COMPUTE_PGM_RSRC2:TGID_X_EN: 1
; COMPUTE_PGM_RSRC2:TGID_Y_EN: 0
; COMPUTE_PGM_RSRC2:TGID_Z_EN: 0
; COMPUTE_PGM_RSRC2:TIDIG_COMP_CNT: 0
; COMPUTE_PGM_RSRC3_GFX90A:ACCUM_OFFSET: 6
; COMPUTE_PGM_RSRC3_GFX90A:TG_SPLIT: 0
	.section	.text._ZN5aiter23act_and_mul_bias_kernelIftifTnPFfRKT2_EXadL_ZNS_11gelu_kernelIfEEfRKT_EELi2EEEvPT0_PS8_PKT1_PS2_il,"axG",@progbits,_ZN5aiter23act_and_mul_bias_kernelIftifTnPFfRKT2_EXadL_ZNS_11gelu_kernelIfEEfRKT_EELi2EEEvPT0_PS8_PKT1_PS2_il,comdat
	.protected	_ZN5aiter23act_and_mul_bias_kernelIftifTnPFfRKT2_EXadL_ZNS_11gelu_kernelIfEEfRKT_EELi2EEEvPT0_PS8_PKT1_PS2_il ; -- Begin function _ZN5aiter23act_and_mul_bias_kernelIftifTnPFfRKT2_EXadL_ZNS_11gelu_kernelIfEEfRKT_EELi2EEEvPT0_PS8_PKT1_PS2_il
	.globl	_ZN5aiter23act_and_mul_bias_kernelIftifTnPFfRKT2_EXadL_ZNS_11gelu_kernelIfEEfRKT_EELi2EEEvPT0_PS8_PKT1_PS2_il
	.p2align	8
	.type	_ZN5aiter23act_and_mul_bias_kernelIftifTnPFfRKT2_EXadL_ZNS_11gelu_kernelIfEEfRKT_EELi2EEEvPT0_PS8_PKT1_PS2_il,@function
_ZN5aiter23act_and_mul_bias_kernelIftifTnPFfRKT2_EXadL_ZNS_11gelu_kernelIfEEfRKT_EELi2EEEvPT0_PS8_PKT1_PS2_il: ; @_ZN5aiter23act_and_mul_bias_kernelIftifTnPFfRKT2_EXadL_ZNS_11gelu_kernelIfEEfRKT_EELi2EEEvPT0_PS8_PKT1_PS2_il
; %bb.0:
	s_load_dwordx2 s[4:5], s[0:1], 0x10
	s_load_dword s24, s[0:1], 0x20
	s_load_dwordx2 s[12:13], s[0:1], 0x28
	s_mov_b32 s3, 0
	s_lshl_b64 s[6:7], s[2:3], 2
	s_waitcnt lgkmcnt(0)
	s_add_u32 s4, s4, s6
	s_addc_u32 s5, s5, s7
	s_load_dword s8, s[4:5], 0x0
	s_load_dwordx2 s[6:7], s[0:1], 0x0
	s_ashr_i32 s25, s24, 31
	s_mul_hi_u32 s3, s24, s2
	s_mul_i32 s4, s25, s2
	s_add_i32 s5, s3, s4
	s_mul_i32 s4, s24, s2
	s_waitcnt lgkmcnt(0)
	s_ashr_i32 s9, s8, 31
	s_lshl_b64 s[4:5], s[4:5], 1
	s_add_u32 s4, s6, s4
	s_addc_u32 s3, s7, s5
	s_add_i32 s5, s24, 1
	s_lshr_b32 s6, s5, 31
	v_mov_b64_e32 v[2:3], s[12:13]
	v_cmp_gt_i64_e64 s[14:15], s[8:9], -1
	s_add_i32 s5, s5, s6
	v_cmp_lt_i64_e32 vcc, s[8:9], v[2:3]
	s_lshl_b32 s5, s5, 1
	s_and_b64 s[12:13], s[14:15], vcc
	s_mov_b64 s[10:11], -1
	s_and_b32 s6, s5, -4
	s_and_b32 s5, s3, 0xffff
	s_and_b64 vcc, exec, s[12:13]
	v_lshlrev_b32_e32 v2, 1, v0
	s_cbranch_vccnz .LBB436_5
; %bb.1:
	v_cmp_gt_i32_e32 vcc, s24, v2
	s_and_saveexec_b64 s[10:11], vcc
	s_cbranch_execz .LBB436_4
; %bb.2:
	s_load_dword s3, s[0:1], 0x3c
	v_mov_b32_e32 v3, 0
	s_mov_b32 s13, 0
	v_lshlrev_b32_e32 v4, 2, v0
	s_mov_b64 s[14:15], 0
	s_waitcnt lgkmcnt(0)
	s_and_b32 s3, s3, 0xffff
	s_lshl_b32 s12, s3, 1
	s_lshl_b32 s3, s3, 2
	s_mov_b32 s7, 0x20000
	v_mov_b64_e32 v[0:1], v[2:3]
.LBB436_3:                              ; =>This Inner Loop Header: Depth=1
	v_lshl_add_u64 v[0:1], s[12:13], 0, v[0:1]
	v_cmp_le_i64_e32 vcc, s[24:25], v[0:1]
	buffer_store_dword v3, v4, s[4:7], 0 offen
	s_or_b64 s[14:15], vcc, s[14:15]
	v_add_u32_e32 v4, s3, v4
	s_andn2_b64 exec, exec, s[14:15]
	s_cbranch_execnz .LBB436_3
.LBB436_4:
	s_or_b64 exec, exec, s[10:11]
	s_mov_b64 s[10:11], 0
.LBB436_5:
	s_andn2_b64 vcc, exec, s[10:11]
	s_cbranch_vccnz .LBB436_13
; %bb.6:
	v_cmp_gt_i32_e32 vcc, s24, v2
	s_and_saveexec_b64 s[10:11], vcc
	s_cbranch_execz .LBB436_13
; %bb.7:
	s_load_dwordx2 s[14:15], s[0:1], 0x8
	s_load_dwordx2 s[12:13], s[0:1], 0x18
	s_mul_hi_i32 s9, s24, s8
	s_mul_i32 s8, s24, s8
	s_lshl_b32 s10, s24, 2
	s_lshl_b64 s[8:9], s[8:9], 3
	s_waitcnt lgkmcnt(0)
	s_add_u32 s8, s12, s8
	s_addc_u32 s3, s13, s9
	s_lshl_b64 s[18:19], s[24:25], 2
	s_add_u32 s12, s8, s18
	s_addc_u32 s13, s3, s19
	s_and_b32 s9, s3, 0xffff
	s_mul_i32 s3, s2, s25
	s_mul_hi_u32 s16, s2, s24
	s_add_i32 s3, s16, s3
	s_mul_i32 s2, s2, s24
	s_and_b32 s13, s13, 0xffff
	s_lshl_b64 s[2:3], s[2:3], 3
	s_add_u32 s16, s14, s2
	s_addc_u32 s2, s15, s3
	s_add_u32 s20, s16, s18
	s_addc_u32 s3, s2, s19
	s_and_b32 s17, s2, 0xffff
	s_and_b32 s21, s3, 0xffff
	s_mov_b32 s7, 0x20000
	s_add_u32 s0, s0, 48
	s_mov_b32 s11, s7
	v_mov_b32_e32 v3, 0
	s_addc_u32 s1, s1, 0
	s_mov_b64 s[2:3], 0
	s_mov_b32 s23, s7
	s_mov_b32 s22, s10
	;; [unrolled: 1-line block ×15, first 2 shown]
	v_mov_b32_e32 v12, 0x3ba10414
	v_mov_b32_e32 v13, 0xb9c68948
	;; [unrolled: 1-line block ×3, first 2 shown]
	s_brev_b32 s39, -2
	s_mov_b32 s40, 0x7060302
                                        ; implicit-def: $vgpr0
                                        ; implicit-def: $vgpr0
                                        ; implicit-def: $vgpr0
                                        ; implicit-def: $vgpr0
	s_branch .LBB436_9
.LBB436_8:                              ;   in Loop: Header=BB436_9 Depth=1
	s_or_b64 exec, exec, s[14:15]
	v_fma_f32 v10, |v1|, s29, v13
	v_fma_f32 v10, |v1|, v10, s30
	;; [unrolled: 1-line block ×6, first 2 shown]
	v_fma_f32 v10, |v1|, v10, |v1|
	v_mul_f32_e32 v16, 0xbfb8aa3b, v10
	v_fma_f32 v17, v10, s36, -v16
	v_rndne_f32_e32 v18, v16
	v_fmac_f32_e32 v17, 0xb2a5705f, v10
	v_sub_f32_e32 v16, v16, v18
	v_add_f32_e32 v16, v16, v17
	v_exp_f32_e32 v16, v16
	v_cvt_i32_f32_e32 v17, v18
	s_waitcnt vmcnt(0)
	v_pk_add_f32 v[4:5], v[4:5], v[8:9]
	v_fmamk_f32 v9, v11, 0xba1345e1, v12
	v_fmaak_f32 v9, v11, v9, 0xbcdac9b8
	v_ldexp_f32 v8, v16, v17
	v_cmp_nlt_f32_e32 vcc, s37, v10
	v_fmaak_f32 v9, v11, v9, 0x3de703be
	v_fmaak_f32 v9, v11, v9, 0xbec09330
	v_cndmask_b32_e32 v8, 0, v8, vcc
	v_cmp_ngt_f32_e32 vcc, s38, v10
	v_fmaak_f32 v9, v11, v9, 0x3e0375d0
	v_fma_f32 v9, |v1|, v9, |v1|
	v_cndmask_b32_e32 v8, v14, v8, vcc
	v_sub_f32_e32 v8, 1.0, v8
	v_cmp_lt_f32_e64 vcc, |v1|, 1.0
	v_bfi_b32 v0, s39, v15, v0
	v_mul_f32_e32 v7, 0.5, v7
	v_cndmask_b32_e32 v8, v8, v9, vcc
	v_bfi_b32 v1, s39, v8, v1
	v_mul_f32_e32 v6, 0.5, v6
	v_pk_add_f32 v[0:1], v[0:1], 1.0 op_sel_hi:[1,0]
	s_nop 0
	v_pk_mul_f32 v[0:1], v[6:7], v[0:1]
	s_nop 0
	;;#ASMSTART
	v_pk_mul_f32 v[0:1], v[0:1], v[4:5]
	;;#ASMEND
	s_load_dword s14, s[0:1], 0xc
	v_perm_b32 v0, v1, v0, s40
	v_lshlrev_b32_e32 v1, 1, v2
	buffer_store_dword v0, v1, s[4:7], 0 offen
	s_waitcnt lgkmcnt(0)
	s_and_b32 s14, s14, 0xffff
	s_lshl_b32 s26, s14, 1
	v_lshl_add_u64 v[2:3], s[26:27], 0, v[2:3]
	v_cmp_le_i64_e32 vcc, s[24:25], v[2:3]
	s_or_b64 s[2:3], vcc, s[2:3]
	s_andn2_b64 exec, exec, s[2:3]
	s_cbranch_execz .LBB436_13
.LBB436_9:                              ; =>This Inner Loop Header: Depth=1
	v_lshlrev_b32_e32 v8, 2, v2
	buffer_load_dwordx2 v[0:1], v8, s[16:19], 0 offen
	buffer_load_dwordx2 v[4:5], v8, s[20:23], 0 offen
	;; [unrolled: 1-line block ×3, first 2 shown]
	s_mov_b32 s14, s10
	s_mov_b32 s15, s11
	buffer_load_dwordx2 v[8:9], v8, s[12:15], 0 offen
                                        ; implicit-def: $vgpr15
	s_waitcnt vmcnt(1)
	v_pk_add_f32 v[6:7], v[0:1], v[6:7]
	s_nop 0
	v_pk_mul_f32 v[0:1], v[6:7], s[28:29] op_sel_hi:[1,0]
	s_nop 0
	v_cmp_nlt_f32_e64 s[14:15], |v0|, 1.0
	s_and_saveexec_b64 s[42:43], s[14:15]
	s_xor_b64 s[14:15], exec, s[42:43]
	s_cbranch_execz .LBB436_11
; %bb.10:                               ;   in Loop: Header=BB436_9 Depth=1
	v_fma_f32 v10, |v0|, s29, v13
	v_fma_f32 v10, |v0|, v10, s30
	;; [unrolled: 1-line block ×6, first 2 shown]
	v_fma_f32 v10, |v0|, v10, |v0|
	v_mul_f32_e32 v11, 0xbfb8aa3b, v10
	v_fma_f32 v15, v10, s36, -v11
	v_rndne_f32_e32 v16, v11
	v_fmac_f32_e32 v15, 0xb2a5705f, v10
	v_sub_f32_e32 v11, v11, v16
	v_add_f32_e32 v11, v11, v15
	v_cvt_i32_f32_e32 v15, v16
	v_exp_f32_e32 v11, v11
	v_cmp_nlt_f32_e32 vcc, s37, v10
	v_ldexp_f32 v11, v11, v15
	s_nop 0
	v_cndmask_b32_e32 v11, 0, v11, vcc
	v_cmp_ngt_f32_e32 vcc, s38, v10
	s_nop 1
	v_cndmask_b32_e32 v10, v14, v11, vcc
	v_sub_f32_e32 v15, 1.0, v10
.LBB436_11:                             ;   in Loop: Header=BB436_9 Depth=1
	s_or_saveexec_b64 s[14:15], s[14:15]
	v_pk_mul_f32 v[10:11], v[0:1], v[0:1]
	s_xor_b64 exec, exec, s[14:15]
	s_cbranch_execz .LBB436_8
; %bb.12:                               ;   in Loop: Header=BB436_9 Depth=1
	v_fmamk_f32 v15, v10, 0xba1345e1, v12
	v_fmaak_f32 v15, v10, v15, 0xbcdac9b8
	v_fmaak_f32 v15, v10, v15, 0x3de703be
	;; [unrolled: 1-line block ×4, first 2 shown]
	v_fma_f32 v15, |v0|, v10, |v0|
	s_branch .LBB436_8
.LBB436_13:
	s_endpgm
	.section	.rodata,"a",@progbits
	.p2align	6, 0x0
	.amdhsa_kernel _ZN5aiter23act_and_mul_bias_kernelIftifTnPFfRKT2_EXadL_ZNS_11gelu_kernelIfEEfRKT_EELi2EEEvPT0_PS8_PKT1_PS2_il
		.amdhsa_group_segment_fixed_size 0
		.amdhsa_private_segment_fixed_size 0
		.amdhsa_kernarg_size 304
		.amdhsa_user_sgpr_count 2
		.amdhsa_user_sgpr_dispatch_ptr 0
		.amdhsa_user_sgpr_queue_ptr 0
		.amdhsa_user_sgpr_kernarg_segment_ptr 1
		.amdhsa_user_sgpr_dispatch_id 0
		.amdhsa_user_sgpr_kernarg_preload_length 0
		.amdhsa_user_sgpr_kernarg_preload_offset 0
		.amdhsa_user_sgpr_private_segment_size 0
		.amdhsa_uses_dynamic_stack 0
		.amdhsa_enable_private_segment 0
		.amdhsa_system_sgpr_workgroup_id_x 1
		.amdhsa_system_sgpr_workgroup_id_y 0
		.amdhsa_system_sgpr_workgroup_id_z 0
		.amdhsa_system_sgpr_workgroup_info 0
		.amdhsa_system_vgpr_workitem_id 0
		.amdhsa_next_free_vgpr 19
		.amdhsa_next_free_sgpr 44
		.amdhsa_accum_offset 20
		.amdhsa_reserve_vcc 1
		.amdhsa_float_round_mode_32 0
		.amdhsa_float_round_mode_16_64 0
		.amdhsa_float_denorm_mode_32 3
		.amdhsa_float_denorm_mode_16_64 3
		.amdhsa_dx10_clamp 1
		.amdhsa_ieee_mode 1
		.amdhsa_fp16_overflow 0
		.amdhsa_tg_split 0
		.amdhsa_exception_fp_ieee_invalid_op 0
		.amdhsa_exception_fp_denorm_src 0
		.amdhsa_exception_fp_ieee_div_zero 0
		.amdhsa_exception_fp_ieee_overflow 0
		.amdhsa_exception_fp_ieee_underflow 0
		.amdhsa_exception_fp_ieee_inexact 0
		.amdhsa_exception_int_div_zero 0
	.end_amdhsa_kernel
	.section	.text._ZN5aiter23act_and_mul_bias_kernelIftifTnPFfRKT2_EXadL_ZNS_11gelu_kernelIfEEfRKT_EELi2EEEvPT0_PS8_PKT1_PS2_il,"axG",@progbits,_ZN5aiter23act_and_mul_bias_kernelIftifTnPFfRKT2_EXadL_ZNS_11gelu_kernelIfEEfRKT_EELi2EEEvPT0_PS8_PKT1_PS2_il,comdat
.Lfunc_end436:
	.size	_ZN5aiter23act_and_mul_bias_kernelIftifTnPFfRKT2_EXadL_ZNS_11gelu_kernelIfEEfRKT_EELi2EEEvPT0_PS8_PKT1_PS2_il, .Lfunc_end436-_ZN5aiter23act_and_mul_bias_kernelIftifTnPFfRKT2_EXadL_ZNS_11gelu_kernelIfEEfRKT_EELi2EEEvPT0_PS8_PKT1_PS2_il
                                        ; -- End function
	.section	.AMDGPU.csdata,"",@progbits
; Kernel info:
; codeLenInByte = 1220
; NumSgprs: 50
; NumVgprs: 19
; NumAgprs: 0
; TotalNumVgprs: 19
; ScratchSize: 0
; MemoryBound: 0
; FloatMode: 240
; IeeeMode: 1
; LDSByteSize: 0 bytes/workgroup (compile time only)
; SGPRBlocks: 6
; VGPRBlocks: 2
; NumSGPRsForWavesPerEU: 50
; NumVGPRsForWavesPerEU: 19
; AccumOffset: 20
; Occupancy: 8
; WaveLimiterHint : 0
; COMPUTE_PGM_RSRC2:SCRATCH_EN: 0
; COMPUTE_PGM_RSRC2:USER_SGPR: 2
; COMPUTE_PGM_RSRC2:TRAP_HANDLER: 0
; COMPUTE_PGM_RSRC2:TGID_X_EN: 1
; COMPUTE_PGM_RSRC2:TGID_Y_EN: 0
; COMPUTE_PGM_RSRC2:TGID_Z_EN: 0
; COMPUTE_PGM_RSRC2:TIDIG_COMP_CNT: 0
; COMPUTE_PGM_RSRC3_GFX90A:ACCUM_OFFSET: 4
; COMPUTE_PGM_RSRC3_GFX90A:TG_SPLIT: 0
	.section	.text._ZN5aiter23act_and_mul_bias_kernelIftifTnPFfRKT2_EXadL_ZNS_11gelu_kernelIfEEfRKT_EELi1EEEvPT0_PS8_PKT1_PS2_il,"axG",@progbits,_ZN5aiter23act_and_mul_bias_kernelIftifTnPFfRKT2_EXadL_ZNS_11gelu_kernelIfEEfRKT_EELi1EEEvPT0_PS8_PKT1_PS2_il,comdat
	.protected	_ZN5aiter23act_and_mul_bias_kernelIftifTnPFfRKT2_EXadL_ZNS_11gelu_kernelIfEEfRKT_EELi1EEEvPT0_PS8_PKT1_PS2_il ; -- Begin function _ZN5aiter23act_and_mul_bias_kernelIftifTnPFfRKT2_EXadL_ZNS_11gelu_kernelIfEEfRKT_EELi1EEEvPT0_PS8_PKT1_PS2_il
	.globl	_ZN5aiter23act_and_mul_bias_kernelIftifTnPFfRKT2_EXadL_ZNS_11gelu_kernelIfEEfRKT_EELi1EEEvPT0_PS8_PKT1_PS2_il
	.p2align	8
	.type	_ZN5aiter23act_and_mul_bias_kernelIftifTnPFfRKT2_EXadL_ZNS_11gelu_kernelIfEEfRKT_EELi1EEEvPT0_PS8_PKT1_PS2_il,@function
_ZN5aiter23act_and_mul_bias_kernelIftifTnPFfRKT2_EXadL_ZNS_11gelu_kernelIfEEfRKT_EELi1EEEvPT0_PS8_PKT1_PS2_il: ; @_ZN5aiter23act_and_mul_bias_kernelIftifTnPFfRKT2_EXadL_ZNS_11gelu_kernelIfEEfRKT_EELi1EEEvPT0_PS8_PKT1_PS2_il
; %bb.0:
	s_load_dwordx2 s[4:5], s[0:1], 0x10
	s_load_dword s20, s[0:1], 0x20
	s_load_dwordx2 s[14:15], s[0:1], 0x28
	s_mov_b32 s3, 0
	s_lshl_b64 s[6:7], s[2:3], 2
	s_waitcnt lgkmcnt(0)
	s_add_u32 s4, s4, s6
	s_addc_u32 s5, s5, s7
	s_load_dword s12, s[4:5], 0x0
	s_load_dwordx2 s[8:9], s[0:1], 0x0
	s_ashr_i32 s21, s20, 31
	s_mul_hi_u32 s3, s20, s2
	s_mul_i32 s10, s21, s2
	s_add_i32 s11, s3, s10
	s_mul_i32 s10, s20, s2
	s_waitcnt lgkmcnt(0)
	s_ashr_i32 s13, s12, 31
	s_lshl_b64 s[10:11], s[10:11], 1
	s_add_u32 s8, s8, s10
	s_addc_u32 s3, s9, s11
	s_add_i32 s9, s20, 1
	s_lshr_b32 s10, s9, 31
	v_mov_b64_e32 v[2:3], s[14:15]
	v_cmp_gt_i64_e64 s[4:5], s[12:13], -1
	s_add_i32 s9, s9, s10
	v_cmp_lt_i64_e32 vcc, s[12:13], v[2:3]
	s_lshl_b32 s9, s9, 1
	s_and_b64 s[4:5], s[4:5], vcc
	s_mov_b64 s[6:7], -1
	s_and_b32 s10, s9, -4
	s_and_b32 s9, s3, 0xffff
	s_and_b64 vcc, exec, s[4:5]
	v_cmp_gt_i32_e64 s[4:5], s20, v0
	s_cbranch_vccnz .LBB437_5
; %bb.1:
	s_and_saveexec_b64 s[6:7], s[4:5]
	s_cbranch_execz .LBB437_4
; %bb.2:
	s_load_dword s3, s[0:1], 0x3c
	v_mov_b32_e32 v1, 0
	s_mov_b32 s5, 0
	v_lshlrev_b32_e32 v4, 1, v0
	s_mov_b64 s[14:15], 0
	s_waitcnt lgkmcnt(0)
	s_and_b32 s4, s3, 0xffff
	s_lshl_b32 s3, s4, 1
	s_mov_b32 s11, 0x20000
	v_mov_b64_e32 v[2:3], v[0:1]
.LBB437_3:                              ; =>This Inner Loop Header: Depth=1
	v_lshl_add_u64 v[2:3], v[2:3], 0, s[4:5]
	v_cmp_le_i64_e32 vcc, s[20:21], v[2:3]
	buffer_store_short v1, v4, s[8:11], 0 offen
	s_or_b64 s[14:15], vcc, s[14:15]
	v_add_u32_e32 v4, s3, v4
	s_andn2_b64 exec, exec, s[14:15]
	s_cbranch_execnz .LBB437_3
.LBB437_4:
	s_or_b64 exec, exec, s[6:7]
	s_mov_b64 s[6:7], 0
.LBB437_5:
	s_andn2_b64 vcc, exec, s[6:7]
	s_cbranch_vccnz .LBB437_13
; %bb.6:
	v_cmp_gt_i32_e32 vcc, s20, v0
	s_and_saveexec_b64 s[4:5], vcc
	s_cbranch_execz .LBB437_13
; %bb.7:
	s_load_dwordx2 s[14:15], s[0:1], 0x8
	s_load_dwordx2 s[4:5], s[0:1], 0x18
	s_mul_hi_i32 s13, s20, s12
	s_mul_i32 s12, s20, s12
	s_lshl_b32 s6, s20, 2
	s_lshl_b64 s[12:13], s[12:13], 3
	s_waitcnt lgkmcnt(0)
	s_add_u32 s4, s4, s12
	s_load_dword s18, s[0:1], 0x3c
	s_addc_u32 s1, s5, s13
	s_lshl_b64 s[16:17], s[20:21], 2
	s_add_u32 s0, s4, s16
	s_addc_u32 s3, s1, s17
	s_and_b32 s5, s1, 0xffff
	s_and_b32 s1, s3, 0xffff
	s_mul_i32 s3, s2, s21
	s_mul_hi_u32 s12, s2, s20
	s_add_i32 s3, s12, s3
	s_mul_i32 s2, s2, s20
	s_lshl_b64 s[2:3], s[2:3], 3
	s_add_u32 s12, s14, s2
	s_addc_u32 s2, s15, s3
	s_add_u32 s16, s12, s16
	s_mov_b32 s11, 0x20000
	s_addc_u32 s3, s2, s17
	s_waitcnt lgkmcnt(0)
	s_and_b32 s22, s18, 0xffff
                                        ; implicit-def: $vgpr5
                                        ; implicit-def: $vgpr5
                                        ; implicit-def: $vgpr5
                                        ; implicit-def: $vgpr5
	s_mov_b32 s7, s11
	s_and_b32 s13, s2, 0xffff
	s_and_b32 s17, s3, 0xffff
	s_mov_b32 s23, 0
	v_mov_b32_e32 v1, 0
	v_lshlrev_b32_e32 v2, 1, v0
	s_lshl_b32 s26, s22, 1
	v_lshlrev_b32_e32 v3, 2, v0
	s_lshl_b32 s27, s22, 2
	s_mov_b64 s[24:25], 0
	s_mov_b32 s19, s11
	s_mov_b32 s18, s6
	s_mov_b32 s14, s6
	s_mov_b32 s15, s11
	s_mov_b32 s28, 0x378e98ab
	s_mov_b32 s29, 0x3b7cd369
	s_mov_b32 s30, 0xbcc618b2
	s_mov_b32 s31, 0x3dda74e4
	s_mov_b32 s33, 0x3f228afd
	s_mov_b32 s34, 0x3e03c728
	s_mov_b32 s35, 0xbfb8aa3b
	s_mov_b32 s36, 0x42ce8ed0
	s_mov_b32 s37, 0xc2b17218
	v_mov_b32_e32 v4, 0x3ba10414
	s_brev_b32 s38, -2
	v_mov_b32_e32 v5, 0xb9c68948
	v_mov_b32_e32 v6, 0x7f800000
	s_branch .LBB437_9
.LBB437_8:                              ;   in Loop: Header=BB437_9 Depth=1
	s_or_b64 exec, exec, s[2:3]
	s_waitcnt vmcnt(0)
	v_add_f32_e32 v7, v7, v8
	v_mul_f32_e32 v8, 0.5, v9
	v_bfi_b32 v9, s38, v11, v10
	v_add_f32_e32 v9, 1.0, v9
	v_mul_f32_e32 v8, v8, v9
	v_mul_f32_e32 v7, v7, v8
	v_lshl_add_u64 v[0:1], v[0:1], 0, s[22:23]
	v_lshrrev_b32_e32 v7, 16, v7
	v_cmp_le_i64_e32 vcc, s[20:21], v[0:1]
	buffer_store_short v7, v2, s[8:11], 0 offen
	v_add_u32_e32 v2, s26, v2
	s_or_b64 s[24:25], vcc, s[24:25]
	v_add_u32_e32 v3, s27, v3
	s_andn2_b64 exec, exec, s[24:25]
	s_cbranch_execz .LBB437_13
.LBB437_9:                              ; =>This Inner Loop Header: Depth=1
	buffer_load_dword v9, v3, s[12:15], 0 offen
	buffer_load_dword v7, v3, s[16:19], 0 offen
	;; [unrolled: 1-line block ×3, first 2 shown]
	s_mov_b32 s2, s6
	s_mov_b32 s3, s7
	buffer_load_dword v8, v3, s[0:3], 0 offen
                                        ; implicit-def: $vgpr11
	s_waitcnt vmcnt(1)
	v_add_f32_e32 v9, v9, v10
	v_mul_f32_e32 v10, 0x3f3504f3, v9
	v_cmp_nlt_f32_e64 s[2:3], |v10|, 1.0
	s_and_saveexec_b64 s[40:41], s[2:3]
	s_xor_b64 s[2:3], exec, s[40:41]
	s_cbranch_execz .LBB437_11
; %bb.10:                               ;   in Loop: Header=BB437_9 Depth=1
	v_fma_f32 v11, |v10|, s28, v5
	v_fma_f32 v11, |v10|, v11, s29
	;; [unrolled: 1-line block ×6, first 2 shown]
	v_fma_f32 v11, |v10|, v11, |v10|
	v_mul_f32_e32 v12, 0xbfb8aa3b, v11
	v_fma_f32 v13, v11, s35, -v12
	v_rndne_f32_e32 v14, v12
	v_fmac_f32_e32 v13, 0xb2a5705f, v11
	v_sub_f32_e32 v12, v12, v14
	v_add_f32_e32 v12, v12, v13
	v_cvt_i32_f32_e32 v13, v14
	v_exp_f32_e32 v12, v12
	v_cmp_nlt_f32_e32 vcc, s36, v11
	v_ldexp_f32 v12, v12, v13
	s_nop 0
	v_cndmask_b32_e32 v12, 0, v12, vcc
	v_cmp_ngt_f32_e32 vcc, s37, v11
	s_nop 1
	v_cndmask_b32_e32 v11, v6, v12, vcc
	v_sub_f32_e32 v11, 1.0, v11
.LBB437_11:                             ;   in Loop: Header=BB437_9 Depth=1
	s_andn2_saveexec_b64 s[2:3], s[2:3]
	s_cbranch_execz .LBB437_8
; %bb.12:                               ;   in Loop: Header=BB437_9 Depth=1
	v_mul_f32_e32 v11, v10, v10
	v_fmamk_f32 v12, v11, 0xba1345e1, v4
	v_fmaak_f32 v12, v11, v12, 0xbcdac9b8
	v_fmaak_f32 v12, v11, v12, 0x3de703be
	;; [unrolled: 1-line block ×4, first 2 shown]
	v_fma_f32 v11, |v10|, v11, |v10|
	s_branch .LBB437_8
.LBB437_13:
	s_endpgm
	.section	.rodata,"a",@progbits
	.p2align	6, 0x0
	.amdhsa_kernel _ZN5aiter23act_and_mul_bias_kernelIftifTnPFfRKT2_EXadL_ZNS_11gelu_kernelIfEEfRKT_EELi1EEEvPT0_PS8_PKT1_PS2_il
		.amdhsa_group_segment_fixed_size 0
		.amdhsa_private_segment_fixed_size 0
		.amdhsa_kernarg_size 304
		.amdhsa_user_sgpr_count 2
		.amdhsa_user_sgpr_dispatch_ptr 0
		.amdhsa_user_sgpr_queue_ptr 0
		.amdhsa_user_sgpr_kernarg_segment_ptr 1
		.amdhsa_user_sgpr_dispatch_id 0
		.amdhsa_user_sgpr_kernarg_preload_length 0
		.amdhsa_user_sgpr_kernarg_preload_offset 0
		.amdhsa_user_sgpr_private_segment_size 0
		.amdhsa_uses_dynamic_stack 0
		.amdhsa_enable_private_segment 0
		.amdhsa_system_sgpr_workgroup_id_x 1
		.amdhsa_system_sgpr_workgroup_id_y 0
		.amdhsa_system_sgpr_workgroup_id_z 0
		.amdhsa_system_sgpr_workgroup_info 0
		.amdhsa_system_vgpr_workitem_id 0
		.amdhsa_next_free_vgpr 15
		.amdhsa_next_free_sgpr 42
		.amdhsa_accum_offset 16
		.amdhsa_reserve_vcc 1
		.amdhsa_float_round_mode_32 0
		.amdhsa_float_round_mode_16_64 0
		.amdhsa_float_denorm_mode_32 3
		.amdhsa_float_denorm_mode_16_64 3
		.amdhsa_dx10_clamp 1
		.amdhsa_ieee_mode 1
		.amdhsa_fp16_overflow 0
		.amdhsa_tg_split 0
		.amdhsa_exception_fp_ieee_invalid_op 0
		.amdhsa_exception_fp_denorm_src 0
		.amdhsa_exception_fp_ieee_div_zero 0
		.amdhsa_exception_fp_ieee_overflow 0
		.amdhsa_exception_fp_ieee_underflow 0
		.amdhsa_exception_fp_ieee_inexact 0
		.amdhsa_exception_int_div_zero 0
	.end_amdhsa_kernel
	.section	.text._ZN5aiter23act_and_mul_bias_kernelIftifTnPFfRKT2_EXadL_ZNS_11gelu_kernelIfEEfRKT_EELi1EEEvPT0_PS8_PKT1_PS2_il,"axG",@progbits,_ZN5aiter23act_and_mul_bias_kernelIftifTnPFfRKT2_EXadL_ZNS_11gelu_kernelIfEEfRKT_EELi1EEEvPT0_PS8_PKT1_PS2_il,comdat
.Lfunc_end437:
	.size	_ZN5aiter23act_and_mul_bias_kernelIftifTnPFfRKT2_EXadL_ZNS_11gelu_kernelIfEEfRKT_EELi1EEEvPT0_PS8_PKT1_PS2_il, .Lfunc_end437-_ZN5aiter23act_and_mul_bias_kernelIftifTnPFfRKT2_EXadL_ZNS_11gelu_kernelIfEEfRKT_EELi1EEEvPT0_PS8_PKT1_PS2_il
                                        ; -- End function
	.section	.AMDGPU.csdata,"",@progbits
; Kernel info:
; codeLenInByte = 956
; NumSgprs: 48
; NumVgprs: 15
; NumAgprs: 0
; TotalNumVgprs: 15
; ScratchSize: 0
; MemoryBound: 0
; FloatMode: 240
; IeeeMode: 1
; LDSByteSize: 0 bytes/workgroup (compile time only)
; SGPRBlocks: 5
; VGPRBlocks: 1
; NumSGPRsForWavesPerEU: 48
; NumVGPRsForWavesPerEU: 15
; AccumOffset: 16
; Occupancy: 8
; WaveLimiterHint : 0
; COMPUTE_PGM_RSRC2:SCRATCH_EN: 0
; COMPUTE_PGM_RSRC2:USER_SGPR: 2
; COMPUTE_PGM_RSRC2:TRAP_HANDLER: 0
; COMPUTE_PGM_RSRC2:TGID_X_EN: 1
; COMPUTE_PGM_RSRC2:TGID_Y_EN: 0
; COMPUTE_PGM_RSRC2:TGID_Z_EN: 0
; COMPUTE_PGM_RSRC2:TIDIG_COMP_CNT: 0
; COMPUTE_PGM_RSRC3_GFX90A:ACCUM_OFFSET: 3
; COMPUTE_PGM_RSRC3_GFX90A:TG_SPLIT: 0
	.section	.text._ZN5aiter23act_and_mul_bias_kernelIfDF16_ifTnPFfRKT2_EXadL_ZNS_11gelu_kernelIfEEfRKT_EELi16EEEvPT0_PS8_PKT1_PS2_il,"axG",@progbits,_ZN5aiter23act_and_mul_bias_kernelIfDF16_ifTnPFfRKT2_EXadL_ZNS_11gelu_kernelIfEEfRKT_EELi16EEEvPT0_PS8_PKT1_PS2_il,comdat
	.protected	_ZN5aiter23act_and_mul_bias_kernelIfDF16_ifTnPFfRKT2_EXadL_ZNS_11gelu_kernelIfEEfRKT_EELi16EEEvPT0_PS8_PKT1_PS2_il ; -- Begin function _ZN5aiter23act_and_mul_bias_kernelIfDF16_ifTnPFfRKT2_EXadL_ZNS_11gelu_kernelIfEEfRKT_EELi16EEEvPT0_PS8_PKT1_PS2_il
	.globl	_ZN5aiter23act_and_mul_bias_kernelIfDF16_ifTnPFfRKT2_EXadL_ZNS_11gelu_kernelIfEEfRKT_EELi16EEEvPT0_PS8_PKT1_PS2_il
	.p2align	8
	.type	_ZN5aiter23act_and_mul_bias_kernelIfDF16_ifTnPFfRKT2_EXadL_ZNS_11gelu_kernelIfEEfRKT_EELi16EEEvPT0_PS8_PKT1_PS2_il,@function
_ZN5aiter23act_and_mul_bias_kernelIfDF16_ifTnPFfRKT2_EXadL_ZNS_11gelu_kernelIfEEfRKT_EELi16EEEvPT0_PS8_PKT1_PS2_il: ; @_ZN5aiter23act_and_mul_bias_kernelIfDF16_ifTnPFfRKT2_EXadL_ZNS_11gelu_kernelIfEEfRKT_EELi16EEEvPT0_PS8_PKT1_PS2_il
; %bb.0:
	s_load_dwordx2 s[4:5], s[0:1], 0x10
	s_load_dword s24, s[0:1], 0x20
	s_load_dwordx2 s[12:13], s[0:1], 0x28
	s_mov_b32 s3, 0
	s_lshl_b64 s[6:7], s[2:3], 2
	s_waitcnt lgkmcnt(0)
	s_add_u32 s4, s4, s6
	s_addc_u32 s5, s5, s7
	s_load_dword s8, s[4:5], 0x0
	s_load_dwordx2 s[6:7], s[0:1], 0x0
	s_ashr_i32 s25, s24, 31
	s_mul_hi_u32 s3, s24, s2
	s_mul_i32 s4, s25, s2
	s_add_i32 s5, s3, s4
	s_mul_i32 s4, s24, s2
	s_waitcnt lgkmcnt(0)
	s_ashr_i32 s9, s8, 31
	s_lshl_b64 s[4:5], s[4:5], 1
	s_add_u32 s4, s6, s4
	s_addc_u32 s3, s7, s5
	s_add_i32 s5, s24, 1
	s_lshr_b32 s6, s5, 31
	v_mov_b64_e32 v[2:3], s[12:13]
	v_cmp_gt_i64_e64 s[14:15], s[8:9], -1
	s_add_i32 s5, s5, s6
	v_cmp_lt_i64_e32 vcc, s[8:9], v[2:3]
	s_lshl_b32 s5, s5, 1
	s_and_b64 s[12:13], s[14:15], vcc
	s_mov_b64 s[10:11], -1
	s_and_b32 s6, s5, -4
	s_and_b32 s5, s3, 0xffff
	s_and_b64 vcc, exec, s[12:13]
	v_lshlrev_b32_e32 v64, 4, v0
	s_cbranch_vccnz .LBB438_5
; %bb.1:
	v_cmp_gt_i32_e32 vcc, s24, v64
	s_and_saveexec_b64 s[10:11], vcc
	s_cbranch_execz .LBB438_4
; %bb.2:
	s_load_dword s3, s[0:1], 0x3c
	s_mov_b32 s13, 0
	s_mov_b32 s16, s13
	;; [unrolled: 1-line block ×3, first 2 shown]
	v_mov_b32_e32 v65, 0
	v_lshlrev_b32_e32 v6, 5, v0
	s_waitcnt lgkmcnt(0)
	s_and_b32 s3, s3, 0xffff
	s_mov_b32 s18, s13
	s_mov_b32 s19, s13
	v_mov_b64_e32 v[0:1], s[16:17]
	s_lshl_b32 s12, s3, 4
	s_lshl_b32 s3, s3, 5
	s_mov_b64 s[14:15], 0
	s_mov_b32 s7, 0x20000
	v_mov_b64_e32 v[2:3], s[18:19]
	v_mov_b64_e32 v[4:5], v[64:65]
.LBB438_3:                              ; =>This Inner Loop Header: Depth=1
	v_lshl_add_u64 v[4:5], s[12:13], 0, v[4:5]
	v_cmp_le_i64_e32 vcc, s[24:25], v[4:5]
	buffer_store_dwordx4 v[0:3], v6, s[4:7], 0 offen
	buffer_store_dwordx4 v[0:3], v6, s[4:7], 16 offen
	s_or_b64 s[14:15], vcc, s[14:15]
	v_add_u32_e32 v6, s3, v6
	s_andn2_b64 exec, exec, s[14:15]
	s_cbranch_execnz .LBB438_3
.LBB438_4:
	s_or_b64 exec, exec, s[10:11]
	s_mov_b64 s[10:11], 0
.LBB438_5:
	s_andn2_b64 vcc, exec, s[10:11]
	s_cbranch_vccnz .LBB438_73
; %bb.6:
	v_cmp_gt_i32_e32 vcc, s24, v64
	s_and_saveexec_b64 s[10:11], vcc
	s_cbranch_execz .LBB438_73
; %bb.7:
	s_load_dwordx2 s[14:15], s[0:1], 0x8
	s_load_dwordx2 s[12:13], s[0:1], 0x18
	s_mul_hi_i32 s9, s24, s8
	s_mul_i32 s8, s24, s8
	s_lshl_b32 s10, s24, 2
	s_lshl_b64 s[8:9], s[8:9], 3
	s_waitcnt lgkmcnt(0)
	s_add_u32 s8, s12, s8
	s_addc_u32 s3, s13, s9
	s_lshl_b64 s[18:19], s[24:25], 2
	s_add_u32 s12, s8, s18
	s_addc_u32 s13, s3, s19
	s_and_b32 s9, s3, 0xffff
	s_mul_i32 s3, s2, s25
	s_mul_hi_u32 s16, s2, s24
	s_add_i32 s3, s16, s3
	s_mul_i32 s2, s2, s24
	s_and_b32 s13, s13, 0xffff
	s_lshl_b64 s[2:3], s[2:3], 3
	s_add_u32 s16, s14, s2
	s_addc_u32 s2, s15, s3
	s_add_u32 s20, s16, s18
	s_addc_u32 s3, s2, s19
	s_and_b32 s17, s2, 0xffff
	s_and_b32 s21, s3, 0xffff
	s_mov_b32 s7, 0x20000
	s_add_u32 s0, s0, 48
	s_mov_b32 s11, s7
	v_mov_b32_e32 v65, 0
	s_addc_u32 s1, s1, 0
	s_mov_b64 s[2:3], 0
	s_mov_b32 s18, s10
	s_mov_b32 s19, s7
	;; [unrolled: 1-line block ×12, first 2 shown]
	v_mov_b32_e32 v66, 0x3ba10414
	s_brev_b32 s38, -2
	s_mov_b32 s22, s10
	s_mov_b32 s23, s7
	v_mov_b32_e32 v67, 0xb9c68948
	v_mov_b32_e32 v68, 0x7f800000
                                        ; implicit-def: $vgpr0
                                        ; implicit-def: $vgpr0
	;; [unrolled: 1-line block ×4, first 2 shown]
	s_branch .LBB438_9
.LBB438_8:                              ;   in Loop: Header=BB438_9 Depth=1
	s_or_b64 exec, exec, s[14:15]
	v_bfi_b32 v5, s38, v8, v5
	v_cvt_f16_f32_e32 v15, v1
	v_bfi_b32 v1, s38, v11, v10
	v_mul_f32_e32 v4, 0.5, v4
	v_add_f32_e32 v5, 1.0, v5
	v_cvt_f16_f32_e32 v14, v0
	v_mul_f32_e32 v0, 0.5, v9
	v_add_f32_e32 v1, 1.0, v1
	v_mul_f32_e32 v4, v4, v5
	v_add_f32_e32 v3, v3, v7
	v_add_f32_e32 v2, v2, v6
	v_mul_f32_e32 v5, v0, v1
	;;#ASMSTART
	v_pk_mul_f32 v[0:1], v[4:5], v[2:3]
	;;#ASMEND
	s_load_dword s14, s[0:1], 0xc
	v_cvt_f16_f32_e32 v7, v16
	v_cvt_f16_f32_e32 v6, v48
	;; [unrolled: 1-line block ×14, first 2 shown]
	s_waitcnt lgkmcnt(0)
	s_and_b32 s14, s14, 0xffff
	s_lshl_b32 s26, s14, 4
	v_pack_b32_f16 v0, v6, v16
	v_lshlrev_b32_e32 v6, 1, v64
	v_lshl_add_u64 v[64:65], s[26:27], 0, v[64:65]
	v_pack_b32_f16 v3, v21, v22
	v_pack_b32_f16 v2, v19, v20
	;; [unrolled: 1-line block ×3, first 2 shown]
	v_cmp_le_i64_e32 vcc, s[24:25], v[64:65]
	buffer_store_dwordx4 v[0:3], v6, s[4:7], 0 offen
	s_or_b64 s[2:3], vcc, s[2:3]
	s_nop 0
	v_pack_b32_f16 v3, v4, v5
	v_pack_b32_f16 v2, v14, v15
	;; [unrolled: 1-line block ×4, first 2 shown]
	buffer_store_dwordx4 v[0:3], v6, s[4:7], 16 offen
	s_andn2_b64 exec, exec, s[2:3]
	s_cbranch_execz .LBB438_73
.LBB438_9:                              ; =>This Inner Loop Header: Depth=1
	v_lshlrev_b32_e32 v4, 2, v64
	s_mov_b32 s14, s10
	s_mov_b32 s15, s11
	buffer_load_dwordx4 v[56:59], v4, s[16:19], 0 offen
	buffer_load_dwordx4 v[40:43], v4, s[16:19], 16 offen
	;; [unrolled: 1-line block ×15, first 2 shown]
	s_nop 0
	buffer_load_dwordx4 v[4:7], v4, s[12:15], 48 offen
                                        ; implicit-def: $vgpr69
	s_waitcnt vmcnt(7)
	v_add_f32_e32 v56, v56, v60
	v_mul_f32_e32 v60, 0x3f3504f3, v56
	v_cmp_nlt_f32_e64 s[14:15], |v60|, 1.0
	s_and_saveexec_b64 s[40:41], s[14:15]
	s_xor_b64 s[14:15], exec, s[40:41]
	s_cbranch_execz .LBB438_11
; %bb.10:                               ;   in Loop: Header=BB438_9 Depth=1
	v_fma_f32 v69, |v60|, s28, v67
	v_fma_f32 v69, |v60|, v69, s29
	;; [unrolled: 1-line block ×6, first 2 shown]
	v_fma_f32 v69, |v60|, v69, |v60|
	v_mul_f32_e32 v70, 0xbfb8aa3b, v69
	v_fma_f32 v71, v69, s35, -v70
	v_rndne_f32_e32 v72, v70
	v_fmac_f32_e32 v71, 0xb2a5705f, v69
	v_sub_f32_e32 v70, v70, v72
	v_add_f32_e32 v70, v70, v71
	v_cvt_i32_f32_e32 v71, v72
	v_exp_f32_e32 v70, v70
	v_cmp_nlt_f32_e32 vcc, s36, v69
	v_ldexp_f32 v70, v70, v71
	s_nop 0
	v_cndmask_b32_e32 v70, 0, v70, vcc
	v_cmp_ngt_f32_e32 vcc, s37, v69
	s_nop 1
	v_cndmask_b32_e32 v69, v68, v70, vcc
	v_sub_f32_e32 v69, 1.0, v69
.LBB438_11:                             ;   in Loop: Header=BB438_9 Depth=1
	s_andn2_saveexec_b64 s[14:15], s[14:15]
; %bb.12:                               ;   in Loop: Header=BB438_9 Depth=1
	v_mul_f32_e32 v69, v60, v60
	v_fmamk_f32 v70, v69, 0xba1345e1, v66
	v_fmaak_f32 v70, v69, v70, 0xbcdac9b8
	v_fmaak_f32 v70, v69, v70, 0x3de703be
	;; [unrolled: 1-line block ×4, first 2 shown]
	v_fma_f32 v69, |v60|, v69, |v60|
; %bb.13:                               ;   in Loop: Header=BB438_9 Depth=1
	s_or_b64 exec, exec, s[14:15]
	v_add_f32_e32 v57, v57, v61
	v_mul_f32_e32 v61, 0x3f3504f3, v57
	v_cmp_nlt_f32_e64 s[14:15], |v61|, 1.0
                                        ; implicit-def: $vgpr70
	s_and_saveexec_b64 s[40:41], s[14:15]
	s_xor_b64 s[14:15], exec, s[40:41]
	s_cbranch_execz .LBB438_15
; %bb.14:                               ;   in Loop: Header=BB438_9 Depth=1
	v_fma_f32 v70, |v61|, s28, v67
	v_fma_f32 v70, |v61|, v70, s29
	;; [unrolled: 1-line block ×6, first 2 shown]
	v_fma_f32 v70, |v61|, v70, |v61|
	v_mul_f32_e32 v71, 0xbfb8aa3b, v70
	v_fma_f32 v72, v70, s35, -v71
	v_rndne_f32_e32 v73, v71
	v_fmac_f32_e32 v72, 0xb2a5705f, v70
	v_sub_f32_e32 v71, v71, v73
	v_add_f32_e32 v71, v71, v72
	v_cvt_i32_f32_e32 v72, v73
	v_exp_f32_e32 v71, v71
	v_cmp_nlt_f32_e32 vcc, s36, v70
	v_ldexp_f32 v71, v71, v72
	s_nop 0
	v_cndmask_b32_e32 v71, 0, v71, vcc
	v_cmp_ngt_f32_e32 vcc, s37, v70
	s_nop 1
	v_cndmask_b32_e32 v70, v68, v71, vcc
	v_sub_f32_e32 v70, 1.0, v70
.LBB438_15:                             ;   in Loop: Header=BB438_9 Depth=1
	s_andn2_saveexec_b64 s[14:15], s[14:15]
; %bb.16:                               ;   in Loop: Header=BB438_9 Depth=1
	v_mul_f32_e32 v70, v61, v61
	v_fmamk_f32 v71, v70, 0xba1345e1, v66
	v_fmaak_f32 v71, v70, v71, 0xbcdac9b8
	v_fmaak_f32 v71, v70, v71, 0x3de703be
	;; [unrolled: 1-line block ×4, first 2 shown]
	v_fma_f32 v70, |v61|, v70, |v61|
; %bb.17:                               ;   in Loop: Header=BB438_9 Depth=1
	s_or_b64 exec, exec, s[14:15]
	s_waitcnt vmcnt(3)
	v_add_f32_e32 v49, v49, v53
	v_bfi_b32 v53, s38, v70, v61
	v_add_f32_e32 v48, v48, v52
	v_mul_f32_e32 v52, 0.5, v57
	v_add_f32_e32 v53, 1.0, v53
	v_bfi_b32 v60, s38, v69, v60
	v_mul_f32_e32 v57, v52, v53
	v_add_f32_e32 v52, v58, v62
	v_mul_f32_e32 v56, 0.5, v56
	v_add_f32_e32 v60, 1.0, v60
	v_mul_f32_e32 v53, 0x3f3504f3, v52
	v_mul_f32_e32 v56, v56, v60
	v_cmp_nlt_f32_e64 s[14:15], |v53|, 1.0
	;;#ASMSTART
	v_pk_mul_f32 v[48:49], v[56:57], v[48:49]
	;;#ASMEND
                                        ; implicit-def: $vgpr56
	s_and_saveexec_b64 s[40:41], s[14:15]
	s_xor_b64 s[14:15], exec, s[40:41]
	s_cbranch_execz .LBB438_19
; %bb.18:                               ;   in Loop: Header=BB438_9 Depth=1
	v_fma_f32 v56, |v53|, s28, v67
	v_fma_f32 v56, |v53|, v56, s29
	;; [unrolled: 1-line block ×6, first 2 shown]
	v_fma_f32 v56, |v53|, v56, |v53|
	v_mul_f32_e32 v57, 0xbfb8aa3b, v56
	v_fma_f32 v58, v56, s35, -v57
	v_rndne_f32_e32 v60, v57
	v_fmac_f32_e32 v58, 0xb2a5705f, v56
	v_sub_f32_e32 v57, v57, v60
	v_add_f32_e32 v57, v57, v58
	v_cvt_i32_f32_e32 v58, v60
	v_exp_f32_e32 v57, v57
	v_cmp_nlt_f32_e32 vcc, s36, v56
	v_ldexp_f32 v57, v57, v58
	s_nop 0
	v_cndmask_b32_e32 v57, 0, v57, vcc
	v_cmp_ngt_f32_e32 vcc, s37, v56
	s_nop 1
	v_cndmask_b32_e32 v56, v68, v57, vcc
	v_sub_f32_e32 v56, 1.0, v56
.LBB438_19:                             ;   in Loop: Header=BB438_9 Depth=1
	s_andn2_saveexec_b64 s[14:15], s[14:15]
; %bb.20:                               ;   in Loop: Header=BB438_9 Depth=1
	v_mul_f32_e32 v56, v53, v53
	v_fmamk_f32 v57, v56, 0xba1345e1, v66
	v_fmaak_f32 v57, v56, v57, 0xbcdac9b8
	v_fmaak_f32 v57, v56, v57, 0x3de703be
	v_fmaak_f32 v57, v56, v57, 0xbec09330
	v_fmaak_f32 v56, v56, v57, 0x3e0375d0
	v_fma_f32 v56, |v53|, v56, |v53|
; %bb.21:                               ;   in Loop: Header=BB438_9 Depth=1
	s_or_b64 exec, exec, s[14:15]
	v_add_f32_e32 v57, v59, v63
	v_mul_f32_e32 v58, 0x3f3504f3, v57
	v_cmp_nlt_f32_e64 s[14:15], |v58|, 1.0
                                        ; implicit-def: $vgpr59
	s_and_saveexec_b64 s[40:41], s[14:15]
	s_xor_b64 s[14:15], exec, s[40:41]
	s_cbranch_execz .LBB438_23
; %bb.22:                               ;   in Loop: Header=BB438_9 Depth=1
	v_fma_f32 v59, |v58|, s28, v67
	v_fma_f32 v59, |v58|, v59, s29
	;; [unrolled: 1-line block ×6, first 2 shown]
	v_fma_f32 v59, |v58|, v59, |v58|
	v_mul_f32_e32 v60, 0xbfb8aa3b, v59
	v_fma_f32 v61, v59, s35, -v60
	v_rndne_f32_e32 v62, v60
	v_fmac_f32_e32 v61, 0xb2a5705f, v59
	v_sub_f32_e32 v60, v60, v62
	v_add_f32_e32 v60, v60, v61
	v_cvt_i32_f32_e32 v61, v62
	v_exp_f32_e32 v60, v60
	v_cmp_nlt_f32_e32 vcc, s36, v59
	v_ldexp_f32 v60, v60, v61
	s_nop 0
	v_cndmask_b32_e32 v60, 0, v60, vcc
	v_cmp_ngt_f32_e32 vcc, s37, v59
	s_nop 1
	v_cndmask_b32_e32 v59, v68, v60, vcc
	v_sub_f32_e32 v59, 1.0, v59
.LBB438_23:                             ;   in Loop: Header=BB438_9 Depth=1
	s_andn2_saveexec_b64 s[14:15], s[14:15]
; %bb.24:                               ;   in Loop: Header=BB438_9 Depth=1
	v_mul_f32_e32 v59, v58, v58
	v_fmamk_f32 v60, v59, 0xba1345e1, v66
	v_fmaak_f32 v60, v59, v60, 0xbcdac9b8
	v_fmaak_f32 v60, v59, v60, 0x3de703be
	;; [unrolled: 1-line block ×4, first 2 shown]
	v_fma_f32 v59, |v58|, v59, |v58|
; %bb.25:                               ;   in Loop: Header=BB438_9 Depth=1
	s_or_b64 exec, exec, s[14:15]
	v_bfi_b32 v53, s38, v56, v53
	v_add_f32_e32 v40, v40, v44
	v_mul_f32_e32 v52, 0.5, v52
	v_add_f32_e32 v53, 1.0, v53
	v_add_f32_e32 v50, v50, v54
	v_bfi_b32 v54, s38, v59, v58
	v_mul_f32_e32 v44, 0x3f3504f3, v40
	v_mul_f32_e32 v52, v52, v53
	v_add_f32_e32 v51, v51, v55
	v_mul_f32_e32 v53, 0.5, v57
	v_add_f32_e32 v54, 1.0, v54
	v_cmp_nlt_f32_e64 s[14:15], |v44|, 1.0
	v_mul_f32_e32 v53, v53, v54
	;;#ASMSTART
	v_pk_mul_f32 v[50:51], v[52:53], v[50:51]
	;;#ASMEND
                                        ; implicit-def: $vgpr52
	s_and_saveexec_b64 s[40:41], s[14:15]
	s_xor_b64 s[14:15], exec, s[40:41]
	s_cbranch_execz .LBB438_27
; %bb.26:                               ;   in Loop: Header=BB438_9 Depth=1
	v_fma_f32 v52, |v44|, s28, v67
	v_fma_f32 v52, |v44|, v52, s29
	;; [unrolled: 1-line block ×6, first 2 shown]
	v_fma_f32 v52, |v44|, v52, |v44|
	v_mul_f32_e32 v53, 0xbfb8aa3b, v52
	v_fma_f32 v54, v52, s35, -v53
	v_rndne_f32_e32 v55, v53
	v_fmac_f32_e32 v54, 0xb2a5705f, v52
	v_sub_f32_e32 v53, v53, v55
	v_add_f32_e32 v53, v53, v54
	v_cvt_i32_f32_e32 v54, v55
	v_exp_f32_e32 v53, v53
	v_cmp_nlt_f32_e32 vcc, s36, v52
	v_ldexp_f32 v53, v53, v54
	s_nop 0
	v_cndmask_b32_e32 v53, 0, v53, vcc
	v_cmp_ngt_f32_e32 vcc, s37, v52
	s_nop 1
	v_cndmask_b32_e32 v52, v68, v53, vcc
	v_sub_f32_e32 v52, 1.0, v52
.LBB438_27:                             ;   in Loop: Header=BB438_9 Depth=1
	s_andn2_saveexec_b64 s[14:15], s[14:15]
; %bb.28:                               ;   in Loop: Header=BB438_9 Depth=1
	v_mul_f32_e32 v52, v44, v44
	v_fmamk_f32 v53, v52, 0xba1345e1, v66
	v_fmaak_f32 v53, v52, v53, 0xbcdac9b8
	v_fmaak_f32 v53, v52, v53, 0x3de703be
	;; [unrolled: 1-line block ×4, first 2 shown]
	v_fma_f32 v52, |v44|, v52, |v44|
; %bb.29:                               ;   in Loop: Header=BB438_9 Depth=1
	s_or_b64 exec, exec, s[14:15]
	v_add_f32_e32 v41, v41, v45
	v_mul_f32_e32 v45, 0x3f3504f3, v41
	v_cmp_nlt_f32_e64 s[14:15], |v45|, 1.0
                                        ; implicit-def: $vgpr53
	s_and_saveexec_b64 s[40:41], s[14:15]
	s_xor_b64 s[14:15], exec, s[40:41]
	s_cbranch_execz .LBB438_31
; %bb.30:                               ;   in Loop: Header=BB438_9 Depth=1
	v_fma_f32 v53, |v45|, s28, v67
	v_fma_f32 v53, |v45|, v53, s29
	;; [unrolled: 1-line block ×6, first 2 shown]
	v_fma_f32 v53, |v45|, v53, |v45|
	v_mul_f32_e32 v54, 0xbfb8aa3b, v53
	v_fma_f32 v55, v53, s35, -v54
	v_rndne_f32_e32 v56, v54
	v_fmac_f32_e32 v55, 0xb2a5705f, v53
	v_sub_f32_e32 v54, v54, v56
	v_add_f32_e32 v54, v54, v55
	v_cvt_i32_f32_e32 v55, v56
	v_exp_f32_e32 v54, v54
	v_cmp_nlt_f32_e32 vcc, s36, v53
	v_ldexp_f32 v54, v54, v55
	s_nop 0
	v_cndmask_b32_e32 v54, 0, v54, vcc
	v_cmp_ngt_f32_e32 vcc, s37, v53
	s_nop 1
	v_cndmask_b32_e32 v53, v68, v54, vcc
	v_sub_f32_e32 v53, 1.0, v53
.LBB438_31:                             ;   in Loop: Header=BB438_9 Depth=1
	s_andn2_saveexec_b64 s[14:15], s[14:15]
; %bb.32:                               ;   in Loop: Header=BB438_9 Depth=1
	v_mul_f32_e32 v53, v45, v45
	v_fmamk_f32 v54, v53, 0xba1345e1, v66
	v_fmaak_f32 v54, v53, v54, 0xbcdac9b8
	v_fmaak_f32 v54, v53, v54, 0x3de703be
	v_fmaak_f32 v54, v53, v54, 0xbec09330
	v_fmaak_f32 v53, v53, v54, 0x3e0375d0
	v_fma_f32 v53, |v45|, v53, |v45|
; %bb.33:                               ;   in Loop: Header=BB438_9 Depth=1
	s_or_b64 exec, exec, s[14:15]
	s_waitcnt vmcnt(2)
	v_add_f32_e32 v33, v33, v37
	v_bfi_b32 v37, s38, v53, v45
	v_add_f32_e32 v32, v32, v36
	v_mul_f32_e32 v36, 0.5, v41
	v_add_f32_e32 v37, 1.0, v37
	v_bfi_b32 v44, s38, v52, v44
	v_mul_f32_e32 v41, v36, v37
	v_add_f32_e32 v36, v42, v46
	v_mul_f32_e32 v40, 0.5, v40
	v_add_f32_e32 v44, 1.0, v44
	v_mul_f32_e32 v37, 0x3f3504f3, v36
	v_mul_f32_e32 v40, v40, v44
	v_cmp_nlt_f32_e64 s[14:15], |v37|, 1.0
	;;#ASMSTART
	v_pk_mul_f32 v[32:33], v[40:41], v[32:33]
	;;#ASMEND
                                        ; implicit-def: $vgpr40
	s_and_saveexec_b64 s[40:41], s[14:15]
	s_xor_b64 s[14:15], exec, s[40:41]
	s_cbranch_execz .LBB438_35
; %bb.34:                               ;   in Loop: Header=BB438_9 Depth=1
	v_fma_f32 v40, |v37|, s28, v67
	v_fma_f32 v40, |v37|, v40, s29
	;; [unrolled: 1-line block ×6, first 2 shown]
	v_fma_f32 v40, |v37|, v40, |v37|
	v_mul_f32_e32 v41, 0xbfb8aa3b, v40
	v_fma_f32 v42, v40, s35, -v41
	v_rndne_f32_e32 v44, v41
	v_fmac_f32_e32 v42, 0xb2a5705f, v40
	v_sub_f32_e32 v41, v41, v44
	v_add_f32_e32 v41, v41, v42
	v_cvt_i32_f32_e32 v42, v44
	v_exp_f32_e32 v41, v41
	v_cmp_nlt_f32_e32 vcc, s36, v40
	v_ldexp_f32 v41, v41, v42
	s_nop 0
	v_cndmask_b32_e32 v41, 0, v41, vcc
	v_cmp_ngt_f32_e32 vcc, s37, v40
	s_nop 1
	v_cndmask_b32_e32 v40, v68, v41, vcc
	v_sub_f32_e32 v40, 1.0, v40
.LBB438_35:                             ;   in Loop: Header=BB438_9 Depth=1
	s_andn2_saveexec_b64 s[14:15], s[14:15]
; %bb.36:                               ;   in Loop: Header=BB438_9 Depth=1
	v_mul_f32_e32 v40, v37, v37
	v_fmamk_f32 v41, v40, 0xba1345e1, v66
	v_fmaak_f32 v41, v40, v41, 0xbcdac9b8
	v_fmaak_f32 v41, v40, v41, 0x3de703be
	;; [unrolled: 1-line block ×4, first 2 shown]
	v_fma_f32 v40, |v37|, v40, |v37|
; %bb.37:                               ;   in Loop: Header=BB438_9 Depth=1
	s_or_b64 exec, exec, s[14:15]
	v_add_f32_e32 v41, v43, v47
	v_mul_f32_e32 v42, 0x3f3504f3, v41
	v_cmp_nlt_f32_e64 s[14:15], |v42|, 1.0
                                        ; implicit-def: $vgpr43
	s_and_saveexec_b64 s[40:41], s[14:15]
	s_xor_b64 s[14:15], exec, s[40:41]
	s_cbranch_execz .LBB438_39
; %bb.38:                               ;   in Loop: Header=BB438_9 Depth=1
	v_fma_f32 v43, |v42|, s28, v67
	v_fma_f32 v43, |v42|, v43, s29
	;; [unrolled: 1-line block ×6, first 2 shown]
	v_fma_f32 v43, |v42|, v43, |v42|
	v_mul_f32_e32 v44, 0xbfb8aa3b, v43
	v_fma_f32 v45, v43, s35, -v44
	v_rndne_f32_e32 v46, v44
	v_fmac_f32_e32 v45, 0xb2a5705f, v43
	v_sub_f32_e32 v44, v44, v46
	v_add_f32_e32 v44, v44, v45
	v_cvt_i32_f32_e32 v45, v46
	v_exp_f32_e32 v44, v44
	v_cmp_nlt_f32_e32 vcc, s36, v43
	v_ldexp_f32 v44, v44, v45
	s_nop 0
	v_cndmask_b32_e32 v44, 0, v44, vcc
	v_cmp_ngt_f32_e32 vcc, s37, v43
	s_nop 1
	v_cndmask_b32_e32 v43, v68, v44, vcc
	v_sub_f32_e32 v43, 1.0, v43
.LBB438_39:                             ;   in Loop: Header=BB438_9 Depth=1
	s_andn2_saveexec_b64 s[14:15], s[14:15]
; %bb.40:                               ;   in Loop: Header=BB438_9 Depth=1
	v_mul_f32_e32 v43, v42, v42
	v_fmamk_f32 v44, v43, 0xba1345e1, v66
	v_fmaak_f32 v44, v43, v44, 0xbcdac9b8
	v_fmaak_f32 v44, v43, v44, 0x3de703be
	;; [unrolled: 1-line block ×4, first 2 shown]
	v_fma_f32 v43, |v42|, v43, |v42|
; %bb.41:                               ;   in Loop: Header=BB438_9 Depth=1
	s_or_b64 exec, exec, s[14:15]
	v_bfi_b32 v37, s38, v40, v37
	v_add_f32_e32 v24, v24, v28
	v_mul_f32_e32 v36, 0.5, v36
	v_add_f32_e32 v37, 1.0, v37
	v_add_f32_e32 v34, v34, v38
	v_bfi_b32 v38, s38, v43, v42
	v_mul_f32_e32 v28, 0x3f3504f3, v24
	v_mul_f32_e32 v36, v36, v37
	v_add_f32_e32 v35, v35, v39
	v_mul_f32_e32 v37, 0.5, v41
	v_add_f32_e32 v38, 1.0, v38
	v_cmp_nlt_f32_e64 s[14:15], |v28|, 1.0
	v_mul_f32_e32 v37, v37, v38
	;;#ASMSTART
	v_pk_mul_f32 v[34:35], v[36:37], v[34:35]
	;;#ASMEND
                                        ; implicit-def: $vgpr36
	s_and_saveexec_b64 s[40:41], s[14:15]
	s_xor_b64 s[14:15], exec, s[40:41]
	s_cbranch_execz .LBB438_43
; %bb.42:                               ;   in Loop: Header=BB438_9 Depth=1
	v_fma_f32 v36, |v28|, s28, v67
	v_fma_f32 v36, |v28|, v36, s29
	;; [unrolled: 1-line block ×6, first 2 shown]
	v_fma_f32 v36, |v28|, v36, |v28|
	v_mul_f32_e32 v37, 0xbfb8aa3b, v36
	v_fma_f32 v38, v36, s35, -v37
	v_rndne_f32_e32 v39, v37
	v_fmac_f32_e32 v38, 0xb2a5705f, v36
	v_sub_f32_e32 v37, v37, v39
	v_add_f32_e32 v37, v37, v38
	v_cvt_i32_f32_e32 v38, v39
	v_exp_f32_e32 v37, v37
	v_cmp_nlt_f32_e32 vcc, s36, v36
	v_ldexp_f32 v37, v37, v38
	s_nop 0
	v_cndmask_b32_e32 v37, 0, v37, vcc
	v_cmp_ngt_f32_e32 vcc, s37, v36
	s_nop 1
	v_cndmask_b32_e32 v36, v68, v37, vcc
	v_sub_f32_e32 v36, 1.0, v36
.LBB438_43:                             ;   in Loop: Header=BB438_9 Depth=1
	s_andn2_saveexec_b64 s[14:15], s[14:15]
; %bb.44:                               ;   in Loop: Header=BB438_9 Depth=1
	v_mul_f32_e32 v36, v28, v28
	v_fmamk_f32 v37, v36, 0xba1345e1, v66
	v_fmaak_f32 v37, v36, v37, 0xbcdac9b8
	v_fmaak_f32 v37, v36, v37, 0x3de703be
	;; [unrolled: 1-line block ×4, first 2 shown]
	v_fma_f32 v36, |v28|, v36, |v28|
; %bb.45:                               ;   in Loop: Header=BB438_9 Depth=1
	s_or_b64 exec, exec, s[14:15]
	v_add_f32_e32 v25, v25, v29
	v_mul_f32_e32 v29, 0x3f3504f3, v25
	v_cmp_nlt_f32_e64 s[14:15], |v29|, 1.0
                                        ; implicit-def: $vgpr37
	s_and_saveexec_b64 s[40:41], s[14:15]
	s_xor_b64 s[14:15], exec, s[40:41]
	s_cbranch_execz .LBB438_47
; %bb.46:                               ;   in Loop: Header=BB438_9 Depth=1
	v_fma_f32 v37, |v29|, s28, v67
	v_fma_f32 v37, |v29|, v37, s29
	;; [unrolled: 1-line block ×6, first 2 shown]
	v_fma_f32 v37, |v29|, v37, |v29|
	v_mul_f32_e32 v38, 0xbfb8aa3b, v37
	v_fma_f32 v39, v37, s35, -v38
	v_rndne_f32_e32 v40, v38
	v_fmac_f32_e32 v39, 0xb2a5705f, v37
	v_sub_f32_e32 v38, v38, v40
	v_add_f32_e32 v38, v38, v39
	v_cvt_i32_f32_e32 v39, v40
	v_exp_f32_e32 v38, v38
	v_cmp_nlt_f32_e32 vcc, s36, v37
	v_ldexp_f32 v38, v38, v39
	s_nop 0
	v_cndmask_b32_e32 v38, 0, v38, vcc
	v_cmp_ngt_f32_e32 vcc, s37, v37
	s_nop 1
	v_cndmask_b32_e32 v37, v68, v38, vcc
	v_sub_f32_e32 v37, 1.0, v37
.LBB438_47:                             ;   in Loop: Header=BB438_9 Depth=1
	s_andn2_saveexec_b64 s[14:15], s[14:15]
; %bb.48:                               ;   in Loop: Header=BB438_9 Depth=1
	v_mul_f32_e32 v37, v29, v29
	v_fmamk_f32 v38, v37, 0xba1345e1, v66
	v_fmaak_f32 v38, v37, v38, 0xbcdac9b8
	v_fmaak_f32 v38, v37, v38, 0x3de703be
	;; [unrolled: 1-line block ×4, first 2 shown]
	v_fma_f32 v37, |v29|, v37, |v29|
; %bb.49:                               ;   in Loop: Header=BB438_9 Depth=1
	s_or_b64 exec, exec, s[14:15]
	s_waitcnt vmcnt(1)
	v_add_f32_e32 v17, v17, v21
	v_bfi_b32 v21, s38, v37, v29
	v_add_f32_e32 v16, v16, v20
	v_mul_f32_e32 v20, 0.5, v25
	v_add_f32_e32 v21, 1.0, v21
	v_bfi_b32 v28, s38, v36, v28
	v_mul_f32_e32 v25, v20, v21
	v_add_f32_e32 v20, v26, v30
	v_mul_f32_e32 v24, 0.5, v24
	v_add_f32_e32 v28, 1.0, v28
	v_mul_f32_e32 v21, 0x3f3504f3, v20
	v_mul_f32_e32 v24, v24, v28
	v_cmp_nlt_f32_e64 s[14:15], |v21|, 1.0
	;;#ASMSTART
	v_pk_mul_f32 v[16:17], v[24:25], v[16:17]
	;;#ASMEND
                                        ; implicit-def: $vgpr24
	s_and_saveexec_b64 s[40:41], s[14:15]
	s_xor_b64 s[14:15], exec, s[40:41]
	s_cbranch_execz .LBB438_51
; %bb.50:                               ;   in Loop: Header=BB438_9 Depth=1
	v_fma_f32 v24, |v21|, s28, v67
	v_fma_f32 v24, |v21|, v24, s29
	;; [unrolled: 1-line block ×6, first 2 shown]
	v_fma_f32 v24, |v21|, v24, |v21|
	v_mul_f32_e32 v25, 0xbfb8aa3b, v24
	v_fma_f32 v26, v24, s35, -v25
	v_rndne_f32_e32 v28, v25
	v_fmac_f32_e32 v26, 0xb2a5705f, v24
	v_sub_f32_e32 v25, v25, v28
	v_add_f32_e32 v25, v25, v26
	v_cvt_i32_f32_e32 v26, v28
	v_exp_f32_e32 v25, v25
	v_cmp_nlt_f32_e32 vcc, s36, v24
	v_ldexp_f32 v25, v25, v26
	s_nop 0
	v_cndmask_b32_e32 v25, 0, v25, vcc
	v_cmp_ngt_f32_e32 vcc, s37, v24
	s_nop 1
	v_cndmask_b32_e32 v24, v68, v25, vcc
	v_sub_f32_e32 v24, 1.0, v24
.LBB438_51:                             ;   in Loop: Header=BB438_9 Depth=1
	s_andn2_saveexec_b64 s[14:15], s[14:15]
; %bb.52:                               ;   in Loop: Header=BB438_9 Depth=1
	v_mul_f32_e32 v24, v21, v21
	v_fmamk_f32 v25, v24, 0xba1345e1, v66
	v_fmaak_f32 v25, v24, v25, 0xbcdac9b8
	v_fmaak_f32 v25, v24, v25, 0x3de703be
	;; [unrolled: 1-line block ×4, first 2 shown]
	v_fma_f32 v24, |v21|, v24, |v21|
; %bb.53:                               ;   in Loop: Header=BB438_9 Depth=1
	s_or_b64 exec, exec, s[14:15]
	v_add_f32_e32 v25, v27, v31
	v_mul_f32_e32 v26, 0x3f3504f3, v25
	v_cmp_nlt_f32_e64 s[14:15], |v26|, 1.0
                                        ; implicit-def: $vgpr27
	s_and_saveexec_b64 s[40:41], s[14:15]
	s_xor_b64 s[14:15], exec, s[40:41]
	s_cbranch_execz .LBB438_55
; %bb.54:                               ;   in Loop: Header=BB438_9 Depth=1
	v_fma_f32 v27, |v26|, s28, v67
	v_fma_f32 v27, |v26|, v27, s29
	;; [unrolled: 1-line block ×6, first 2 shown]
	v_fma_f32 v27, |v26|, v27, |v26|
	v_mul_f32_e32 v28, 0xbfb8aa3b, v27
	v_fma_f32 v29, v27, s35, -v28
	v_rndne_f32_e32 v30, v28
	v_fmac_f32_e32 v29, 0xb2a5705f, v27
	v_sub_f32_e32 v28, v28, v30
	v_add_f32_e32 v28, v28, v29
	v_cvt_i32_f32_e32 v29, v30
	v_exp_f32_e32 v28, v28
	v_cmp_nlt_f32_e32 vcc, s36, v27
	v_ldexp_f32 v28, v28, v29
	s_nop 0
	v_cndmask_b32_e32 v28, 0, v28, vcc
	v_cmp_ngt_f32_e32 vcc, s37, v27
	s_nop 1
	v_cndmask_b32_e32 v27, v68, v28, vcc
	v_sub_f32_e32 v27, 1.0, v27
.LBB438_55:                             ;   in Loop: Header=BB438_9 Depth=1
	s_andn2_saveexec_b64 s[14:15], s[14:15]
; %bb.56:                               ;   in Loop: Header=BB438_9 Depth=1
	v_mul_f32_e32 v27, v26, v26
	v_fmamk_f32 v28, v27, 0xba1345e1, v66
	v_fmaak_f32 v28, v27, v28, 0xbcdac9b8
	v_fmaak_f32 v28, v27, v28, 0x3de703be
	;; [unrolled: 1-line block ×4, first 2 shown]
	v_fma_f32 v27, |v26|, v27, |v26|
; %bb.57:                               ;   in Loop: Header=BB438_9 Depth=1
	s_or_b64 exec, exec, s[14:15]
	v_bfi_b32 v21, s38, v24, v21
	v_add_f32_e32 v8, v8, v12
	v_mul_f32_e32 v20, 0.5, v20
	v_add_f32_e32 v21, 1.0, v21
	v_add_f32_e32 v18, v18, v22
	v_bfi_b32 v22, s38, v27, v26
	v_mul_f32_e32 v12, 0x3f3504f3, v8
	v_mul_f32_e32 v20, v20, v21
	v_add_f32_e32 v19, v19, v23
	v_mul_f32_e32 v21, 0.5, v25
	v_add_f32_e32 v22, 1.0, v22
	v_cmp_nlt_f32_e64 s[14:15], |v12|, 1.0
	v_mul_f32_e32 v21, v21, v22
	;;#ASMSTART
	v_pk_mul_f32 v[18:19], v[20:21], v[18:19]
	;;#ASMEND
                                        ; implicit-def: $vgpr20
	s_and_saveexec_b64 s[40:41], s[14:15]
	s_xor_b64 s[14:15], exec, s[40:41]
	s_cbranch_execz .LBB438_59
; %bb.58:                               ;   in Loop: Header=BB438_9 Depth=1
	v_fma_f32 v20, |v12|, s28, v67
	v_fma_f32 v20, |v12|, v20, s29
	v_fma_f32 v20, |v12|, v20, s30
	v_fma_f32 v20, |v12|, v20, s31
	v_fma_f32 v20, |v12|, v20, s33
	v_fma_f32 v20, |v12|, v20, s34
	v_fma_f32 v20, |v12|, v20, |v12|
	v_mul_f32_e32 v21, 0xbfb8aa3b, v20
	v_fma_f32 v22, v20, s35, -v21
	v_rndne_f32_e32 v23, v21
	v_fmac_f32_e32 v22, 0xb2a5705f, v20
	v_sub_f32_e32 v21, v21, v23
	v_add_f32_e32 v21, v21, v22
	v_cvt_i32_f32_e32 v22, v23
	v_exp_f32_e32 v21, v21
	v_cmp_nlt_f32_e32 vcc, s36, v20
	v_ldexp_f32 v21, v21, v22
	s_nop 0
	v_cndmask_b32_e32 v21, 0, v21, vcc
	v_cmp_ngt_f32_e32 vcc, s37, v20
	s_nop 1
	v_cndmask_b32_e32 v20, v68, v21, vcc
	v_sub_f32_e32 v20, 1.0, v20
.LBB438_59:                             ;   in Loop: Header=BB438_9 Depth=1
	s_andn2_saveexec_b64 s[14:15], s[14:15]
; %bb.60:                               ;   in Loop: Header=BB438_9 Depth=1
	v_mul_f32_e32 v20, v12, v12
	v_fmamk_f32 v21, v20, 0xba1345e1, v66
	v_fmaak_f32 v21, v20, v21, 0xbcdac9b8
	v_fmaak_f32 v21, v20, v21, 0x3de703be
	;; [unrolled: 1-line block ×4, first 2 shown]
	v_fma_f32 v20, |v12|, v20, |v12|
; %bb.61:                               ;   in Loop: Header=BB438_9 Depth=1
	s_or_b64 exec, exec, s[14:15]
	v_add_f32_e32 v9, v9, v13
	v_mul_f32_e32 v13, 0x3f3504f3, v9
	v_cmp_nlt_f32_e64 s[14:15], |v13|, 1.0
                                        ; implicit-def: $vgpr21
	s_and_saveexec_b64 s[40:41], s[14:15]
	s_xor_b64 s[14:15], exec, s[40:41]
	s_cbranch_execz .LBB438_63
; %bb.62:                               ;   in Loop: Header=BB438_9 Depth=1
	v_fma_f32 v21, |v13|, s28, v67
	v_fma_f32 v21, |v13|, v21, s29
	;; [unrolled: 1-line block ×6, first 2 shown]
	v_fma_f32 v21, |v13|, v21, |v13|
	v_mul_f32_e32 v22, 0xbfb8aa3b, v21
	v_fma_f32 v23, v21, s35, -v22
	v_rndne_f32_e32 v24, v22
	v_fmac_f32_e32 v23, 0xb2a5705f, v21
	v_sub_f32_e32 v22, v22, v24
	v_add_f32_e32 v22, v22, v23
	v_cvt_i32_f32_e32 v23, v24
	v_exp_f32_e32 v22, v22
	v_cmp_nlt_f32_e32 vcc, s36, v21
	v_ldexp_f32 v22, v22, v23
	s_nop 0
	v_cndmask_b32_e32 v22, 0, v22, vcc
	v_cmp_ngt_f32_e32 vcc, s37, v21
	s_nop 1
	v_cndmask_b32_e32 v21, v68, v22, vcc
	v_sub_f32_e32 v21, 1.0, v21
.LBB438_63:                             ;   in Loop: Header=BB438_9 Depth=1
	s_andn2_saveexec_b64 s[14:15], s[14:15]
; %bb.64:                               ;   in Loop: Header=BB438_9 Depth=1
	v_mul_f32_e32 v21, v13, v13
	v_fmamk_f32 v22, v21, 0xba1345e1, v66
	v_fmaak_f32 v22, v21, v22, 0xbcdac9b8
	v_fmaak_f32 v22, v21, v22, 0x3de703be
	;; [unrolled: 1-line block ×4, first 2 shown]
	v_fma_f32 v21, |v13|, v21, |v13|
; %bb.65:                               ;   in Loop: Header=BB438_9 Depth=1
	s_or_b64 exec, exec, s[14:15]
	s_waitcnt vmcnt(0)
	v_add_f32_e32 v1, v1, v5
	v_bfi_b32 v5, s38, v21, v13
	v_add_f32_e32 v0, v0, v4
	v_mul_f32_e32 v4, 0.5, v9
	v_add_f32_e32 v5, 1.0, v5
	v_bfi_b32 v12, s38, v20, v12
	v_mul_f32_e32 v9, v4, v5
	v_add_f32_e32 v4, v10, v14
	v_mul_f32_e32 v8, 0.5, v8
	v_add_f32_e32 v12, 1.0, v12
	v_mul_f32_e32 v5, 0x3f3504f3, v4
	v_mul_f32_e32 v8, v8, v12
	v_cmp_nlt_f32_e64 s[14:15], |v5|, 1.0
	;;#ASMSTART
	v_pk_mul_f32 v[0:1], v[8:9], v[0:1]
	;;#ASMEND
                                        ; implicit-def: $vgpr8
	s_and_saveexec_b64 s[40:41], s[14:15]
	s_xor_b64 s[14:15], exec, s[40:41]
	s_cbranch_execz .LBB438_67
; %bb.66:                               ;   in Loop: Header=BB438_9 Depth=1
	v_fma_f32 v8, |v5|, s28, v67
	v_fma_f32 v8, |v5|, v8, s29
	;; [unrolled: 1-line block ×6, first 2 shown]
	v_fma_f32 v8, |v5|, v8, |v5|
	v_mul_f32_e32 v9, 0xbfb8aa3b, v8
	v_fma_f32 v10, v8, s35, -v9
	v_rndne_f32_e32 v12, v9
	v_fmac_f32_e32 v10, 0xb2a5705f, v8
	v_sub_f32_e32 v9, v9, v12
	v_add_f32_e32 v9, v9, v10
	v_cvt_i32_f32_e32 v10, v12
	v_exp_f32_e32 v9, v9
	v_cmp_nlt_f32_e32 vcc, s36, v8
	v_ldexp_f32 v9, v9, v10
	s_nop 0
	v_cndmask_b32_e32 v9, 0, v9, vcc
	v_cmp_ngt_f32_e32 vcc, s37, v8
	s_nop 1
	v_cndmask_b32_e32 v8, v68, v9, vcc
	v_sub_f32_e32 v8, 1.0, v8
.LBB438_67:                             ;   in Loop: Header=BB438_9 Depth=1
	s_andn2_saveexec_b64 s[14:15], s[14:15]
; %bb.68:                               ;   in Loop: Header=BB438_9 Depth=1
	v_mul_f32_e32 v8, v5, v5
	v_fmamk_f32 v9, v8, 0xba1345e1, v66
	v_fmaak_f32 v9, v8, v9, 0xbcdac9b8
	v_fmaak_f32 v9, v8, v9, 0x3de703be
	;; [unrolled: 1-line block ×4, first 2 shown]
	v_fma_f32 v8, |v5|, v8, |v5|
; %bb.69:                               ;   in Loop: Header=BB438_9 Depth=1
	s_or_b64 exec, exec, s[14:15]
	v_add_f32_e32 v9, v11, v15
	v_mul_f32_e32 v10, 0x3f3504f3, v9
	v_cmp_nlt_f32_e64 s[14:15], |v10|, 1.0
                                        ; implicit-def: $vgpr11
	s_and_saveexec_b64 s[40:41], s[14:15]
	s_xor_b64 s[14:15], exec, s[40:41]
	s_cbranch_execz .LBB438_71
; %bb.70:                               ;   in Loop: Header=BB438_9 Depth=1
	v_fma_f32 v11, |v10|, s28, v67
	v_fma_f32 v11, |v10|, v11, s29
	;; [unrolled: 1-line block ×6, first 2 shown]
	v_fma_f32 v11, |v10|, v11, |v10|
	v_mul_f32_e32 v12, 0xbfb8aa3b, v11
	v_fma_f32 v13, v11, s35, -v12
	v_rndne_f32_e32 v14, v12
	v_fmac_f32_e32 v13, 0xb2a5705f, v11
	v_sub_f32_e32 v12, v12, v14
	v_add_f32_e32 v12, v12, v13
	v_cvt_i32_f32_e32 v13, v14
	v_exp_f32_e32 v12, v12
	v_cmp_nlt_f32_e32 vcc, s36, v11
	v_ldexp_f32 v12, v12, v13
	s_nop 0
	v_cndmask_b32_e32 v12, 0, v12, vcc
	v_cmp_ngt_f32_e32 vcc, s37, v11
	s_nop 1
	v_cndmask_b32_e32 v11, v68, v12, vcc
	v_sub_f32_e32 v11, 1.0, v11
.LBB438_71:                             ;   in Loop: Header=BB438_9 Depth=1
	s_andn2_saveexec_b64 s[14:15], s[14:15]
	s_cbranch_execz .LBB438_8
; %bb.72:                               ;   in Loop: Header=BB438_9 Depth=1
	v_mul_f32_e32 v11, v10, v10
	v_fmamk_f32 v12, v11, 0xba1345e1, v66
	v_fmaak_f32 v12, v11, v12, 0xbcdac9b8
	v_fmaak_f32 v12, v11, v12, 0x3de703be
	;; [unrolled: 1-line block ×4, first 2 shown]
	v_fma_f32 v11, |v10|, v11, |v10|
	s_branch .LBB438_8
.LBB438_73:
	s_endpgm
	.section	.rodata,"a",@progbits
	.p2align	6, 0x0
	.amdhsa_kernel _ZN5aiter23act_and_mul_bias_kernelIfDF16_ifTnPFfRKT2_EXadL_ZNS_11gelu_kernelIfEEfRKT_EELi16EEEvPT0_PS8_PKT1_PS2_il
		.amdhsa_group_segment_fixed_size 0
		.amdhsa_private_segment_fixed_size 0
		.amdhsa_kernarg_size 304
		.amdhsa_user_sgpr_count 2
		.amdhsa_user_sgpr_dispatch_ptr 0
		.amdhsa_user_sgpr_queue_ptr 0
		.amdhsa_user_sgpr_kernarg_segment_ptr 1
		.amdhsa_user_sgpr_dispatch_id 0
		.amdhsa_user_sgpr_kernarg_preload_length 0
		.amdhsa_user_sgpr_kernarg_preload_offset 0
		.amdhsa_user_sgpr_private_segment_size 0
		.amdhsa_uses_dynamic_stack 0
		.amdhsa_enable_private_segment 0
		.amdhsa_system_sgpr_workgroup_id_x 1
		.amdhsa_system_sgpr_workgroup_id_y 0
		.amdhsa_system_sgpr_workgroup_id_z 0
		.amdhsa_system_sgpr_workgroup_info 0
		.amdhsa_system_vgpr_workitem_id 0
		.amdhsa_next_free_vgpr 74
		.amdhsa_next_free_sgpr 42
		.amdhsa_accum_offset 76
		.amdhsa_reserve_vcc 1
		.amdhsa_float_round_mode_32 0
		.amdhsa_float_round_mode_16_64 0
		.amdhsa_float_denorm_mode_32 3
		.amdhsa_float_denorm_mode_16_64 3
		.amdhsa_dx10_clamp 1
		.amdhsa_ieee_mode 1
		.amdhsa_fp16_overflow 0
		.amdhsa_tg_split 0
		.amdhsa_exception_fp_ieee_invalid_op 0
		.amdhsa_exception_fp_denorm_src 0
		.amdhsa_exception_fp_ieee_div_zero 0
		.amdhsa_exception_fp_ieee_overflow 0
		.amdhsa_exception_fp_ieee_underflow 0
		.amdhsa_exception_fp_ieee_inexact 0
		.amdhsa_exception_int_div_zero 0
	.end_amdhsa_kernel
	.section	.text._ZN5aiter23act_and_mul_bias_kernelIfDF16_ifTnPFfRKT2_EXadL_ZNS_11gelu_kernelIfEEfRKT_EELi16EEEvPT0_PS8_PKT1_PS2_il,"axG",@progbits,_ZN5aiter23act_and_mul_bias_kernelIfDF16_ifTnPFfRKT2_EXadL_ZNS_11gelu_kernelIfEEfRKT_EELi16EEEvPT0_PS8_PKT1_PS2_il,comdat
.Lfunc_end438:
	.size	_ZN5aiter23act_and_mul_bias_kernelIfDF16_ifTnPFfRKT2_EXadL_ZNS_11gelu_kernelIfEEfRKT_EELi16EEEvPT0_PS8_PKT1_PS2_il, .Lfunc_end438-_ZN5aiter23act_and_mul_bias_kernelIfDF16_ifTnPFfRKT2_EXadL_ZNS_11gelu_kernelIfEEfRKT_EELi16EEEvPT0_PS8_PKT1_PS2_il
                                        ; -- End function
	.section	.AMDGPU.csdata,"",@progbits
; Kernel info:
; codeLenInByte = 5076
; NumSgprs: 48
; NumVgprs: 74
; NumAgprs: 0
; TotalNumVgprs: 74
; ScratchSize: 0
; MemoryBound: 0
; FloatMode: 240
; IeeeMode: 1
; LDSByteSize: 0 bytes/workgroup (compile time only)
; SGPRBlocks: 5
; VGPRBlocks: 9
; NumSGPRsForWavesPerEU: 48
; NumVGPRsForWavesPerEU: 74
; AccumOffset: 76
; Occupancy: 6
; WaveLimiterHint : 0
; COMPUTE_PGM_RSRC2:SCRATCH_EN: 0
; COMPUTE_PGM_RSRC2:USER_SGPR: 2
; COMPUTE_PGM_RSRC2:TRAP_HANDLER: 0
; COMPUTE_PGM_RSRC2:TGID_X_EN: 1
; COMPUTE_PGM_RSRC2:TGID_Y_EN: 0
; COMPUTE_PGM_RSRC2:TGID_Z_EN: 0
; COMPUTE_PGM_RSRC2:TIDIG_COMP_CNT: 0
; COMPUTE_PGM_RSRC3_GFX90A:ACCUM_OFFSET: 18
; COMPUTE_PGM_RSRC3_GFX90A:TG_SPLIT: 0
	.section	.text._ZN5aiter23act_and_mul_bias_kernelIfDF16_ifTnPFfRKT2_EXadL_ZNS_11gelu_kernelIfEEfRKT_EELi8EEEvPT0_PS8_PKT1_PS2_il,"axG",@progbits,_ZN5aiter23act_and_mul_bias_kernelIfDF16_ifTnPFfRKT2_EXadL_ZNS_11gelu_kernelIfEEfRKT_EELi8EEEvPT0_PS8_PKT1_PS2_il,comdat
	.protected	_ZN5aiter23act_and_mul_bias_kernelIfDF16_ifTnPFfRKT2_EXadL_ZNS_11gelu_kernelIfEEfRKT_EELi8EEEvPT0_PS8_PKT1_PS2_il ; -- Begin function _ZN5aiter23act_and_mul_bias_kernelIfDF16_ifTnPFfRKT2_EXadL_ZNS_11gelu_kernelIfEEfRKT_EELi8EEEvPT0_PS8_PKT1_PS2_il
	.globl	_ZN5aiter23act_and_mul_bias_kernelIfDF16_ifTnPFfRKT2_EXadL_ZNS_11gelu_kernelIfEEfRKT_EELi8EEEvPT0_PS8_PKT1_PS2_il
	.p2align	8
	.type	_ZN5aiter23act_and_mul_bias_kernelIfDF16_ifTnPFfRKT2_EXadL_ZNS_11gelu_kernelIfEEfRKT_EELi8EEEvPT0_PS8_PKT1_PS2_il,@function
_ZN5aiter23act_and_mul_bias_kernelIfDF16_ifTnPFfRKT2_EXadL_ZNS_11gelu_kernelIfEEfRKT_EELi8EEEvPT0_PS8_PKT1_PS2_il: ; @_ZN5aiter23act_and_mul_bias_kernelIfDF16_ifTnPFfRKT2_EXadL_ZNS_11gelu_kernelIfEEfRKT_EELi8EEEvPT0_PS8_PKT1_PS2_il
; %bb.0:
	s_load_dwordx2 s[4:5], s[0:1], 0x10
	s_load_dword s24, s[0:1], 0x20
	s_load_dwordx2 s[12:13], s[0:1], 0x28
	s_mov_b32 s3, 0
	s_lshl_b64 s[6:7], s[2:3], 2
	s_waitcnt lgkmcnt(0)
	s_add_u32 s4, s4, s6
	s_addc_u32 s5, s5, s7
	s_load_dword s8, s[4:5], 0x0
	s_load_dwordx2 s[6:7], s[0:1], 0x0
	s_ashr_i32 s25, s24, 31
	s_mul_hi_u32 s3, s24, s2
	s_mul_i32 s4, s25, s2
	s_add_i32 s5, s3, s4
	s_mul_i32 s4, s24, s2
	s_waitcnt lgkmcnt(0)
	s_ashr_i32 s9, s8, 31
	s_lshl_b64 s[4:5], s[4:5], 1
	s_add_u32 s4, s6, s4
	s_addc_u32 s3, s7, s5
	s_add_i32 s5, s24, 1
	s_lshr_b32 s6, s5, 31
	v_mov_b64_e32 v[2:3], s[12:13]
	v_cmp_gt_i64_e64 s[14:15], s[8:9], -1
	s_add_i32 s5, s5, s6
	v_cmp_lt_i64_e32 vcc, s[8:9], v[2:3]
	s_lshl_b32 s5, s5, 1
	s_and_b64 s[12:13], s[14:15], vcc
	s_mov_b64 s[10:11], -1
	s_and_b32 s6, s5, -4
	s_and_b32 s5, s3, 0xffff
	s_and_b64 vcc, exec, s[12:13]
	v_lshlrev_b32_e32 v32, 3, v0
	s_cbranch_vccnz .LBB439_5
; %bb.1:
	v_cmp_gt_i32_e32 vcc, s24, v32
	s_and_saveexec_b64 s[10:11], vcc
	s_cbranch_execz .LBB439_4
; %bb.2:
	s_load_dword s3, s[0:1], 0x3c
	v_mov_b32_e32 v33, 0
	s_mov_b32 s13, 0
	v_lshlrev_b32_e32 v6, 4, v0
	s_mov_b64 s[14:15], 0
	s_waitcnt lgkmcnt(0)
	s_and_b32 s3, s3, 0xffff
	s_lshl_b32 s12, s3, 3
	s_lshl_b32 s3, s3, 4
	s_mov_b32 s7, 0x20000
	v_mov_b32_e32 v0, v33
	v_mov_b32_e32 v1, v33
	;; [unrolled: 1-line block ×4, first 2 shown]
	v_mov_b64_e32 v[4:5], v[32:33]
.LBB439_3:                              ; =>This Inner Loop Header: Depth=1
	v_lshl_add_u64 v[4:5], s[12:13], 0, v[4:5]
	v_cmp_le_i64_e32 vcc, s[24:25], v[4:5]
	buffer_store_dwordx4 v[0:3], v6, s[4:7], 0 offen
	s_or_b64 s[14:15], vcc, s[14:15]
	v_add_u32_e32 v6, s3, v6
	s_andn2_b64 exec, exec, s[14:15]
	s_cbranch_execnz .LBB439_3
.LBB439_4:
	s_or_b64 exec, exec, s[10:11]
	s_mov_b64 s[10:11], 0
.LBB439_5:
	s_andn2_b64 vcc, exec, s[10:11]
	s_cbranch_vccnz .LBB439_41
; %bb.6:
	v_cmp_gt_i32_e32 vcc, s24, v32
	s_and_saveexec_b64 s[10:11], vcc
	s_cbranch_execz .LBB439_41
; %bb.7:
	s_load_dwordx2 s[14:15], s[0:1], 0x8
	s_load_dwordx2 s[12:13], s[0:1], 0x18
	s_mul_hi_i32 s9, s24, s8
	s_mul_i32 s8, s24, s8
	s_lshl_b32 s10, s24, 2
	s_lshl_b64 s[8:9], s[8:9], 3
	s_waitcnt lgkmcnt(0)
	s_add_u32 s8, s12, s8
	s_addc_u32 s3, s13, s9
	s_lshl_b64 s[18:19], s[24:25], 2
	s_add_u32 s12, s8, s18
	s_addc_u32 s13, s3, s19
	s_and_b32 s9, s3, 0xffff
	s_mul_i32 s3, s2, s25
	s_mul_hi_u32 s16, s2, s24
	s_add_i32 s3, s16, s3
	s_mul_i32 s2, s2, s24
	s_and_b32 s13, s13, 0xffff
	s_lshl_b64 s[2:3], s[2:3], 3
	s_add_u32 s16, s14, s2
	s_addc_u32 s2, s15, s3
	s_add_u32 s20, s16, s18
	s_addc_u32 s3, s2, s19
	s_and_b32 s17, s2, 0xffff
	s_and_b32 s21, s3, 0xffff
	s_mov_b32 s7, 0x20000
	s_add_u32 s0, s0, 48
	s_mov_b32 s11, s7
	v_mov_b32_e32 v33, 0
	s_addc_u32 s1, s1, 0
	s_mov_b64 s[2:3], 0
	s_mov_b32 s18, s10
	s_mov_b32 s19, s7
	;; [unrolled: 1-line block ×12, first 2 shown]
	v_mov_b32_e32 v34, 0x3ba10414
	s_brev_b32 s38, -2
	s_mov_b32 s22, s10
	s_mov_b32 s23, s7
	v_mov_b32_e32 v35, 0xb9c68948
	v_mov_b32_e32 v36, 0x7f800000
                                        ; implicit-def: $vgpr0
                                        ; implicit-def: $vgpr0
	;; [unrolled: 1-line block ×4, first 2 shown]
	s_branch .LBB439_9
.LBB439_8:                              ;   in Loop: Header=BB439_9 Depth=1
	s_or_b64 exec, exec, s[14:15]
	v_bfi_b32 v5, s38, v8, v5
	v_mul_f32_e32 v4, 0.5, v4
	v_add_f32_e32 v5, 1.0, v5
	v_add_f32_e32 v2, v2, v6
	v_bfi_b32 v6, s38, v11, v10
	v_mul_f32_e32 v4, v4, v5
	v_add_f32_e32 v3, v3, v7
	v_mul_f32_e32 v5, 0.5, v9
	v_add_f32_e32 v6, 1.0, v6
	v_mul_f32_e32 v5, v5, v6
	;;#ASMSTART
	v_pk_mul_f32 v[2:3], v[4:5], v[2:3]
	;;#ASMEND
	s_load_dword s14, s[0:1], 0xc
	v_cvt_f16_f32_e32 v12, v18
	v_cvt_f16_f32_e32 v2, v2
	;; [unrolled: 1-line block ×8, first 2 shown]
	s_waitcnt lgkmcnt(0)
	s_and_b32 s14, s14, 0xffff
	s_lshl_b32 s26, s14, 3
	v_pack_b32_f16 v3, v2, v3
	v_pack_b32_f16 v2, v0, v1
	;; [unrolled: 1-line block ×3, first 2 shown]
	v_lshlrev_b32_e32 v4, 1, v32
	v_lshl_add_u64 v[32:33], s[26:27], 0, v[32:33]
	v_cmp_le_i64_e32 vcc, s[24:25], v[32:33]
	v_pack_b32_f16 v0, v7, v8
	s_or_b64 s[2:3], vcc, s[2:3]
	buffer_store_dwordx4 v[0:3], v4, s[4:7], 0 offen
	s_andn2_b64 exec, exec, s[2:3]
	s_cbranch_execz .LBB439_41
.LBB439_9:                              ; =>This Inner Loop Header: Depth=1
	v_lshlrev_b32_e32 v37, 2, v32
	buffer_load_dwordx4 v[24:27], v37, s[16:19], 0 offen
	buffer_load_dwordx4 v[8:11], v37, s[16:19], 16 offen
	;; [unrolled: 1-line block ×6, first 2 shown]
	s_mov_b32 s14, s10
	s_mov_b32 s15, s11
	buffer_load_dwordx4 v[20:23], v37, s[12:15], 0 offen
	buffer_load_dwordx4 v[4:7], v37, s[12:15], 16 offen
                                        ; implicit-def: $vgpr37
	s_waitcnt vmcnt(3)
	v_add_f32_e32 v24, v24, v28
	v_mul_f32_e32 v28, 0x3f3504f3, v24
	v_cmp_nlt_f32_e64 s[14:15], |v28|, 1.0
	s_and_saveexec_b64 s[40:41], s[14:15]
	s_xor_b64 s[14:15], exec, s[40:41]
	s_cbranch_execz .LBB439_11
; %bb.10:                               ;   in Loop: Header=BB439_9 Depth=1
	v_fma_f32 v37, |v28|, s28, v35
	v_fma_f32 v37, |v28|, v37, s29
	;; [unrolled: 1-line block ×6, first 2 shown]
	v_fma_f32 v37, |v28|, v37, |v28|
	v_mul_f32_e32 v38, 0xbfb8aa3b, v37
	v_fma_f32 v39, v37, s35, -v38
	v_rndne_f32_e32 v40, v38
	v_fmac_f32_e32 v39, 0xb2a5705f, v37
	v_sub_f32_e32 v38, v38, v40
	v_add_f32_e32 v38, v38, v39
	v_cvt_i32_f32_e32 v39, v40
	v_exp_f32_e32 v38, v38
	v_cmp_nlt_f32_e32 vcc, s36, v37
	v_ldexp_f32 v38, v38, v39
	s_nop 0
	v_cndmask_b32_e32 v38, 0, v38, vcc
	v_cmp_ngt_f32_e32 vcc, s37, v37
	s_nop 1
	v_cndmask_b32_e32 v37, v36, v38, vcc
	v_sub_f32_e32 v37, 1.0, v37
.LBB439_11:                             ;   in Loop: Header=BB439_9 Depth=1
	s_andn2_saveexec_b64 s[14:15], s[14:15]
; %bb.12:                               ;   in Loop: Header=BB439_9 Depth=1
	v_mul_f32_e32 v37, v28, v28
	v_fmamk_f32 v38, v37, 0xba1345e1, v34
	v_fmaak_f32 v38, v37, v38, 0xbcdac9b8
	v_fmaak_f32 v38, v37, v38, 0x3de703be
	;; [unrolled: 1-line block ×4, first 2 shown]
	v_fma_f32 v37, |v28|, v37, |v28|
; %bb.13:                               ;   in Loop: Header=BB439_9 Depth=1
	s_or_b64 exec, exec, s[14:15]
	v_add_f32_e32 v25, v25, v29
	v_mul_f32_e32 v29, 0x3f3504f3, v25
	v_cmp_nlt_f32_e64 s[14:15], |v29|, 1.0
                                        ; implicit-def: $vgpr38
	s_and_saveexec_b64 s[40:41], s[14:15]
	s_xor_b64 s[14:15], exec, s[40:41]
	s_cbranch_execz .LBB439_15
; %bb.14:                               ;   in Loop: Header=BB439_9 Depth=1
	v_fma_f32 v38, |v29|, s28, v35
	v_fma_f32 v38, |v29|, v38, s29
	;; [unrolled: 1-line block ×6, first 2 shown]
	v_fma_f32 v38, |v29|, v38, |v29|
	v_mul_f32_e32 v39, 0xbfb8aa3b, v38
	v_fma_f32 v40, v38, s35, -v39
	v_rndne_f32_e32 v41, v39
	v_fmac_f32_e32 v40, 0xb2a5705f, v38
	v_sub_f32_e32 v39, v39, v41
	v_add_f32_e32 v39, v39, v40
	v_cvt_i32_f32_e32 v40, v41
	v_exp_f32_e32 v39, v39
	v_cmp_nlt_f32_e32 vcc, s36, v38
	v_ldexp_f32 v39, v39, v40
	s_nop 0
	v_cndmask_b32_e32 v39, 0, v39, vcc
	v_cmp_ngt_f32_e32 vcc, s37, v38
	s_nop 1
	v_cndmask_b32_e32 v38, v36, v39, vcc
	v_sub_f32_e32 v38, 1.0, v38
.LBB439_15:                             ;   in Loop: Header=BB439_9 Depth=1
	s_andn2_saveexec_b64 s[14:15], s[14:15]
; %bb.16:                               ;   in Loop: Header=BB439_9 Depth=1
	v_mul_f32_e32 v38, v29, v29
	v_fmamk_f32 v39, v38, 0xba1345e1, v34
	v_fmaak_f32 v39, v38, v39, 0xbcdac9b8
	v_fmaak_f32 v39, v38, v39, 0x3de703be
	;; [unrolled: 1-line block ×4, first 2 shown]
	v_fma_f32 v38, |v29|, v38, |v29|
; %bb.17:                               ;   in Loop: Header=BB439_9 Depth=1
	s_or_b64 exec, exec, s[14:15]
	s_waitcnt vmcnt(1)
	v_add_f32_e32 v17, v17, v21
	v_bfi_b32 v21, s38, v38, v29
	v_add_f32_e32 v16, v16, v20
	v_mul_f32_e32 v20, 0.5, v25
	v_add_f32_e32 v21, 1.0, v21
	v_bfi_b32 v28, s38, v37, v28
	v_mul_f32_e32 v25, v20, v21
	v_add_f32_e32 v20, v26, v30
	v_mul_f32_e32 v24, 0.5, v24
	v_add_f32_e32 v28, 1.0, v28
	v_mul_f32_e32 v21, 0x3f3504f3, v20
	v_mul_f32_e32 v24, v24, v28
	v_cmp_nlt_f32_e64 s[14:15], |v21|, 1.0
	;;#ASMSTART
	v_pk_mul_f32 v[16:17], v[24:25], v[16:17]
	;;#ASMEND
                                        ; implicit-def: $vgpr24
	s_and_saveexec_b64 s[40:41], s[14:15]
	s_xor_b64 s[14:15], exec, s[40:41]
	s_cbranch_execz .LBB439_19
; %bb.18:                               ;   in Loop: Header=BB439_9 Depth=1
	v_fma_f32 v24, |v21|, s28, v35
	v_fma_f32 v24, |v21|, v24, s29
	;; [unrolled: 1-line block ×6, first 2 shown]
	v_fma_f32 v24, |v21|, v24, |v21|
	v_mul_f32_e32 v25, 0xbfb8aa3b, v24
	v_fma_f32 v26, v24, s35, -v25
	v_rndne_f32_e32 v28, v25
	v_fmac_f32_e32 v26, 0xb2a5705f, v24
	v_sub_f32_e32 v25, v25, v28
	v_add_f32_e32 v25, v25, v26
	v_cvt_i32_f32_e32 v26, v28
	v_exp_f32_e32 v25, v25
	v_cmp_nlt_f32_e32 vcc, s36, v24
	v_ldexp_f32 v25, v25, v26
	s_nop 0
	v_cndmask_b32_e32 v25, 0, v25, vcc
	v_cmp_ngt_f32_e32 vcc, s37, v24
	s_nop 1
	v_cndmask_b32_e32 v24, v36, v25, vcc
	v_sub_f32_e32 v24, 1.0, v24
.LBB439_19:                             ;   in Loop: Header=BB439_9 Depth=1
	s_andn2_saveexec_b64 s[14:15], s[14:15]
; %bb.20:                               ;   in Loop: Header=BB439_9 Depth=1
	v_mul_f32_e32 v24, v21, v21
	v_fmamk_f32 v25, v24, 0xba1345e1, v34
	v_fmaak_f32 v25, v24, v25, 0xbcdac9b8
	v_fmaak_f32 v25, v24, v25, 0x3de703be
	;; [unrolled: 1-line block ×4, first 2 shown]
	v_fma_f32 v24, |v21|, v24, |v21|
; %bb.21:                               ;   in Loop: Header=BB439_9 Depth=1
	s_or_b64 exec, exec, s[14:15]
	v_add_f32_e32 v25, v27, v31
	v_mul_f32_e32 v26, 0x3f3504f3, v25
	v_cmp_nlt_f32_e64 s[14:15], |v26|, 1.0
                                        ; implicit-def: $vgpr27
	s_and_saveexec_b64 s[40:41], s[14:15]
	s_xor_b64 s[14:15], exec, s[40:41]
	s_cbranch_execz .LBB439_23
; %bb.22:                               ;   in Loop: Header=BB439_9 Depth=1
	v_fma_f32 v27, |v26|, s28, v35
	v_fma_f32 v27, |v26|, v27, s29
	;; [unrolled: 1-line block ×6, first 2 shown]
	v_fma_f32 v27, |v26|, v27, |v26|
	v_mul_f32_e32 v28, 0xbfb8aa3b, v27
	v_fma_f32 v29, v27, s35, -v28
	v_rndne_f32_e32 v30, v28
	v_fmac_f32_e32 v29, 0xb2a5705f, v27
	v_sub_f32_e32 v28, v28, v30
	v_add_f32_e32 v28, v28, v29
	v_cvt_i32_f32_e32 v29, v30
	v_exp_f32_e32 v28, v28
	v_cmp_nlt_f32_e32 vcc, s36, v27
	v_ldexp_f32 v28, v28, v29
	s_nop 0
	v_cndmask_b32_e32 v28, 0, v28, vcc
	v_cmp_ngt_f32_e32 vcc, s37, v27
	s_nop 1
	v_cndmask_b32_e32 v27, v36, v28, vcc
	v_sub_f32_e32 v27, 1.0, v27
.LBB439_23:                             ;   in Loop: Header=BB439_9 Depth=1
	s_andn2_saveexec_b64 s[14:15], s[14:15]
; %bb.24:                               ;   in Loop: Header=BB439_9 Depth=1
	v_mul_f32_e32 v27, v26, v26
	v_fmamk_f32 v28, v27, 0xba1345e1, v34
	v_fmaak_f32 v28, v27, v28, 0xbcdac9b8
	v_fmaak_f32 v28, v27, v28, 0x3de703be
	v_fmaak_f32 v28, v27, v28, 0xbec09330
	v_fmaak_f32 v27, v27, v28, 0x3e0375d0
	v_fma_f32 v27, |v26|, v27, |v26|
; %bb.25:                               ;   in Loop: Header=BB439_9 Depth=1
	s_or_b64 exec, exec, s[14:15]
	v_bfi_b32 v21, s38, v24, v21
	v_add_f32_e32 v8, v8, v12
	v_mul_f32_e32 v20, 0.5, v20
	v_add_f32_e32 v21, 1.0, v21
	v_add_f32_e32 v18, v18, v22
	v_bfi_b32 v22, s38, v27, v26
	v_mul_f32_e32 v12, 0x3f3504f3, v8
	v_mul_f32_e32 v20, v20, v21
	v_add_f32_e32 v19, v19, v23
	v_mul_f32_e32 v21, 0.5, v25
	v_add_f32_e32 v22, 1.0, v22
	v_cmp_nlt_f32_e64 s[14:15], |v12|, 1.0
	v_mul_f32_e32 v21, v21, v22
	;;#ASMSTART
	v_pk_mul_f32 v[18:19], v[20:21], v[18:19]
	;;#ASMEND
                                        ; implicit-def: $vgpr20
	s_and_saveexec_b64 s[40:41], s[14:15]
	s_xor_b64 s[14:15], exec, s[40:41]
	s_cbranch_execz .LBB439_27
; %bb.26:                               ;   in Loop: Header=BB439_9 Depth=1
	v_fma_f32 v20, |v12|, s28, v35
	v_fma_f32 v20, |v12|, v20, s29
	;; [unrolled: 1-line block ×6, first 2 shown]
	v_fma_f32 v20, |v12|, v20, |v12|
	v_mul_f32_e32 v21, 0xbfb8aa3b, v20
	v_fma_f32 v22, v20, s35, -v21
	v_rndne_f32_e32 v23, v21
	v_fmac_f32_e32 v22, 0xb2a5705f, v20
	v_sub_f32_e32 v21, v21, v23
	v_add_f32_e32 v21, v21, v22
	v_cvt_i32_f32_e32 v22, v23
	v_exp_f32_e32 v21, v21
	v_cmp_nlt_f32_e32 vcc, s36, v20
	v_ldexp_f32 v21, v21, v22
	s_nop 0
	v_cndmask_b32_e32 v21, 0, v21, vcc
	v_cmp_ngt_f32_e32 vcc, s37, v20
	s_nop 1
	v_cndmask_b32_e32 v20, v36, v21, vcc
	v_sub_f32_e32 v20, 1.0, v20
.LBB439_27:                             ;   in Loop: Header=BB439_9 Depth=1
	s_andn2_saveexec_b64 s[14:15], s[14:15]
; %bb.28:                               ;   in Loop: Header=BB439_9 Depth=1
	v_mul_f32_e32 v20, v12, v12
	v_fmamk_f32 v21, v20, 0xba1345e1, v34
	v_fmaak_f32 v21, v20, v21, 0xbcdac9b8
	v_fmaak_f32 v21, v20, v21, 0x3de703be
	;; [unrolled: 1-line block ×4, first 2 shown]
	v_fma_f32 v20, |v12|, v20, |v12|
; %bb.29:                               ;   in Loop: Header=BB439_9 Depth=1
	s_or_b64 exec, exec, s[14:15]
	v_add_f32_e32 v9, v9, v13
	v_mul_f32_e32 v13, 0x3f3504f3, v9
	v_cmp_nlt_f32_e64 s[14:15], |v13|, 1.0
                                        ; implicit-def: $vgpr21
	s_and_saveexec_b64 s[40:41], s[14:15]
	s_xor_b64 s[14:15], exec, s[40:41]
	s_cbranch_execz .LBB439_31
; %bb.30:                               ;   in Loop: Header=BB439_9 Depth=1
	v_fma_f32 v21, |v13|, s28, v35
	v_fma_f32 v21, |v13|, v21, s29
	;; [unrolled: 1-line block ×6, first 2 shown]
	v_fma_f32 v21, |v13|, v21, |v13|
	v_mul_f32_e32 v22, 0xbfb8aa3b, v21
	v_fma_f32 v23, v21, s35, -v22
	v_rndne_f32_e32 v24, v22
	v_fmac_f32_e32 v23, 0xb2a5705f, v21
	v_sub_f32_e32 v22, v22, v24
	v_add_f32_e32 v22, v22, v23
	v_cvt_i32_f32_e32 v23, v24
	v_exp_f32_e32 v22, v22
	v_cmp_nlt_f32_e32 vcc, s36, v21
	v_ldexp_f32 v22, v22, v23
	s_nop 0
	v_cndmask_b32_e32 v22, 0, v22, vcc
	v_cmp_ngt_f32_e32 vcc, s37, v21
	s_nop 1
	v_cndmask_b32_e32 v21, v36, v22, vcc
	v_sub_f32_e32 v21, 1.0, v21
.LBB439_31:                             ;   in Loop: Header=BB439_9 Depth=1
	s_andn2_saveexec_b64 s[14:15], s[14:15]
; %bb.32:                               ;   in Loop: Header=BB439_9 Depth=1
	v_mul_f32_e32 v21, v13, v13
	v_fmamk_f32 v22, v21, 0xba1345e1, v34
	v_fmaak_f32 v22, v21, v22, 0xbcdac9b8
	v_fmaak_f32 v22, v21, v22, 0x3de703be
	;; [unrolled: 1-line block ×4, first 2 shown]
	v_fma_f32 v21, |v13|, v21, |v13|
; %bb.33:                               ;   in Loop: Header=BB439_9 Depth=1
	s_or_b64 exec, exec, s[14:15]
	s_waitcnt vmcnt(0)
	v_add_f32_e32 v1, v1, v5
	v_bfi_b32 v5, s38, v21, v13
	v_add_f32_e32 v0, v0, v4
	v_mul_f32_e32 v4, 0.5, v9
	v_add_f32_e32 v5, 1.0, v5
	v_bfi_b32 v12, s38, v20, v12
	v_mul_f32_e32 v9, v4, v5
	v_add_f32_e32 v4, v10, v14
	v_mul_f32_e32 v8, 0.5, v8
	v_add_f32_e32 v12, 1.0, v12
	v_mul_f32_e32 v5, 0x3f3504f3, v4
	v_mul_f32_e32 v8, v8, v12
	v_cmp_nlt_f32_e64 s[14:15], |v5|, 1.0
	;;#ASMSTART
	v_pk_mul_f32 v[0:1], v[8:9], v[0:1]
	;;#ASMEND
                                        ; implicit-def: $vgpr8
	s_and_saveexec_b64 s[40:41], s[14:15]
	s_xor_b64 s[14:15], exec, s[40:41]
	s_cbranch_execz .LBB439_35
; %bb.34:                               ;   in Loop: Header=BB439_9 Depth=1
	v_fma_f32 v8, |v5|, s28, v35
	v_fma_f32 v8, |v5|, v8, s29
	;; [unrolled: 1-line block ×6, first 2 shown]
	v_fma_f32 v8, |v5|, v8, |v5|
	v_mul_f32_e32 v9, 0xbfb8aa3b, v8
	v_fma_f32 v10, v8, s35, -v9
	v_rndne_f32_e32 v12, v9
	v_fmac_f32_e32 v10, 0xb2a5705f, v8
	v_sub_f32_e32 v9, v9, v12
	v_add_f32_e32 v9, v9, v10
	v_cvt_i32_f32_e32 v10, v12
	v_exp_f32_e32 v9, v9
	v_cmp_nlt_f32_e32 vcc, s36, v8
	v_ldexp_f32 v9, v9, v10
	s_nop 0
	v_cndmask_b32_e32 v9, 0, v9, vcc
	v_cmp_ngt_f32_e32 vcc, s37, v8
	s_nop 1
	v_cndmask_b32_e32 v8, v36, v9, vcc
	v_sub_f32_e32 v8, 1.0, v8
.LBB439_35:                             ;   in Loop: Header=BB439_9 Depth=1
	s_andn2_saveexec_b64 s[14:15], s[14:15]
; %bb.36:                               ;   in Loop: Header=BB439_9 Depth=1
	v_mul_f32_e32 v8, v5, v5
	v_fmamk_f32 v9, v8, 0xba1345e1, v34
	v_fmaak_f32 v9, v8, v9, 0xbcdac9b8
	v_fmaak_f32 v9, v8, v9, 0x3de703be
	;; [unrolled: 1-line block ×4, first 2 shown]
	v_fma_f32 v8, |v5|, v8, |v5|
; %bb.37:                               ;   in Loop: Header=BB439_9 Depth=1
	s_or_b64 exec, exec, s[14:15]
	v_add_f32_e32 v9, v11, v15
	v_mul_f32_e32 v10, 0x3f3504f3, v9
	v_cmp_nlt_f32_e64 s[14:15], |v10|, 1.0
                                        ; implicit-def: $vgpr11
	s_and_saveexec_b64 s[40:41], s[14:15]
	s_xor_b64 s[14:15], exec, s[40:41]
	s_cbranch_execz .LBB439_39
; %bb.38:                               ;   in Loop: Header=BB439_9 Depth=1
	v_fma_f32 v11, |v10|, s28, v35
	v_fma_f32 v11, |v10|, v11, s29
	;; [unrolled: 1-line block ×6, first 2 shown]
	v_fma_f32 v11, |v10|, v11, |v10|
	v_mul_f32_e32 v12, 0xbfb8aa3b, v11
	v_fma_f32 v13, v11, s35, -v12
	v_rndne_f32_e32 v14, v12
	v_fmac_f32_e32 v13, 0xb2a5705f, v11
	v_sub_f32_e32 v12, v12, v14
	v_add_f32_e32 v12, v12, v13
	v_cvt_i32_f32_e32 v13, v14
	v_exp_f32_e32 v12, v12
	v_cmp_nlt_f32_e32 vcc, s36, v11
	v_ldexp_f32 v12, v12, v13
	s_nop 0
	v_cndmask_b32_e32 v12, 0, v12, vcc
	v_cmp_ngt_f32_e32 vcc, s37, v11
	s_nop 1
	v_cndmask_b32_e32 v11, v36, v12, vcc
	v_sub_f32_e32 v11, 1.0, v11
.LBB439_39:                             ;   in Loop: Header=BB439_9 Depth=1
	s_andn2_saveexec_b64 s[14:15], s[14:15]
	s_cbranch_execz .LBB439_8
; %bb.40:                               ;   in Loop: Header=BB439_9 Depth=1
	v_mul_f32_e32 v11, v10, v10
	v_fmamk_f32 v12, v11, 0xba1345e1, v34
	v_fmaak_f32 v12, v11, v12, 0xbcdac9b8
	v_fmaak_f32 v12, v11, v12, 0x3de703be
	;; [unrolled: 1-line block ×4, first 2 shown]
	v_fma_f32 v11, |v10|, v11, |v10|
	s_branch .LBB439_8
.LBB439_41:
	s_endpgm
	.section	.rodata,"a",@progbits
	.p2align	6, 0x0
	.amdhsa_kernel _ZN5aiter23act_and_mul_bias_kernelIfDF16_ifTnPFfRKT2_EXadL_ZNS_11gelu_kernelIfEEfRKT_EELi8EEEvPT0_PS8_PKT1_PS2_il
		.amdhsa_group_segment_fixed_size 0
		.amdhsa_private_segment_fixed_size 0
		.amdhsa_kernarg_size 304
		.amdhsa_user_sgpr_count 2
		.amdhsa_user_sgpr_dispatch_ptr 0
		.amdhsa_user_sgpr_queue_ptr 0
		.amdhsa_user_sgpr_kernarg_segment_ptr 1
		.amdhsa_user_sgpr_dispatch_id 0
		.amdhsa_user_sgpr_kernarg_preload_length 0
		.amdhsa_user_sgpr_kernarg_preload_offset 0
		.amdhsa_user_sgpr_private_segment_size 0
		.amdhsa_uses_dynamic_stack 0
		.amdhsa_enable_private_segment 0
		.amdhsa_system_sgpr_workgroup_id_x 1
		.amdhsa_system_sgpr_workgroup_id_y 0
		.amdhsa_system_sgpr_workgroup_id_z 0
		.amdhsa_system_sgpr_workgroup_info 0
		.amdhsa_system_vgpr_workitem_id 0
		.amdhsa_next_free_vgpr 42
		.amdhsa_next_free_sgpr 42
		.amdhsa_accum_offset 44
		.amdhsa_reserve_vcc 1
		.amdhsa_float_round_mode_32 0
		.amdhsa_float_round_mode_16_64 0
		.amdhsa_float_denorm_mode_32 3
		.amdhsa_float_denorm_mode_16_64 3
		.amdhsa_dx10_clamp 1
		.amdhsa_ieee_mode 1
		.amdhsa_fp16_overflow 0
		.amdhsa_tg_split 0
		.amdhsa_exception_fp_ieee_invalid_op 0
		.amdhsa_exception_fp_denorm_src 0
		.amdhsa_exception_fp_ieee_div_zero 0
		.amdhsa_exception_fp_ieee_overflow 0
		.amdhsa_exception_fp_ieee_underflow 0
		.amdhsa_exception_fp_ieee_inexact 0
		.amdhsa_exception_int_div_zero 0
	.end_amdhsa_kernel
	.section	.text._ZN5aiter23act_and_mul_bias_kernelIfDF16_ifTnPFfRKT2_EXadL_ZNS_11gelu_kernelIfEEfRKT_EELi8EEEvPT0_PS8_PKT1_PS2_il,"axG",@progbits,_ZN5aiter23act_and_mul_bias_kernelIfDF16_ifTnPFfRKT2_EXadL_ZNS_11gelu_kernelIfEEfRKT_EELi8EEEvPT0_PS8_PKT1_PS2_il,comdat
.Lfunc_end439:
	.size	_ZN5aiter23act_and_mul_bias_kernelIfDF16_ifTnPFfRKT2_EXadL_ZNS_11gelu_kernelIfEEfRKT_EELi8EEEvPT0_PS8_PKT1_PS2_il, .Lfunc_end439-_ZN5aiter23act_and_mul_bias_kernelIfDF16_ifTnPFfRKT2_EXadL_ZNS_11gelu_kernelIfEEfRKT_EELi8EEEvPT0_PS8_PKT1_PS2_il
                                        ; -- End function
	.section	.AMDGPU.csdata,"",@progbits
; Kernel info:
; codeLenInByte = 2860
; NumSgprs: 48
; NumVgprs: 42
; NumAgprs: 0
; TotalNumVgprs: 42
; ScratchSize: 0
; MemoryBound: 0
; FloatMode: 240
; IeeeMode: 1
; LDSByteSize: 0 bytes/workgroup (compile time only)
; SGPRBlocks: 5
; VGPRBlocks: 5
; NumSGPRsForWavesPerEU: 48
; NumVGPRsForWavesPerEU: 42
; AccumOffset: 44
; Occupancy: 8
; WaveLimiterHint : 0
; COMPUTE_PGM_RSRC2:SCRATCH_EN: 0
; COMPUTE_PGM_RSRC2:USER_SGPR: 2
; COMPUTE_PGM_RSRC2:TRAP_HANDLER: 0
; COMPUTE_PGM_RSRC2:TGID_X_EN: 1
; COMPUTE_PGM_RSRC2:TGID_Y_EN: 0
; COMPUTE_PGM_RSRC2:TGID_Z_EN: 0
; COMPUTE_PGM_RSRC2:TIDIG_COMP_CNT: 0
; COMPUTE_PGM_RSRC3_GFX90A:ACCUM_OFFSET: 10
; COMPUTE_PGM_RSRC3_GFX90A:TG_SPLIT: 0
	.section	.text._ZN5aiter23act_and_mul_bias_kernelIfDF16_ifTnPFfRKT2_EXadL_ZNS_11gelu_kernelIfEEfRKT_EELi4EEEvPT0_PS8_PKT1_PS2_il,"axG",@progbits,_ZN5aiter23act_and_mul_bias_kernelIfDF16_ifTnPFfRKT2_EXadL_ZNS_11gelu_kernelIfEEfRKT_EELi4EEEvPT0_PS8_PKT1_PS2_il,comdat
	.protected	_ZN5aiter23act_and_mul_bias_kernelIfDF16_ifTnPFfRKT2_EXadL_ZNS_11gelu_kernelIfEEfRKT_EELi4EEEvPT0_PS8_PKT1_PS2_il ; -- Begin function _ZN5aiter23act_and_mul_bias_kernelIfDF16_ifTnPFfRKT2_EXadL_ZNS_11gelu_kernelIfEEfRKT_EELi4EEEvPT0_PS8_PKT1_PS2_il
	.globl	_ZN5aiter23act_and_mul_bias_kernelIfDF16_ifTnPFfRKT2_EXadL_ZNS_11gelu_kernelIfEEfRKT_EELi4EEEvPT0_PS8_PKT1_PS2_il
	.p2align	8
	.type	_ZN5aiter23act_and_mul_bias_kernelIfDF16_ifTnPFfRKT2_EXadL_ZNS_11gelu_kernelIfEEfRKT_EELi4EEEvPT0_PS8_PKT1_PS2_il,@function
_ZN5aiter23act_and_mul_bias_kernelIfDF16_ifTnPFfRKT2_EXadL_ZNS_11gelu_kernelIfEEfRKT_EELi4EEEvPT0_PS8_PKT1_PS2_il: ; @_ZN5aiter23act_and_mul_bias_kernelIfDF16_ifTnPFfRKT2_EXadL_ZNS_11gelu_kernelIfEEfRKT_EELi4EEEvPT0_PS8_PKT1_PS2_il
; %bb.0:
	s_load_dwordx2 s[4:5], s[0:1], 0x10
	s_load_dword s24, s[0:1], 0x20
	s_load_dwordx2 s[12:13], s[0:1], 0x28
	s_mov_b32 s3, 0
	s_lshl_b64 s[6:7], s[2:3], 2
	s_waitcnt lgkmcnt(0)
	s_add_u32 s4, s4, s6
	s_addc_u32 s5, s5, s7
	s_load_dword s8, s[4:5], 0x0
	s_load_dwordx2 s[6:7], s[0:1], 0x0
	s_ashr_i32 s25, s24, 31
	s_mul_hi_u32 s3, s24, s2
	s_mul_i32 s4, s25, s2
	s_add_i32 s5, s3, s4
	s_mul_i32 s4, s24, s2
	s_waitcnt lgkmcnt(0)
	s_ashr_i32 s9, s8, 31
	s_lshl_b64 s[4:5], s[4:5], 1
	s_add_u32 s4, s6, s4
	s_addc_u32 s3, s7, s5
	s_add_i32 s5, s24, 1
	s_lshr_b32 s6, s5, 31
	v_mov_b64_e32 v[2:3], s[12:13]
	v_cmp_gt_i64_e64 s[14:15], s[8:9], -1
	s_add_i32 s5, s5, s6
	v_cmp_lt_i64_e32 vcc, s[8:9], v[2:3]
	s_lshl_b32 s5, s5, 1
	s_and_b64 s[12:13], s[14:15], vcc
	s_mov_b64 s[10:11], -1
	s_and_b32 s6, s5, -4
	s_and_b32 s5, s3, 0xffff
	s_and_b64 vcc, exec, s[12:13]
	v_lshlrev_b32_e32 v16, 2, v0
	s_cbranch_vccnz .LBB440_5
; %bb.1:
	v_cmp_gt_i32_e32 vcc, s24, v16
	s_and_saveexec_b64 s[10:11], vcc
	s_cbranch_execz .LBB440_4
; %bb.2:
	s_load_dword s3, s[0:1], 0x3c
	v_mov_b32_e32 v17, 0
	s_mov_b32 s13, 0
	v_lshlrev_b32_e32 v4, 3, v0
	s_mov_b64 s[14:15], 0
	s_waitcnt lgkmcnt(0)
	s_and_b32 s3, s3, 0xffff
	s_lshl_b32 s12, s3, 2
	s_lshl_b32 s3, s3, 3
	s_mov_b32 s7, 0x20000
	v_mov_b32_e32 v0, v17
	v_mov_b32_e32 v1, v17
	v_mov_b64_e32 v[2:3], v[16:17]
.LBB440_3:                              ; =>This Inner Loop Header: Depth=1
	v_lshl_add_u64 v[2:3], s[12:13], 0, v[2:3]
	v_cmp_le_i64_e32 vcc, s[24:25], v[2:3]
	buffer_store_dwordx2 v[0:1], v4, s[4:7], 0 offen
	s_or_b64 s[14:15], vcc, s[14:15]
	v_add_u32_e32 v4, s3, v4
	s_andn2_b64 exec, exec, s[14:15]
	s_cbranch_execnz .LBB440_3
.LBB440_4:
	s_or_b64 exec, exec, s[10:11]
	s_mov_b64 s[10:11], 0
.LBB440_5:
	s_andn2_b64 vcc, exec, s[10:11]
	s_cbranch_vccnz .LBB440_25
; %bb.6:
	v_cmp_gt_i32_e32 vcc, s24, v16
	s_and_saveexec_b64 s[10:11], vcc
	s_cbranch_execz .LBB440_25
; %bb.7:
	s_load_dwordx2 s[14:15], s[0:1], 0x8
	s_load_dwordx2 s[12:13], s[0:1], 0x18
	s_mul_hi_i32 s9, s24, s8
	s_mul_i32 s8, s24, s8
	s_lshl_b32 s10, s24, 2
	s_lshl_b64 s[8:9], s[8:9], 3
	s_waitcnt lgkmcnt(0)
	s_add_u32 s12, s12, s8
	s_addc_u32 s3, s13, s9
	s_lshl_b64 s[8:9], s[24:25], 2
	s_add_u32 s16, s12, s8
	s_addc_u32 s17, s3, s9
	s_and_b32 s13, s3, 0xffff
	s_mul_i32 s3, s2, s25
	s_mul_hi_u32 s18, s2, s24
	s_add_i32 s3, s18, s3
	s_mul_i32 s2, s2, s24
	s_and_b32 s17, s17, 0xffff
	s_lshl_b64 s[2:3], s[2:3], 3
	s_add_u32 s20, s14, s2
	s_addc_u32 s2, s15, s3
	s_add_u32 s8, s20, s8
	s_addc_u32 s3, s2, s9
	s_and_b32 s21, s2, 0xffff
	s_and_b32 s9, s3, 0xffff
	s_mov_b32 s7, 0x20000
	s_add_u32 s0, s0, 48
	s_mov_b32 s11, s7
	v_mov_b32_e32 v17, 0
	s_addc_u32 s1, s1, 0
	s_mov_b64 s[2:3], 0
	s_mov_b32 s22, s10
	s_mov_b32 s23, s7
	;; [unrolled: 1-line block ×12, first 2 shown]
	v_mov_b32_e32 v18, 0x3ba10414
	s_brev_b32 s38, -2
	v_mov_b32_e32 v19, 0xb9c68948
	v_mov_b32_e32 v20, 0x7f800000
                                        ; implicit-def: $vgpr0
                                        ; implicit-def: $vgpr0
	;; [unrolled: 1-line block ×4, first 2 shown]
	s_branch .LBB440_9
.LBB440_8:                              ;   in Loop: Header=BB440_9 Depth=1
	s_or_b64 exec, exec, s[14:15]
	v_bfi_b32 v5, s38, v8, v5
	v_mul_f32_e32 v4, 0.5, v4
	v_add_f32_e32 v5, 1.0, v5
	v_add_f32_e32 v2, v2, v6
	v_bfi_b32 v6, s38, v11, v10
	v_mul_f32_e32 v4, v4, v5
	v_add_f32_e32 v3, v3, v7
	v_mul_f32_e32 v5, 0.5, v9
	v_add_f32_e32 v6, 1.0, v6
	v_mul_f32_e32 v5, v5, v6
	;;#ASMSTART
	v_pk_mul_f32 v[2:3], v[4:5], v[2:3]
	;;#ASMEND
	s_load_dword s14, s[0:1], 0xc
	v_cvt_f16_f32_e32 v2, v2
	v_cvt_f16_f32_e32 v3, v3
	;; [unrolled: 1-line block ×4, first 2 shown]
	s_waitcnt lgkmcnt(0)
	s_and_b32 s14, s14, 0xffff
	s_lshl_b32 s26, s14, 2
	v_pack_b32_f16 v1, v2, v3
	v_lshlrev_b32_e32 v2, 1, v16
	v_lshl_add_u64 v[16:17], s[26:27], 0, v[16:17]
	v_cmp_le_i64_e32 vcc, s[24:25], v[16:17]
	v_pack_b32_f16 v0, v0, v4
	s_or_b64 s[2:3], vcc, s[2:3]
	buffer_store_dwordx2 v[0:1], v2, s[4:7], 0 offen
	s_andn2_b64 exec, exec, s[2:3]
	s_cbranch_execz .LBB440_25
.LBB440_9:                              ; =>This Inner Loop Header: Depth=1
	v_lshlrev_b32_e32 v4, 2, v16
	s_mov_b32 s14, s10
	s_mov_b32 s15, s11
	buffer_load_dwordx4 v[8:11], v4, s[20:23], 0 offen
	buffer_load_dwordx4 v[0:3], v4, s[8:11], 0 offen
	;; [unrolled: 1-line block ×3, first 2 shown]
	s_mov_b32 s18, s10
	s_mov_b32 s19, s11
	buffer_load_dwordx4 v[4:7], v4, s[16:19], 0 offen
                                        ; implicit-def: $vgpr21
	s_waitcnt vmcnt(1)
	v_add_f32_e32 v8, v8, v12
	v_mul_f32_e32 v12, 0x3f3504f3, v8
	v_cmp_nlt_f32_e64 s[14:15], |v12|, 1.0
	s_and_saveexec_b64 s[18:19], s[14:15]
	s_xor_b64 s[14:15], exec, s[18:19]
	s_cbranch_execz .LBB440_11
; %bb.10:                               ;   in Loop: Header=BB440_9 Depth=1
	v_fma_f32 v21, |v12|, s28, v19
	v_fma_f32 v21, |v12|, v21, s29
	;; [unrolled: 1-line block ×6, first 2 shown]
	v_fma_f32 v21, |v12|, v21, |v12|
	v_mul_f32_e32 v22, 0xbfb8aa3b, v21
	v_fma_f32 v23, v21, s35, -v22
	v_rndne_f32_e32 v24, v22
	v_fmac_f32_e32 v23, 0xb2a5705f, v21
	v_sub_f32_e32 v22, v22, v24
	v_add_f32_e32 v22, v22, v23
	v_cvt_i32_f32_e32 v23, v24
	v_exp_f32_e32 v22, v22
	v_cmp_nlt_f32_e32 vcc, s36, v21
	v_ldexp_f32 v22, v22, v23
	s_nop 0
	v_cndmask_b32_e32 v22, 0, v22, vcc
	v_cmp_ngt_f32_e32 vcc, s37, v21
	s_nop 1
	v_cndmask_b32_e32 v21, v20, v22, vcc
	v_sub_f32_e32 v21, 1.0, v21
.LBB440_11:                             ;   in Loop: Header=BB440_9 Depth=1
	s_andn2_saveexec_b64 s[14:15], s[14:15]
; %bb.12:                               ;   in Loop: Header=BB440_9 Depth=1
	v_mul_f32_e32 v21, v12, v12
	v_fmamk_f32 v22, v21, 0xba1345e1, v18
	v_fmaak_f32 v22, v21, v22, 0xbcdac9b8
	v_fmaak_f32 v22, v21, v22, 0x3de703be
	;; [unrolled: 1-line block ×4, first 2 shown]
	v_fma_f32 v21, |v12|, v21, |v12|
; %bb.13:                               ;   in Loop: Header=BB440_9 Depth=1
	s_or_b64 exec, exec, s[14:15]
	v_add_f32_e32 v9, v9, v13
	v_mul_f32_e32 v13, 0x3f3504f3, v9
	v_cmp_nlt_f32_e64 s[14:15], |v13|, 1.0
                                        ; implicit-def: $vgpr22
	s_and_saveexec_b64 s[18:19], s[14:15]
	s_xor_b64 s[14:15], exec, s[18:19]
	s_cbranch_execz .LBB440_15
; %bb.14:                               ;   in Loop: Header=BB440_9 Depth=1
	v_fma_f32 v22, |v13|, s28, v19
	v_fma_f32 v22, |v13|, v22, s29
	;; [unrolled: 1-line block ×6, first 2 shown]
	v_fma_f32 v22, |v13|, v22, |v13|
	v_mul_f32_e32 v23, 0xbfb8aa3b, v22
	v_fma_f32 v24, v22, s35, -v23
	v_rndne_f32_e32 v25, v23
	v_fmac_f32_e32 v24, 0xb2a5705f, v22
	v_sub_f32_e32 v23, v23, v25
	v_add_f32_e32 v23, v23, v24
	v_cvt_i32_f32_e32 v24, v25
	v_exp_f32_e32 v23, v23
	v_cmp_nlt_f32_e32 vcc, s36, v22
	v_ldexp_f32 v23, v23, v24
	s_nop 0
	v_cndmask_b32_e32 v23, 0, v23, vcc
	v_cmp_ngt_f32_e32 vcc, s37, v22
	s_nop 1
	v_cndmask_b32_e32 v22, v20, v23, vcc
	v_sub_f32_e32 v22, 1.0, v22
.LBB440_15:                             ;   in Loop: Header=BB440_9 Depth=1
	s_andn2_saveexec_b64 s[14:15], s[14:15]
; %bb.16:                               ;   in Loop: Header=BB440_9 Depth=1
	v_mul_f32_e32 v22, v13, v13
	v_fmamk_f32 v23, v22, 0xba1345e1, v18
	v_fmaak_f32 v23, v22, v23, 0xbcdac9b8
	v_fmaak_f32 v23, v22, v23, 0x3de703be
	;; [unrolled: 1-line block ×4, first 2 shown]
	v_fma_f32 v22, |v13|, v22, |v13|
; %bb.17:                               ;   in Loop: Header=BB440_9 Depth=1
	s_or_b64 exec, exec, s[14:15]
	s_waitcnt vmcnt(0)
	v_add_f32_e32 v1, v1, v5
	v_bfi_b32 v5, s38, v22, v13
	v_add_f32_e32 v0, v0, v4
	v_mul_f32_e32 v4, 0.5, v9
	v_add_f32_e32 v5, 1.0, v5
	v_bfi_b32 v12, s38, v21, v12
	v_mul_f32_e32 v9, v4, v5
	v_add_f32_e32 v4, v10, v14
	v_mul_f32_e32 v8, 0.5, v8
	v_add_f32_e32 v12, 1.0, v12
	v_mul_f32_e32 v5, 0x3f3504f3, v4
	v_mul_f32_e32 v8, v8, v12
	v_cmp_nlt_f32_e64 s[14:15], |v5|, 1.0
	;;#ASMSTART
	v_pk_mul_f32 v[0:1], v[8:9], v[0:1]
	;;#ASMEND
                                        ; implicit-def: $vgpr8
	s_and_saveexec_b64 s[18:19], s[14:15]
	s_xor_b64 s[14:15], exec, s[18:19]
	s_cbranch_execz .LBB440_19
; %bb.18:                               ;   in Loop: Header=BB440_9 Depth=1
	v_fma_f32 v8, |v5|, s28, v19
	v_fma_f32 v8, |v5|, v8, s29
	;; [unrolled: 1-line block ×6, first 2 shown]
	v_fma_f32 v8, |v5|, v8, |v5|
	v_mul_f32_e32 v9, 0xbfb8aa3b, v8
	v_fma_f32 v10, v8, s35, -v9
	v_rndne_f32_e32 v12, v9
	v_fmac_f32_e32 v10, 0xb2a5705f, v8
	v_sub_f32_e32 v9, v9, v12
	v_add_f32_e32 v9, v9, v10
	v_cvt_i32_f32_e32 v10, v12
	v_exp_f32_e32 v9, v9
	v_cmp_nlt_f32_e32 vcc, s36, v8
	v_ldexp_f32 v9, v9, v10
	s_nop 0
	v_cndmask_b32_e32 v9, 0, v9, vcc
	v_cmp_ngt_f32_e32 vcc, s37, v8
	s_nop 1
	v_cndmask_b32_e32 v8, v20, v9, vcc
	v_sub_f32_e32 v8, 1.0, v8
.LBB440_19:                             ;   in Loop: Header=BB440_9 Depth=1
	s_andn2_saveexec_b64 s[14:15], s[14:15]
; %bb.20:                               ;   in Loop: Header=BB440_9 Depth=1
	v_mul_f32_e32 v8, v5, v5
	v_fmamk_f32 v9, v8, 0xba1345e1, v18
	v_fmaak_f32 v9, v8, v9, 0xbcdac9b8
	v_fmaak_f32 v9, v8, v9, 0x3de703be
	;; [unrolled: 1-line block ×4, first 2 shown]
	v_fma_f32 v8, |v5|, v8, |v5|
; %bb.21:                               ;   in Loop: Header=BB440_9 Depth=1
	s_or_b64 exec, exec, s[14:15]
	v_add_f32_e32 v9, v11, v15
	v_mul_f32_e32 v10, 0x3f3504f3, v9
	v_cmp_nlt_f32_e64 s[14:15], |v10|, 1.0
                                        ; implicit-def: $vgpr11
	s_and_saveexec_b64 s[18:19], s[14:15]
	s_xor_b64 s[14:15], exec, s[18:19]
	s_cbranch_execz .LBB440_23
; %bb.22:                               ;   in Loop: Header=BB440_9 Depth=1
	v_fma_f32 v11, |v10|, s28, v19
	v_fma_f32 v11, |v10|, v11, s29
	;; [unrolled: 1-line block ×6, first 2 shown]
	v_fma_f32 v11, |v10|, v11, |v10|
	v_mul_f32_e32 v12, 0xbfb8aa3b, v11
	v_fma_f32 v13, v11, s35, -v12
	v_rndne_f32_e32 v14, v12
	v_fmac_f32_e32 v13, 0xb2a5705f, v11
	v_sub_f32_e32 v12, v12, v14
	v_add_f32_e32 v12, v12, v13
	v_cvt_i32_f32_e32 v13, v14
	v_exp_f32_e32 v12, v12
	v_cmp_nlt_f32_e32 vcc, s36, v11
	v_ldexp_f32 v12, v12, v13
	s_nop 0
	v_cndmask_b32_e32 v12, 0, v12, vcc
	v_cmp_ngt_f32_e32 vcc, s37, v11
	s_nop 1
	v_cndmask_b32_e32 v11, v20, v12, vcc
	v_sub_f32_e32 v11, 1.0, v11
.LBB440_23:                             ;   in Loop: Header=BB440_9 Depth=1
	s_andn2_saveexec_b64 s[14:15], s[14:15]
	s_cbranch_execz .LBB440_8
; %bb.24:                               ;   in Loop: Header=BB440_9 Depth=1
	v_mul_f32_e32 v11, v10, v10
	v_fmamk_f32 v12, v11, 0xba1345e1, v18
	v_fmaak_f32 v12, v11, v12, 0xbcdac9b8
	v_fmaak_f32 v12, v11, v12, 0x3de703be
	;; [unrolled: 1-line block ×4, first 2 shown]
	v_fma_f32 v11, |v10|, v11, |v10|
	s_branch .LBB440_8
.LBB440_25:
	s_endpgm
	.section	.rodata,"a",@progbits
	.p2align	6, 0x0
	.amdhsa_kernel _ZN5aiter23act_and_mul_bias_kernelIfDF16_ifTnPFfRKT2_EXadL_ZNS_11gelu_kernelIfEEfRKT_EELi4EEEvPT0_PS8_PKT1_PS2_il
		.amdhsa_group_segment_fixed_size 0
		.amdhsa_private_segment_fixed_size 0
		.amdhsa_kernarg_size 304
		.amdhsa_user_sgpr_count 2
		.amdhsa_user_sgpr_dispatch_ptr 0
		.amdhsa_user_sgpr_queue_ptr 0
		.amdhsa_user_sgpr_kernarg_segment_ptr 1
		.amdhsa_user_sgpr_dispatch_id 0
		.amdhsa_user_sgpr_kernarg_preload_length 0
		.amdhsa_user_sgpr_kernarg_preload_offset 0
		.amdhsa_user_sgpr_private_segment_size 0
		.amdhsa_uses_dynamic_stack 0
		.amdhsa_enable_private_segment 0
		.amdhsa_system_sgpr_workgroup_id_x 1
		.amdhsa_system_sgpr_workgroup_id_y 0
		.amdhsa_system_sgpr_workgroup_id_z 0
		.amdhsa_system_sgpr_workgroup_info 0
		.amdhsa_system_vgpr_workitem_id 0
		.amdhsa_next_free_vgpr 26
		.amdhsa_next_free_sgpr 39
		.amdhsa_accum_offset 28
		.amdhsa_reserve_vcc 1
		.amdhsa_float_round_mode_32 0
		.amdhsa_float_round_mode_16_64 0
		.amdhsa_float_denorm_mode_32 3
		.amdhsa_float_denorm_mode_16_64 3
		.amdhsa_dx10_clamp 1
		.amdhsa_ieee_mode 1
		.amdhsa_fp16_overflow 0
		.amdhsa_tg_split 0
		.amdhsa_exception_fp_ieee_invalid_op 0
		.amdhsa_exception_fp_denorm_src 0
		.amdhsa_exception_fp_ieee_div_zero 0
		.amdhsa_exception_fp_ieee_overflow 0
		.amdhsa_exception_fp_ieee_underflow 0
		.amdhsa_exception_fp_ieee_inexact 0
		.amdhsa_exception_int_div_zero 0
	.end_amdhsa_kernel
	.section	.text._ZN5aiter23act_and_mul_bias_kernelIfDF16_ifTnPFfRKT2_EXadL_ZNS_11gelu_kernelIfEEfRKT_EELi4EEEvPT0_PS8_PKT1_PS2_il,"axG",@progbits,_ZN5aiter23act_and_mul_bias_kernelIfDF16_ifTnPFfRKT2_EXadL_ZNS_11gelu_kernelIfEEfRKT_EELi4EEEvPT0_PS8_PKT1_PS2_il,comdat
.Lfunc_end440:
	.size	_ZN5aiter23act_and_mul_bias_kernelIfDF16_ifTnPFfRKT2_EXadL_ZNS_11gelu_kernelIfEEfRKT_EELi4EEEvPT0_PS8_PKT1_PS2_il, .Lfunc_end440-_ZN5aiter23act_and_mul_bias_kernelIfDF16_ifTnPFfRKT2_EXadL_ZNS_11gelu_kernelIfEEfRKT_EELi4EEEvPT0_PS8_PKT1_PS2_il
                                        ; -- End function
	.section	.AMDGPU.csdata,"",@progbits
; Kernel info:
; codeLenInByte = 1760
; NumSgprs: 45
; NumVgprs: 26
; NumAgprs: 0
; TotalNumVgprs: 26
; ScratchSize: 0
; MemoryBound: 0
; FloatMode: 240
; IeeeMode: 1
; LDSByteSize: 0 bytes/workgroup (compile time only)
; SGPRBlocks: 5
; VGPRBlocks: 3
; NumSGPRsForWavesPerEU: 45
; NumVGPRsForWavesPerEU: 26
; AccumOffset: 28
; Occupancy: 8
; WaveLimiterHint : 0
; COMPUTE_PGM_RSRC2:SCRATCH_EN: 0
; COMPUTE_PGM_RSRC2:USER_SGPR: 2
; COMPUTE_PGM_RSRC2:TRAP_HANDLER: 0
; COMPUTE_PGM_RSRC2:TGID_X_EN: 1
; COMPUTE_PGM_RSRC2:TGID_Y_EN: 0
; COMPUTE_PGM_RSRC2:TGID_Z_EN: 0
; COMPUTE_PGM_RSRC2:TIDIG_COMP_CNT: 0
; COMPUTE_PGM_RSRC3_GFX90A:ACCUM_OFFSET: 6
; COMPUTE_PGM_RSRC3_GFX90A:TG_SPLIT: 0
	.section	.text._ZN5aiter23act_and_mul_bias_kernelIfDF16_ifTnPFfRKT2_EXadL_ZNS_11gelu_kernelIfEEfRKT_EELi2EEEvPT0_PS8_PKT1_PS2_il,"axG",@progbits,_ZN5aiter23act_and_mul_bias_kernelIfDF16_ifTnPFfRKT2_EXadL_ZNS_11gelu_kernelIfEEfRKT_EELi2EEEvPT0_PS8_PKT1_PS2_il,comdat
	.protected	_ZN5aiter23act_and_mul_bias_kernelIfDF16_ifTnPFfRKT2_EXadL_ZNS_11gelu_kernelIfEEfRKT_EELi2EEEvPT0_PS8_PKT1_PS2_il ; -- Begin function _ZN5aiter23act_and_mul_bias_kernelIfDF16_ifTnPFfRKT2_EXadL_ZNS_11gelu_kernelIfEEfRKT_EELi2EEEvPT0_PS8_PKT1_PS2_il
	.globl	_ZN5aiter23act_and_mul_bias_kernelIfDF16_ifTnPFfRKT2_EXadL_ZNS_11gelu_kernelIfEEfRKT_EELi2EEEvPT0_PS8_PKT1_PS2_il
	.p2align	8
	.type	_ZN5aiter23act_and_mul_bias_kernelIfDF16_ifTnPFfRKT2_EXadL_ZNS_11gelu_kernelIfEEfRKT_EELi2EEEvPT0_PS8_PKT1_PS2_il,@function
_ZN5aiter23act_and_mul_bias_kernelIfDF16_ifTnPFfRKT2_EXadL_ZNS_11gelu_kernelIfEEfRKT_EELi2EEEvPT0_PS8_PKT1_PS2_il: ; @_ZN5aiter23act_and_mul_bias_kernelIfDF16_ifTnPFfRKT2_EXadL_ZNS_11gelu_kernelIfEEfRKT_EELi2EEEvPT0_PS8_PKT1_PS2_il
; %bb.0:
	s_load_dwordx2 s[4:5], s[0:1], 0x10
	s_load_dword s24, s[0:1], 0x20
	s_load_dwordx2 s[12:13], s[0:1], 0x28
	s_mov_b32 s3, 0
	s_lshl_b64 s[6:7], s[2:3], 2
	s_waitcnt lgkmcnt(0)
	s_add_u32 s4, s4, s6
	s_addc_u32 s5, s5, s7
	s_load_dword s8, s[4:5], 0x0
	s_load_dwordx2 s[6:7], s[0:1], 0x0
	s_ashr_i32 s25, s24, 31
	s_mul_hi_u32 s3, s24, s2
	s_mul_i32 s4, s25, s2
	s_add_i32 s5, s3, s4
	s_mul_i32 s4, s24, s2
	s_waitcnt lgkmcnt(0)
	s_ashr_i32 s9, s8, 31
	s_lshl_b64 s[4:5], s[4:5], 1
	s_add_u32 s4, s6, s4
	s_addc_u32 s3, s7, s5
	s_add_i32 s5, s24, 1
	s_lshr_b32 s6, s5, 31
	v_mov_b64_e32 v[2:3], s[12:13]
	v_cmp_gt_i64_e64 s[14:15], s[8:9], -1
	s_add_i32 s5, s5, s6
	v_cmp_lt_i64_e32 vcc, s[8:9], v[2:3]
	s_lshl_b32 s5, s5, 1
	s_and_b64 s[12:13], s[14:15], vcc
	s_mov_b64 s[10:11], -1
	s_and_b32 s6, s5, -4
	s_and_b32 s5, s3, 0xffff
	s_and_b64 vcc, exec, s[12:13]
	v_lshlrev_b32_e32 v2, 1, v0
	s_cbranch_vccnz .LBB441_5
; %bb.1:
	v_cmp_gt_i32_e32 vcc, s24, v2
	s_and_saveexec_b64 s[10:11], vcc
	s_cbranch_execz .LBB441_4
; %bb.2:
	s_load_dword s3, s[0:1], 0x3c
	v_mov_b32_e32 v3, 0
	s_mov_b32 s13, 0
	v_lshlrev_b32_e32 v4, 2, v0
	s_mov_b64 s[14:15], 0
	s_waitcnt lgkmcnt(0)
	s_and_b32 s3, s3, 0xffff
	s_lshl_b32 s12, s3, 1
	s_lshl_b32 s3, s3, 2
	s_mov_b32 s7, 0x20000
	v_mov_b64_e32 v[0:1], v[2:3]
.LBB441_3:                              ; =>This Inner Loop Header: Depth=1
	v_lshl_add_u64 v[0:1], s[12:13], 0, v[0:1]
	v_cmp_le_i64_e32 vcc, s[24:25], v[0:1]
	buffer_store_dword v3, v4, s[4:7], 0 offen
	s_or_b64 s[14:15], vcc, s[14:15]
	v_add_u32_e32 v4, s3, v4
	s_andn2_b64 exec, exec, s[14:15]
	s_cbranch_execnz .LBB441_3
.LBB441_4:
	s_or_b64 exec, exec, s[10:11]
	s_mov_b64 s[10:11], 0
.LBB441_5:
	s_andn2_b64 vcc, exec, s[10:11]
	s_cbranch_vccnz .LBB441_13
; %bb.6:
	v_cmp_gt_i32_e32 vcc, s24, v2
	s_and_saveexec_b64 s[10:11], vcc
	s_cbranch_execz .LBB441_13
; %bb.7:
	s_load_dwordx2 s[14:15], s[0:1], 0x8
	s_load_dwordx2 s[12:13], s[0:1], 0x18
	s_mul_hi_i32 s9, s24, s8
	s_mul_i32 s8, s24, s8
	s_lshl_b32 s10, s24, 2
	s_lshl_b64 s[8:9], s[8:9], 3
	s_waitcnt lgkmcnt(0)
	s_add_u32 s12, s12, s8
	s_addc_u32 s3, s13, s9
	s_lshl_b64 s[8:9], s[24:25], 2
	s_add_u32 s16, s12, s8
	s_addc_u32 s17, s3, s9
	s_and_b32 s13, s3, 0xffff
	s_mul_i32 s3, s2, s25
	s_mul_hi_u32 s18, s2, s24
	s_add_i32 s3, s18, s3
	s_mul_i32 s2, s2, s24
	s_and_b32 s17, s17, 0xffff
	s_lshl_b64 s[2:3], s[2:3], 3
	s_add_u32 s20, s14, s2
	s_addc_u32 s2, s15, s3
	s_add_u32 s8, s20, s8
	s_addc_u32 s3, s2, s9
	s_and_b32 s21, s2, 0xffff
	s_and_b32 s9, s3, 0xffff
	s_mov_b32 s7, 0x20000
	s_add_u32 s0, s0, 48
	s_mov_b32 s11, s7
	v_mov_b32_e32 v3, 0
	s_addc_u32 s1, s1, 0
	s_mov_b64 s[2:3], 0
	s_mov_b32 s22, s10
	s_mov_b32 s23, s7
	s_mov_b32 s27, 0
	s_mov_b32 s28, 0x3f3504f3
	s_mov_b32 s29, 0x378e98ab
	s_mov_b32 s30, 0x3b7cd369
	s_mov_b32 s31, 0xbcc618b2
	s_mov_b32 s33, 0x3dda74e4
	s_mov_b32 s34, 0x3f228afd
	s_mov_b32 s35, 0x3e03c728
	s_mov_b32 s36, 0xbfb8aa3b
	s_mov_b32 s37, 0x42ce8ed0
	s_mov_b32 s38, 0xc2b17218
	v_mov_b32_e32 v12, 0x3ba10414
	v_mov_b32_e32 v13, 0xb9c68948
	;; [unrolled: 1-line block ×3, first 2 shown]
	s_brev_b32 s39, -2
                                        ; implicit-def: $vgpr0
                                        ; implicit-def: $vgpr0
                                        ; implicit-def: $vgpr0
                                        ; implicit-def: $vgpr0
	s_branch .LBB441_9
.LBB441_8:                              ;   in Loop: Header=BB441_9 Depth=1
	s_or_b64 exec, exec, s[14:15]
	v_fma_f32 v10, |v1|, s29, v13
	v_fma_f32 v10, |v1|, v10, s30
	;; [unrolled: 1-line block ×6, first 2 shown]
	v_fma_f32 v10, |v1|, v10, |v1|
	v_mul_f32_e32 v16, 0xbfb8aa3b, v10
	v_fma_f32 v17, v10, s36, -v16
	v_rndne_f32_e32 v18, v16
	v_fmac_f32_e32 v17, 0xb2a5705f, v10
	v_sub_f32_e32 v16, v16, v18
	v_add_f32_e32 v16, v16, v17
	v_exp_f32_e32 v16, v16
	v_cvt_i32_f32_e32 v17, v18
	s_waitcnt vmcnt(0)
	v_pk_add_f32 v[6:7], v[6:7], v[8:9]
	v_fmamk_f32 v9, v11, 0xba1345e1, v12
	v_fmaak_f32 v9, v11, v9, 0xbcdac9b8
	v_ldexp_f32 v8, v16, v17
	v_cmp_nlt_f32_e32 vcc, s37, v10
	v_fmaak_f32 v9, v11, v9, 0x3de703be
	v_fmaak_f32 v9, v11, v9, 0xbec09330
	v_cndmask_b32_e32 v8, 0, v8, vcc
	v_cmp_ngt_f32_e32 vcc, s38, v10
	v_fmaak_f32 v9, v11, v9, 0x3e0375d0
	v_fma_f32 v9, |v1|, v9, |v1|
	v_cndmask_b32_e32 v8, v14, v8, vcc
	v_sub_f32_e32 v8, 1.0, v8
	v_cmp_lt_f32_e64 vcc, |v1|, 1.0
	v_bfi_b32 v0, s39, v15, v0
	v_mul_f32_e32 v5, 0.5, v5
	v_cndmask_b32_e32 v8, v8, v9, vcc
	v_bfi_b32 v1, s39, v8, v1
	v_mul_f32_e32 v4, 0.5, v4
	v_pk_add_f32 v[0:1], v[0:1], 1.0 op_sel_hi:[1,0]
	s_nop 0
	v_pk_mul_f32 v[0:1], v[4:5], v[0:1]
	s_nop 0
	;;#ASMSTART
	v_pk_mul_f32 v[0:1], v[0:1], v[6:7]
	;;#ASMEND
	s_load_dword s14, s[0:1], 0xc
	v_cvt_f16_f32_e32 v0, v0
	v_cvt_f16_f32_e32 v1, v1
	s_waitcnt lgkmcnt(0)
	s_and_b32 s14, s14, 0xffff
	s_lshl_b32 s26, s14, 1
	v_pack_b32_f16 v0, v0, v1
	v_lshlrev_b32_e32 v1, 1, v2
	v_lshl_add_u64 v[2:3], s[26:27], 0, v[2:3]
	v_cmp_le_i64_e32 vcc, s[24:25], v[2:3]
	s_or_b64 s[2:3], vcc, s[2:3]
	buffer_store_dword v0, v1, s[4:7], 0 offen
	s_andn2_b64 exec, exec, s[2:3]
	s_cbranch_execz .LBB441_13
.LBB441_9:                              ; =>This Inner Loop Header: Depth=1
	v_lshlrev_b32_e32 v8, 2, v2
	s_mov_b32 s14, s10
	s_mov_b32 s15, s11
	buffer_load_dwordx2 v[0:1], v8, s[20:23], 0 offen
	buffer_load_dwordx2 v[6:7], v8, s[8:11], 0 offen
	;; [unrolled: 1-line block ×3, first 2 shown]
	s_mov_b32 s18, s10
	s_mov_b32 s19, s11
	buffer_load_dwordx2 v[8:9], v8, s[16:19], 0 offen
                                        ; implicit-def: $vgpr15
	s_waitcnt vmcnt(1)
	v_pk_add_f32 v[4:5], v[0:1], v[4:5]
	s_nop 0
	v_pk_mul_f32 v[0:1], v[4:5], s[28:29] op_sel_hi:[1,0]
	s_nop 0
	v_cmp_nlt_f32_e64 s[14:15], |v0|, 1.0
	s_and_saveexec_b64 s[18:19], s[14:15]
	s_xor_b64 s[14:15], exec, s[18:19]
	s_cbranch_execz .LBB441_11
; %bb.10:                               ;   in Loop: Header=BB441_9 Depth=1
	v_fma_f32 v10, |v0|, s29, v13
	v_fma_f32 v10, |v0|, v10, s30
	;; [unrolled: 1-line block ×6, first 2 shown]
	v_fma_f32 v10, |v0|, v10, |v0|
	v_mul_f32_e32 v11, 0xbfb8aa3b, v10
	v_fma_f32 v15, v10, s36, -v11
	v_rndne_f32_e32 v16, v11
	v_fmac_f32_e32 v15, 0xb2a5705f, v10
	v_sub_f32_e32 v11, v11, v16
	v_add_f32_e32 v11, v11, v15
	v_cvt_i32_f32_e32 v15, v16
	v_exp_f32_e32 v11, v11
	v_cmp_nlt_f32_e32 vcc, s37, v10
	v_ldexp_f32 v11, v11, v15
	s_nop 0
	v_cndmask_b32_e32 v11, 0, v11, vcc
	v_cmp_ngt_f32_e32 vcc, s38, v10
	s_nop 1
	v_cndmask_b32_e32 v10, v14, v11, vcc
	v_sub_f32_e32 v15, 1.0, v10
.LBB441_11:                             ;   in Loop: Header=BB441_9 Depth=1
	s_or_saveexec_b64 s[14:15], s[14:15]
	v_pk_mul_f32 v[10:11], v[0:1], v[0:1]
	s_xor_b64 exec, exec, s[14:15]
	s_cbranch_execz .LBB441_8
; %bb.12:                               ;   in Loop: Header=BB441_9 Depth=1
	v_fmamk_f32 v15, v10, 0xba1345e1, v12
	v_fmaak_f32 v15, v10, v15, 0xbcdac9b8
	v_fmaak_f32 v15, v10, v15, 0x3de703be
	v_fmaak_f32 v15, v10, v15, 0xbec09330
	v_fmaak_f32 v10, v10, v15, 0x3e0375d0
	v_fma_f32 v15, |v0|, v10, |v0|
	s_branch .LBB441_8
.LBB441_13:
	s_endpgm
	.section	.rodata,"a",@progbits
	.p2align	6, 0x0
	.amdhsa_kernel _ZN5aiter23act_and_mul_bias_kernelIfDF16_ifTnPFfRKT2_EXadL_ZNS_11gelu_kernelIfEEfRKT_EELi2EEEvPT0_PS8_PKT1_PS2_il
		.amdhsa_group_segment_fixed_size 0
		.amdhsa_private_segment_fixed_size 0
		.amdhsa_kernarg_size 304
		.amdhsa_user_sgpr_count 2
		.amdhsa_user_sgpr_dispatch_ptr 0
		.amdhsa_user_sgpr_queue_ptr 0
		.amdhsa_user_sgpr_kernarg_segment_ptr 1
		.amdhsa_user_sgpr_dispatch_id 0
		.amdhsa_user_sgpr_kernarg_preload_length 0
		.amdhsa_user_sgpr_kernarg_preload_offset 0
		.amdhsa_user_sgpr_private_segment_size 0
		.amdhsa_uses_dynamic_stack 0
		.amdhsa_enable_private_segment 0
		.amdhsa_system_sgpr_workgroup_id_x 1
		.amdhsa_system_sgpr_workgroup_id_y 0
		.amdhsa_system_sgpr_workgroup_id_z 0
		.amdhsa_system_sgpr_workgroup_info 0
		.amdhsa_system_vgpr_workitem_id 0
		.amdhsa_next_free_vgpr 19
		.amdhsa_next_free_sgpr 40
		.amdhsa_accum_offset 20
		.amdhsa_reserve_vcc 1
		.amdhsa_float_round_mode_32 0
		.amdhsa_float_round_mode_16_64 0
		.amdhsa_float_denorm_mode_32 3
		.amdhsa_float_denorm_mode_16_64 3
		.amdhsa_dx10_clamp 1
		.amdhsa_ieee_mode 1
		.amdhsa_fp16_overflow 0
		.amdhsa_tg_split 0
		.amdhsa_exception_fp_ieee_invalid_op 0
		.amdhsa_exception_fp_denorm_src 0
		.amdhsa_exception_fp_ieee_div_zero 0
		.amdhsa_exception_fp_ieee_overflow 0
		.amdhsa_exception_fp_ieee_underflow 0
		.amdhsa_exception_fp_ieee_inexact 0
		.amdhsa_exception_int_div_zero 0
	.end_amdhsa_kernel
	.section	.text._ZN5aiter23act_and_mul_bias_kernelIfDF16_ifTnPFfRKT2_EXadL_ZNS_11gelu_kernelIfEEfRKT_EELi2EEEvPT0_PS8_PKT1_PS2_il,"axG",@progbits,_ZN5aiter23act_and_mul_bias_kernelIfDF16_ifTnPFfRKT2_EXadL_ZNS_11gelu_kernelIfEEfRKT_EELi2EEEvPT0_PS8_PKT1_PS2_il,comdat
.Lfunc_end441:
	.size	_ZN5aiter23act_and_mul_bias_kernelIfDF16_ifTnPFfRKT2_EXadL_ZNS_11gelu_kernelIfEEfRKT_EELi2EEEvPT0_PS8_PKT1_PS2_il, .Lfunc_end441-_ZN5aiter23act_and_mul_bias_kernelIfDF16_ifTnPFfRKT2_EXadL_ZNS_11gelu_kernelIfEEfRKT_EELi2EEEvPT0_PS8_PKT1_PS2_il
                                        ; -- End function
	.section	.AMDGPU.csdata,"",@progbits
; Kernel info:
; codeLenInByte = 1220
; NumSgprs: 46
; NumVgprs: 19
; NumAgprs: 0
; TotalNumVgprs: 19
; ScratchSize: 0
; MemoryBound: 0
; FloatMode: 240
; IeeeMode: 1
; LDSByteSize: 0 bytes/workgroup (compile time only)
; SGPRBlocks: 5
; VGPRBlocks: 2
; NumSGPRsForWavesPerEU: 46
; NumVGPRsForWavesPerEU: 19
; AccumOffset: 20
; Occupancy: 8
; WaveLimiterHint : 0
; COMPUTE_PGM_RSRC2:SCRATCH_EN: 0
; COMPUTE_PGM_RSRC2:USER_SGPR: 2
; COMPUTE_PGM_RSRC2:TRAP_HANDLER: 0
; COMPUTE_PGM_RSRC2:TGID_X_EN: 1
; COMPUTE_PGM_RSRC2:TGID_Y_EN: 0
; COMPUTE_PGM_RSRC2:TGID_Z_EN: 0
; COMPUTE_PGM_RSRC2:TIDIG_COMP_CNT: 0
; COMPUTE_PGM_RSRC3_GFX90A:ACCUM_OFFSET: 4
; COMPUTE_PGM_RSRC3_GFX90A:TG_SPLIT: 0
	.section	.text._ZN5aiter23act_and_mul_bias_kernelIfDF16_ifTnPFfRKT2_EXadL_ZNS_11gelu_kernelIfEEfRKT_EELi1EEEvPT0_PS8_PKT1_PS2_il,"axG",@progbits,_ZN5aiter23act_and_mul_bias_kernelIfDF16_ifTnPFfRKT2_EXadL_ZNS_11gelu_kernelIfEEfRKT_EELi1EEEvPT0_PS8_PKT1_PS2_il,comdat
	.protected	_ZN5aiter23act_and_mul_bias_kernelIfDF16_ifTnPFfRKT2_EXadL_ZNS_11gelu_kernelIfEEfRKT_EELi1EEEvPT0_PS8_PKT1_PS2_il ; -- Begin function _ZN5aiter23act_and_mul_bias_kernelIfDF16_ifTnPFfRKT2_EXadL_ZNS_11gelu_kernelIfEEfRKT_EELi1EEEvPT0_PS8_PKT1_PS2_il
	.globl	_ZN5aiter23act_and_mul_bias_kernelIfDF16_ifTnPFfRKT2_EXadL_ZNS_11gelu_kernelIfEEfRKT_EELi1EEEvPT0_PS8_PKT1_PS2_il
	.p2align	8
	.type	_ZN5aiter23act_and_mul_bias_kernelIfDF16_ifTnPFfRKT2_EXadL_ZNS_11gelu_kernelIfEEfRKT_EELi1EEEvPT0_PS8_PKT1_PS2_il,@function
_ZN5aiter23act_and_mul_bias_kernelIfDF16_ifTnPFfRKT2_EXadL_ZNS_11gelu_kernelIfEEfRKT_EELi1EEEvPT0_PS8_PKT1_PS2_il: ; @_ZN5aiter23act_and_mul_bias_kernelIfDF16_ifTnPFfRKT2_EXadL_ZNS_11gelu_kernelIfEEfRKT_EELi1EEEvPT0_PS8_PKT1_PS2_il
; %bb.0:
	s_load_dwordx2 s[4:5], s[0:1], 0x10
	s_load_dword s20, s[0:1], 0x20
	s_load_dwordx2 s[14:15], s[0:1], 0x28
	s_mov_b32 s3, 0
	s_lshl_b64 s[6:7], s[2:3], 2
	s_waitcnt lgkmcnt(0)
	s_add_u32 s4, s4, s6
	s_addc_u32 s5, s5, s7
	s_load_dword s12, s[4:5], 0x0
	s_load_dwordx2 s[8:9], s[0:1], 0x0
	s_ashr_i32 s21, s20, 31
	s_mul_hi_u32 s3, s20, s2
	s_mul_i32 s10, s21, s2
	s_add_i32 s11, s3, s10
	s_mul_i32 s10, s20, s2
	s_waitcnt lgkmcnt(0)
	s_ashr_i32 s13, s12, 31
	s_lshl_b64 s[10:11], s[10:11], 1
	s_add_u32 s8, s8, s10
	s_addc_u32 s3, s9, s11
	s_add_i32 s9, s20, 1
	s_lshr_b32 s10, s9, 31
	v_mov_b64_e32 v[2:3], s[14:15]
	v_cmp_gt_i64_e64 s[4:5], s[12:13], -1
	s_add_i32 s9, s9, s10
	v_cmp_lt_i64_e32 vcc, s[12:13], v[2:3]
	s_lshl_b32 s9, s9, 1
	s_and_b64 s[4:5], s[4:5], vcc
	s_mov_b64 s[6:7], -1
	s_and_b32 s10, s9, -4
	s_and_b32 s9, s3, 0xffff
	s_and_b64 vcc, exec, s[4:5]
	v_cmp_gt_i32_e64 s[4:5], s20, v0
	s_cbranch_vccnz .LBB442_5
; %bb.1:
	s_and_saveexec_b64 s[6:7], s[4:5]
	s_cbranch_execz .LBB442_4
; %bb.2:
	s_load_dword s3, s[0:1], 0x3c
	v_mov_b32_e32 v1, 0
	s_mov_b32 s5, 0
	v_lshlrev_b32_e32 v4, 1, v0
	s_mov_b64 s[14:15], 0
	s_waitcnt lgkmcnt(0)
	s_and_b32 s4, s3, 0xffff
	s_lshl_b32 s3, s4, 1
	s_mov_b32 s11, 0x20000
	v_mov_b64_e32 v[2:3], v[0:1]
.LBB442_3:                              ; =>This Inner Loop Header: Depth=1
	v_lshl_add_u64 v[2:3], v[2:3], 0, s[4:5]
	v_cmp_le_i64_e32 vcc, s[20:21], v[2:3]
	buffer_store_short v1, v4, s[8:11], 0 offen
	s_or_b64 s[14:15], vcc, s[14:15]
	v_add_u32_e32 v4, s3, v4
	s_andn2_b64 exec, exec, s[14:15]
	s_cbranch_execnz .LBB442_3
.LBB442_4:
	s_or_b64 exec, exec, s[6:7]
	s_mov_b64 s[6:7], 0
.LBB442_5:
	s_andn2_b64 vcc, exec, s[6:7]
	s_cbranch_vccnz .LBB442_13
; %bb.6:
	v_cmp_gt_i32_e32 vcc, s20, v0
	s_and_saveexec_b64 s[4:5], vcc
	s_cbranch_execz .LBB442_13
; %bb.7:
	s_load_dwordx2 s[14:15], s[0:1], 0x8
	s_load_dwordx2 s[4:5], s[0:1], 0x18
	s_mul_hi_i32 s13, s20, s12
	s_mul_i32 s12, s20, s12
	s_lshl_b32 s6, s20, 2
	s_lshl_b64 s[12:13], s[12:13], 3
	s_waitcnt lgkmcnt(0)
	s_add_u32 s4, s4, s12
	s_load_dword s18, s[0:1], 0x3c
	s_addc_u32 s1, s5, s13
	s_lshl_b64 s[16:17], s[20:21], 2
	s_add_u32 s0, s4, s16
	s_addc_u32 s3, s1, s17
	s_and_b32 s5, s1, 0xffff
	s_and_b32 s1, s3, 0xffff
	s_mul_i32 s3, s2, s21
	s_mul_hi_u32 s12, s2, s20
	s_add_i32 s3, s12, s3
	s_mul_i32 s2, s2, s20
	s_lshl_b64 s[2:3], s[2:3], 3
	s_add_u32 s12, s14, s2
	s_addc_u32 s2, s15, s3
	s_add_u32 s16, s12, s16
	s_mov_b32 s11, 0x20000
	s_addc_u32 s3, s2, s17
	s_waitcnt lgkmcnt(0)
	s_and_b32 s22, s18, 0xffff
                                        ; implicit-def: $vgpr5
                                        ; implicit-def: $vgpr5
	;; [unrolled: 1-line block ×4, first 2 shown]
	s_mov_b32 s7, s11
	s_and_b32 s13, s2, 0xffff
	s_and_b32 s17, s3, 0xffff
	s_mov_b32 s23, 0
	v_mov_b32_e32 v1, 0
	v_lshlrev_b32_e32 v2, 1, v0
	s_lshl_b32 s26, s22, 1
	v_lshlrev_b32_e32 v3, 2, v0
	s_lshl_b32 s27, s22, 2
	s_mov_b64 s[24:25], 0
	s_mov_b32 s19, s11
	s_mov_b32 s18, s6
	;; [unrolled: 1-line block ×13, first 2 shown]
	v_mov_b32_e32 v4, 0x3ba10414
	s_brev_b32 s38, -2
	v_mov_b32_e32 v5, 0xb9c68948
	v_mov_b32_e32 v6, 0x7f800000
	s_branch .LBB442_9
.LBB442_8:                              ;   in Loop: Header=BB442_9 Depth=1
	s_or_b64 exec, exec, s[2:3]
	s_waitcnt vmcnt(0)
	v_add_f32_e32 v7, v7, v8
	v_mul_f32_e32 v8, 0.5, v9
	v_bfi_b32 v9, s38, v11, v10
	v_add_f32_e32 v9, 1.0, v9
	v_mul_f32_e32 v8, v8, v9
	v_lshl_add_u64 v[0:1], v[0:1], 0, s[22:23]
	v_fma_mixlo_f16 v7, v7, v8, 0
	v_cmp_le_i64_e32 vcc, s[20:21], v[0:1]
	buffer_store_short v7, v2, s[8:11], 0 offen
	v_add_u32_e32 v2, s26, v2
	s_or_b64 s[24:25], vcc, s[24:25]
	v_add_u32_e32 v3, s27, v3
	s_andn2_b64 exec, exec, s[24:25]
	s_cbranch_execz .LBB442_13
.LBB442_9:                              ; =>This Inner Loop Header: Depth=1
	buffer_load_dword v9, v3, s[12:15], 0 offen
	buffer_load_dword v7, v3, s[16:19], 0 offen
	;; [unrolled: 1-line block ×3, first 2 shown]
	s_mov_b32 s2, s6
	s_mov_b32 s3, s7
	buffer_load_dword v8, v3, s[0:3], 0 offen
                                        ; implicit-def: $vgpr11
	s_waitcnt vmcnt(1)
	v_add_f32_e32 v9, v9, v10
	v_mul_f32_e32 v10, 0x3f3504f3, v9
	v_cmp_nlt_f32_e64 s[2:3], |v10|, 1.0
	s_and_saveexec_b64 s[40:41], s[2:3]
	s_xor_b64 s[2:3], exec, s[40:41]
	s_cbranch_execz .LBB442_11
; %bb.10:                               ;   in Loop: Header=BB442_9 Depth=1
	v_fma_f32 v11, |v10|, s28, v5
	v_fma_f32 v11, |v10|, v11, s29
	;; [unrolled: 1-line block ×6, first 2 shown]
	v_fma_f32 v11, |v10|, v11, |v10|
	v_mul_f32_e32 v12, 0xbfb8aa3b, v11
	v_fma_f32 v13, v11, s35, -v12
	v_rndne_f32_e32 v14, v12
	v_fmac_f32_e32 v13, 0xb2a5705f, v11
	v_sub_f32_e32 v12, v12, v14
	v_add_f32_e32 v12, v12, v13
	v_cvt_i32_f32_e32 v13, v14
	v_exp_f32_e32 v12, v12
	v_cmp_nlt_f32_e32 vcc, s36, v11
	v_ldexp_f32 v12, v12, v13
	s_nop 0
	v_cndmask_b32_e32 v12, 0, v12, vcc
	v_cmp_ngt_f32_e32 vcc, s37, v11
	s_nop 1
	v_cndmask_b32_e32 v11, v6, v12, vcc
	v_sub_f32_e32 v11, 1.0, v11
.LBB442_11:                             ;   in Loop: Header=BB442_9 Depth=1
	s_andn2_saveexec_b64 s[2:3], s[2:3]
	s_cbranch_execz .LBB442_8
; %bb.12:                               ;   in Loop: Header=BB442_9 Depth=1
	v_mul_f32_e32 v11, v10, v10
	v_fmamk_f32 v12, v11, 0xba1345e1, v4
	v_fmaak_f32 v12, v11, v12, 0xbcdac9b8
	v_fmaak_f32 v12, v11, v12, 0x3de703be
	;; [unrolled: 1-line block ×4, first 2 shown]
	v_fma_f32 v11, |v10|, v11, |v10|
	s_branch .LBB442_8
.LBB442_13:
	s_endpgm
	.section	.rodata,"a",@progbits
	.p2align	6, 0x0
	.amdhsa_kernel _ZN5aiter23act_and_mul_bias_kernelIfDF16_ifTnPFfRKT2_EXadL_ZNS_11gelu_kernelIfEEfRKT_EELi1EEEvPT0_PS8_PKT1_PS2_il
		.amdhsa_group_segment_fixed_size 0
		.amdhsa_private_segment_fixed_size 0
		.amdhsa_kernarg_size 304
		.amdhsa_user_sgpr_count 2
		.amdhsa_user_sgpr_dispatch_ptr 0
		.amdhsa_user_sgpr_queue_ptr 0
		.amdhsa_user_sgpr_kernarg_segment_ptr 1
		.amdhsa_user_sgpr_dispatch_id 0
		.amdhsa_user_sgpr_kernarg_preload_length 0
		.amdhsa_user_sgpr_kernarg_preload_offset 0
		.amdhsa_user_sgpr_private_segment_size 0
		.amdhsa_uses_dynamic_stack 0
		.amdhsa_enable_private_segment 0
		.amdhsa_system_sgpr_workgroup_id_x 1
		.amdhsa_system_sgpr_workgroup_id_y 0
		.amdhsa_system_sgpr_workgroup_id_z 0
		.amdhsa_system_sgpr_workgroup_info 0
		.amdhsa_system_vgpr_workitem_id 0
		.amdhsa_next_free_vgpr 15
		.amdhsa_next_free_sgpr 42
		.amdhsa_accum_offset 16
		.amdhsa_reserve_vcc 1
		.amdhsa_float_round_mode_32 0
		.amdhsa_float_round_mode_16_64 0
		.amdhsa_float_denorm_mode_32 3
		.amdhsa_float_denorm_mode_16_64 3
		.amdhsa_dx10_clamp 1
		.amdhsa_ieee_mode 1
		.amdhsa_fp16_overflow 0
		.amdhsa_tg_split 0
		.amdhsa_exception_fp_ieee_invalid_op 0
		.amdhsa_exception_fp_denorm_src 0
		.amdhsa_exception_fp_ieee_div_zero 0
		.amdhsa_exception_fp_ieee_overflow 0
		.amdhsa_exception_fp_ieee_underflow 0
		.amdhsa_exception_fp_ieee_inexact 0
		.amdhsa_exception_int_div_zero 0
	.end_amdhsa_kernel
	.section	.text._ZN5aiter23act_and_mul_bias_kernelIfDF16_ifTnPFfRKT2_EXadL_ZNS_11gelu_kernelIfEEfRKT_EELi1EEEvPT0_PS8_PKT1_PS2_il,"axG",@progbits,_ZN5aiter23act_and_mul_bias_kernelIfDF16_ifTnPFfRKT2_EXadL_ZNS_11gelu_kernelIfEEfRKT_EELi1EEEvPT0_PS8_PKT1_PS2_il,comdat
.Lfunc_end442:
	.size	_ZN5aiter23act_and_mul_bias_kernelIfDF16_ifTnPFfRKT2_EXadL_ZNS_11gelu_kernelIfEEfRKT_EELi1EEEvPT0_PS8_PKT1_PS2_il, .Lfunc_end442-_ZN5aiter23act_and_mul_bias_kernelIfDF16_ifTnPFfRKT2_EXadL_ZNS_11gelu_kernelIfEEfRKT_EELi1EEEvPT0_PS8_PKT1_PS2_il
                                        ; -- End function
	.section	.AMDGPU.csdata,"",@progbits
; Kernel info:
; codeLenInByte = 956
; NumSgprs: 48
; NumVgprs: 15
; NumAgprs: 0
; TotalNumVgprs: 15
; ScratchSize: 0
; MemoryBound: 0
; FloatMode: 240
; IeeeMode: 1
; LDSByteSize: 0 bytes/workgroup (compile time only)
; SGPRBlocks: 5
; VGPRBlocks: 1
; NumSGPRsForWavesPerEU: 48
; NumVGPRsForWavesPerEU: 15
; AccumOffset: 16
; Occupancy: 8
; WaveLimiterHint : 0
; COMPUTE_PGM_RSRC2:SCRATCH_EN: 0
; COMPUTE_PGM_RSRC2:USER_SGPR: 2
; COMPUTE_PGM_RSRC2:TRAP_HANDLER: 0
; COMPUTE_PGM_RSRC2:TGID_X_EN: 1
; COMPUTE_PGM_RSRC2:TGID_Y_EN: 0
; COMPUTE_PGM_RSRC2:TGID_Z_EN: 0
; COMPUTE_PGM_RSRC2:TIDIG_COMP_CNT: 0
; COMPUTE_PGM_RSRC3_GFX90A:ACCUM_OFFSET: 3
; COMPUTE_PGM_RSRC3_GFX90A:TG_SPLIT: 0
	.section	.text._ZN5aiter23act_and_mul_bias_kernelIffifTnPFfRKT2_EXadL_ZNS_11gelu_kernelIfEEfRKT_EELi16EEEvPT0_PS8_PKT1_PS2_il,"axG",@progbits,_ZN5aiter23act_and_mul_bias_kernelIffifTnPFfRKT2_EXadL_ZNS_11gelu_kernelIfEEfRKT_EELi16EEEvPT0_PS8_PKT1_PS2_il,comdat
	.protected	_ZN5aiter23act_and_mul_bias_kernelIffifTnPFfRKT2_EXadL_ZNS_11gelu_kernelIfEEfRKT_EELi16EEEvPT0_PS8_PKT1_PS2_il ; -- Begin function _ZN5aiter23act_and_mul_bias_kernelIffifTnPFfRKT2_EXadL_ZNS_11gelu_kernelIfEEfRKT_EELi16EEEvPT0_PS8_PKT1_PS2_il
	.globl	_ZN5aiter23act_and_mul_bias_kernelIffifTnPFfRKT2_EXadL_ZNS_11gelu_kernelIfEEfRKT_EELi16EEEvPT0_PS8_PKT1_PS2_il
	.p2align	8
	.type	_ZN5aiter23act_and_mul_bias_kernelIffifTnPFfRKT2_EXadL_ZNS_11gelu_kernelIfEEfRKT_EELi16EEEvPT0_PS8_PKT1_PS2_il,@function
_ZN5aiter23act_and_mul_bias_kernelIffifTnPFfRKT2_EXadL_ZNS_11gelu_kernelIfEEfRKT_EELi16EEEvPT0_PS8_PKT1_PS2_il: ; @_ZN5aiter23act_and_mul_bias_kernelIffifTnPFfRKT2_EXadL_ZNS_11gelu_kernelIfEEfRKT_EELi16EEEvPT0_PS8_PKT1_PS2_il
; %bb.0:
	s_load_dword s24, s[0:1], 0x20
	s_load_dwordx2 s[4:5], s[0:1], 0x10
	s_load_dwordx2 s[12:13], s[0:1], 0x28
	s_mov_b32 s3, 0
	s_lshl_b64 s[6:7], s[2:3], 2
	s_waitcnt lgkmcnt(0)
	s_ashr_i32 s25, s24, 31
	s_add_u32 s4, s4, s6
	s_addc_u32 s5, s5, s7
	s_load_dword s8, s[4:5], 0x0
	s_load_dwordx2 s[14:15], s[0:1], 0x0
	s_mul_hi_u32 s3, s24, s2
	s_mul_i32 s4, s25, s2
	s_add_i32 s5, s3, s4
	s_mul_i32 s4, s24, s2
	s_waitcnt lgkmcnt(0)
	s_ashr_i32 s9, s8, 31
	s_lshl_b32 s6, s24, 2
	s_lshl_b64 s[4:5], s[4:5], 2
	v_mov_b64_e32 v[2:3], s[12:13]
	v_cmp_gt_i64_e64 s[16:17], s[8:9], -1
	s_add_u32 s4, s14, s4
	v_cmp_lt_i64_e32 vcc, s[8:9], v[2:3]
	s_addc_u32 s3, s15, s5
	s_and_b64 s[12:13], s[16:17], vcc
	s_mov_b64 s[10:11], -1
	s_and_b32 s5, s3, 0xffff
	s_and_b64 vcc, exec, s[12:13]
	v_lshlrev_b32_e32 v64, 4, v0
	s_cbranch_vccnz .LBB443_5
; %bb.1:
	v_cmp_gt_i32_e32 vcc, s24, v64
	s_and_saveexec_b64 s[10:11], vcc
	s_cbranch_execz .LBB443_4
; %bb.2:
	s_load_dword s3, s[0:1], 0x3c
	s_mov_b32 s13, 0
	s_mov_b32 s16, s13
	;; [unrolled: 1-line block ×3, first 2 shown]
	v_mov_b32_e32 v65, 0
	v_lshlrev_b32_e32 v6, 6, v0
	s_waitcnt lgkmcnt(0)
	s_and_b32 s3, s3, 0xffff
	s_mov_b32 s18, s13
	s_mov_b32 s19, s13
	v_mov_b64_e32 v[0:1], s[16:17]
	s_lshl_b32 s12, s3, 4
	s_lshl_b32 s3, s3, 6
	s_mov_b64 s[14:15], 0
	s_mov_b32 s7, 0x20000
	v_mov_b64_e32 v[2:3], s[18:19]
	v_mov_b64_e32 v[4:5], v[64:65]
.LBB443_3:                              ; =>This Inner Loop Header: Depth=1
	v_lshl_add_u64 v[4:5], s[12:13], 0, v[4:5]
	v_cmp_le_i64_e32 vcc, s[24:25], v[4:5]
	buffer_store_dwordx4 v[0:3], v6, s[4:7], 0 offen
	buffer_store_dwordx4 v[0:3], v6, s[4:7], 16 offen
	buffer_store_dwordx4 v[0:3], v6, s[4:7], 32 offen
	buffer_store_dwordx4 v[0:3], v6, s[4:7], 48 offen
	s_or_b64 s[14:15], vcc, s[14:15]
	v_add_u32_e32 v6, s3, v6
	s_andn2_b64 exec, exec, s[14:15]
	s_cbranch_execnz .LBB443_3
.LBB443_4:
	s_or_b64 exec, exec, s[10:11]
	s_mov_b64 s[10:11], 0
.LBB443_5:
	s_andn2_b64 vcc, exec, s[10:11]
	s_cbranch_vccnz .LBB443_73
; %bb.6:
	v_cmp_gt_i32_e32 vcc, s24, v64
	s_and_saveexec_b64 s[10:11], vcc
	s_cbranch_execz .LBB443_73
; %bb.7:
	s_load_dwordx2 s[10:11], s[0:1], 0x18
	s_load_dwordx2 s[14:15], s[0:1], 0x8
	s_mul_hi_i32 s9, s24, s8
	s_mul_i32 s8, s24, s8
	s_lshl_b64 s[8:9], s[8:9], 3
	s_waitcnt lgkmcnt(0)
	s_add_u32 s8, s10, s8
	s_addc_u32 s3, s11, s9
	s_lshl_b64 s[10:11], s[24:25], 2
	s_add_u32 s12, s8, s10
	s_addc_u32 s13, s3, s11
	s_and_b32 s9, s3, 0xffff
	s_mul_i32 s3, s2, s25
	s_mul_hi_u32 s16, s2, s24
	s_add_i32 s3, s16, s3
	s_mul_i32 s2, s2, s24
	s_and_b32 s13, s13, 0xffff
	s_lshl_b64 s[2:3], s[2:3], 3
	s_add_u32 s16, s14, s2
	s_addc_u32 s2, s15, s3
	s_add_u32 s20, s16, s10
	s_addc_u32 s3, s2, s11
	s_and_b32 s17, s2, 0xffff
	s_and_b32 s21, s3, 0xffff
	s_mov_b32 s7, 0x20000
	s_add_u32 s0, s0, 48
	v_mov_b32_e32 v65, 0
	s_addc_u32 s1, s1, 0
	s_mov_b64 s[2:3], 0
	s_mov_b32 s11, s7
	s_mov_b32 s10, s6
	;; [unrolled: 1-line block ×14, first 2 shown]
	v_mov_b32_e32 v66, 0x3ba10414
	s_brev_b32 s38, -2
	s_mov_b32 s22, s6
	s_mov_b32 s23, s7
	v_mov_b32_e32 v67, 0xb9c68948
	v_mov_b32_e32 v68, 0x7f800000
                                        ; implicit-def: $vgpr0
                                        ; implicit-def: $vgpr0
	;; [unrolled: 1-line block ×4, first 2 shown]
	s_branch .LBB443_9
.LBB443_8:                              ;   in Loop: Header=BB443_9 Depth=1
	s_or_b64 exec, exec, s[14:15]
	v_bfi_b32 v5, s38, v8, v5
	v_mul_f32_e32 v4, 0.5, v4
	v_add_f32_e32 v5, 1.0, v5
	v_add_f32_e32 v2, v2, v6
	v_bfi_b32 v6, s38, v11, v10
	v_mul_f32_e32 v4, v4, v5
	v_add_f32_e32 v3, v3, v7
	v_mul_f32_e32 v5, 0.5, v9
	v_add_f32_e32 v6, 1.0, v6
	v_mul_f32_e32 v5, v5, v6
	;;#ASMSTART
	v_pk_mul_f32 v[2:3], v[4:5], v[2:3]
	;;#ASMEND
	s_load_dword s14, s[0:1], 0xc
	buffer_store_dwordx4 v[16:19], v69, s[4:7], 0 offen
	buffer_store_dwordx4 v[36:39], v69, s[4:7], 16 offen
	;; [unrolled: 1-line block ×4, first 2 shown]
	s_waitcnt lgkmcnt(0)
	s_and_b32 s14, s14, 0xffff
	s_lshl_b32 s26, s14, 4
	v_lshl_add_u64 v[64:65], s[26:27], 0, v[64:65]
	v_cmp_le_i64_e32 vcc, s[24:25], v[64:65]
	s_or_b64 s[2:3], vcc, s[2:3]
	s_andn2_b64 exec, exec, s[2:3]
	s_cbranch_execz .LBB443_73
.LBB443_9:                              ; =>This Inner Loop Header: Depth=1
	v_lshlrev_b32_e32 v69, 2, v64
	s_mov_b32 s14, s10
	s_mov_b32 s15, s11
	buffer_load_dwordx4 v[56:59], v69, s[16:19], 0 offen
	buffer_load_dwordx4 v[44:47], v69, s[16:19], 16 offen
	;; [unrolled: 1-line block ×16, first 2 shown]
                                        ; implicit-def: $vgpr70
	s_waitcnt vmcnt(7)
	v_add_f32_e32 v56, v56, v60
	v_mul_f32_e32 v60, 0x3f3504f3, v56
	v_cmp_nlt_f32_e64 s[14:15], |v60|, 1.0
	s_and_saveexec_b64 s[40:41], s[14:15]
	s_xor_b64 s[14:15], exec, s[40:41]
	s_cbranch_execz .LBB443_11
; %bb.10:                               ;   in Loop: Header=BB443_9 Depth=1
	v_fma_f32 v70, |v60|, s28, v67
	v_fma_f32 v70, |v60|, v70, s29
	;; [unrolled: 1-line block ×6, first 2 shown]
	v_fma_f32 v70, |v60|, v70, |v60|
	v_mul_f32_e32 v71, 0xbfb8aa3b, v70
	v_fma_f32 v72, v70, s35, -v71
	v_rndne_f32_e32 v73, v71
	v_fmac_f32_e32 v72, 0xb2a5705f, v70
	v_sub_f32_e32 v71, v71, v73
	v_add_f32_e32 v71, v71, v72
	v_cvt_i32_f32_e32 v72, v73
	v_exp_f32_e32 v71, v71
	v_cmp_nlt_f32_e32 vcc, s36, v70
	v_ldexp_f32 v71, v71, v72
	s_nop 0
	v_cndmask_b32_e32 v71, 0, v71, vcc
	v_cmp_ngt_f32_e32 vcc, s37, v70
	s_nop 1
	v_cndmask_b32_e32 v70, v68, v71, vcc
	v_sub_f32_e32 v70, 1.0, v70
.LBB443_11:                             ;   in Loop: Header=BB443_9 Depth=1
	s_andn2_saveexec_b64 s[14:15], s[14:15]
; %bb.12:                               ;   in Loop: Header=BB443_9 Depth=1
	v_mul_f32_e32 v70, v60, v60
	v_fmamk_f32 v71, v70, 0xba1345e1, v66
	v_fmaak_f32 v71, v70, v71, 0xbcdac9b8
	v_fmaak_f32 v71, v70, v71, 0x3de703be
	;; [unrolled: 1-line block ×4, first 2 shown]
	v_fma_f32 v70, |v60|, v70, |v60|
; %bb.13:                               ;   in Loop: Header=BB443_9 Depth=1
	s_or_b64 exec, exec, s[14:15]
	v_add_f32_e32 v57, v57, v61
	v_mul_f32_e32 v61, 0x3f3504f3, v57
	v_cmp_nlt_f32_e64 s[14:15], |v61|, 1.0
                                        ; implicit-def: $vgpr71
	s_and_saveexec_b64 s[40:41], s[14:15]
	s_xor_b64 s[14:15], exec, s[40:41]
	s_cbranch_execz .LBB443_15
; %bb.14:                               ;   in Loop: Header=BB443_9 Depth=1
	v_fma_f32 v71, |v61|, s28, v67
	v_fma_f32 v71, |v61|, v71, s29
	;; [unrolled: 1-line block ×6, first 2 shown]
	v_fma_f32 v71, |v61|, v71, |v61|
	v_mul_f32_e32 v72, 0xbfb8aa3b, v71
	v_fma_f32 v73, v71, s35, -v72
	v_rndne_f32_e32 v74, v72
	v_fmac_f32_e32 v73, 0xb2a5705f, v71
	v_sub_f32_e32 v72, v72, v74
	v_add_f32_e32 v72, v72, v73
	v_cvt_i32_f32_e32 v73, v74
	v_exp_f32_e32 v72, v72
	v_cmp_nlt_f32_e32 vcc, s36, v71
	v_ldexp_f32 v72, v72, v73
	s_nop 0
	v_cndmask_b32_e32 v72, 0, v72, vcc
	v_cmp_ngt_f32_e32 vcc, s37, v71
	s_nop 1
	v_cndmask_b32_e32 v71, v68, v72, vcc
	v_sub_f32_e32 v71, 1.0, v71
.LBB443_15:                             ;   in Loop: Header=BB443_9 Depth=1
	s_andn2_saveexec_b64 s[14:15], s[14:15]
; %bb.16:                               ;   in Loop: Header=BB443_9 Depth=1
	v_mul_f32_e32 v71, v61, v61
	v_fmamk_f32 v72, v71, 0xba1345e1, v66
	v_fmaak_f32 v72, v71, v72, 0xbcdac9b8
	v_fmaak_f32 v72, v71, v72, 0x3de703be
	v_fmaak_f32 v72, v71, v72, 0xbec09330
	v_fmaak_f32 v71, v71, v72, 0x3e0375d0
	v_fma_f32 v71, |v61|, v71, |v61|
; %bb.17:                               ;   in Loop: Header=BB443_9 Depth=1
	s_or_b64 exec, exec, s[14:15]
	s_waitcnt vmcnt(3)
	v_add_f32_e32 v17, v17, v53
	v_bfi_b32 v53, s38, v71, v61
	v_add_f32_e32 v16, v16, v52
	v_mul_f32_e32 v52, 0.5, v57
	v_add_f32_e32 v53, 1.0, v53
	v_bfi_b32 v60, s38, v70, v60
	v_mul_f32_e32 v57, v52, v53
	v_add_f32_e32 v52, v58, v62
	v_mul_f32_e32 v56, 0.5, v56
	v_add_f32_e32 v60, 1.0, v60
	v_mul_f32_e32 v53, 0x3f3504f3, v52
	v_mul_f32_e32 v56, v56, v60
	v_cmp_nlt_f32_e64 s[14:15], |v53|, 1.0
	;;#ASMSTART
	v_pk_mul_f32 v[16:17], v[56:57], v[16:17]
	;;#ASMEND
                                        ; implicit-def: $vgpr56
	s_and_saveexec_b64 s[40:41], s[14:15]
	s_xor_b64 s[14:15], exec, s[40:41]
	s_cbranch_execz .LBB443_19
; %bb.18:                               ;   in Loop: Header=BB443_9 Depth=1
	v_fma_f32 v56, |v53|, s28, v67
	v_fma_f32 v56, |v53|, v56, s29
	;; [unrolled: 1-line block ×6, first 2 shown]
	v_fma_f32 v56, |v53|, v56, |v53|
	v_mul_f32_e32 v57, 0xbfb8aa3b, v56
	v_fma_f32 v58, v56, s35, -v57
	v_rndne_f32_e32 v60, v57
	v_fmac_f32_e32 v58, 0xb2a5705f, v56
	v_sub_f32_e32 v57, v57, v60
	v_add_f32_e32 v57, v57, v58
	v_cvt_i32_f32_e32 v58, v60
	v_exp_f32_e32 v57, v57
	v_cmp_nlt_f32_e32 vcc, s36, v56
	v_ldexp_f32 v57, v57, v58
	s_nop 0
	v_cndmask_b32_e32 v57, 0, v57, vcc
	v_cmp_ngt_f32_e32 vcc, s37, v56
	s_nop 1
	v_cndmask_b32_e32 v56, v68, v57, vcc
	v_sub_f32_e32 v56, 1.0, v56
.LBB443_19:                             ;   in Loop: Header=BB443_9 Depth=1
	s_andn2_saveexec_b64 s[14:15], s[14:15]
; %bb.20:                               ;   in Loop: Header=BB443_9 Depth=1
	v_mul_f32_e32 v56, v53, v53
	v_fmamk_f32 v57, v56, 0xba1345e1, v66
	v_fmaak_f32 v57, v56, v57, 0xbcdac9b8
	v_fmaak_f32 v57, v56, v57, 0x3de703be
	;; [unrolled: 1-line block ×4, first 2 shown]
	v_fma_f32 v56, |v53|, v56, |v53|
; %bb.21:                               ;   in Loop: Header=BB443_9 Depth=1
	s_or_b64 exec, exec, s[14:15]
	v_add_f32_e32 v57, v59, v63
	v_mul_f32_e32 v58, 0x3f3504f3, v57
	v_cmp_nlt_f32_e64 s[14:15], |v58|, 1.0
                                        ; implicit-def: $vgpr59
	s_and_saveexec_b64 s[40:41], s[14:15]
	s_xor_b64 s[14:15], exec, s[40:41]
	s_cbranch_execz .LBB443_23
; %bb.22:                               ;   in Loop: Header=BB443_9 Depth=1
	v_fma_f32 v59, |v58|, s28, v67
	v_fma_f32 v59, |v58|, v59, s29
	;; [unrolled: 1-line block ×6, first 2 shown]
	v_fma_f32 v59, |v58|, v59, |v58|
	v_mul_f32_e32 v60, 0xbfb8aa3b, v59
	v_fma_f32 v61, v59, s35, -v60
	v_rndne_f32_e32 v62, v60
	v_fmac_f32_e32 v61, 0xb2a5705f, v59
	v_sub_f32_e32 v60, v60, v62
	v_add_f32_e32 v60, v60, v61
	v_cvt_i32_f32_e32 v61, v62
	v_exp_f32_e32 v60, v60
	v_cmp_nlt_f32_e32 vcc, s36, v59
	v_ldexp_f32 v60, v60, v61
	s_nop 0
	v_cndmask_b32_e32 v60, 0, v60, vcc
	v_cmp_ngt_f32_e32 vcc, s37, v59
	s_nop 1
	v_cndmask_b32_e32 v59, v68, v60, vcc
	v_sub_f32_e32 v59, 1.0, v59
.LBB443_23:                             ;   in Loop: Header=BB443_9 Depth=1
	s_andn2_saveexec_b64 s[14:15], s[14:15]
; %bb.24:                               ;   in Loop: Header=BB443_9 Depth=1
	v_mul_f32_e32 v59, v58, v58
	v_fmamk_f32 v60, v59, 0xba1345e1, v66
	v_fmaak_f32 v60, v59, v60, 0xbcdac9b8
	v_fmaak_f32 v60, v59, v60, 0x3de703be
	v_fmaak_f32 v60, v59, v60, 0xbec09330
	v_fmaak_f32 v59, v59, v60, 0x3e0375d0
	v_fma_f32 v59, |v58|, v59, |v58|
; %bb.25:                               ;   in Loop: Header=BB443_9 Depth=1
	s_or_b64 exec, exec, s[14:15]
	v_bfi_b32 v53, s38, v56, v53
	v_add_f32_e32 v44, v44, v48
	v_mul_f32_e32 v52, 0.5, v52
	v_add_f32_e32 v53, 1.0, v53
	v_add_f32_e32 v18, v18, v54
	v_bfi_b32 v54, s38, v59, v58
	v_mul_f32_e32 v48, 0x3f3504f3, v44
	v_mul_f32_e32 v52, v52, v53
	v_add_f32_e32 v19, v19, v55
	v_mul_f32_e32 v53, 0.5, v57
	v_add_f32_e32 v54, 1.0, v54
	v_cmp_nlt_f32_e64 s[14:15], |v48|, 1.0
	v_mul_f32_e32 v53, v53, v54
	;;#ASMSTART
	v_pk_mul_f32 v[18:19], v[52:53], v[18:19]
	;;#ASMEND
                                        ; implicit-def: $vgpr52
	s_and_saveexec_b64 s[40:41], s[14:15]
	s_xor_b64 s[14:15], exec, s[40:41]
	s_cbranch_execz .LBB443_27
; %bb.26:                               ;   in Loop: Header=BB443_9 Depth=1
	v_fma_f32 v52, |v48|, s28, v67
	v_fma_f32 v52, |v48|, v52, s29
	;; [unrolled: 1-line block ×6, first 2 shown]
	v_fma_f32 v52, |v48|, v52, |v48|
	v_mul_f32_e32 v53, 0xbfb8aa3b, v52
	v_fma_f32 v54, v52, s35, -v53
	v_rndne_f32_e32 v55, v53
	v_fmac_f32_e32 v54, 0xb2a5705f, v52
	v_sub_f32_e32 v53, v53, v55
	v_add_f32_e32 v53, v53, v54
	v_cvt_i32_f32_e32 v54, v55
	v_exp_f32_e32 v53, v53
	v_cmp_nlt_f32_e32 vcc, s36, v52
	v_ldexp_f32 v53, v53, v54
	s_nop 0
	v_cndmask_b32_e32 v53, 0, v53, vcc
	v_cmp_ngt_f32_e32 vcc, s37, v52
	s_nop 1
	v_cndmask_b32_e32 v52, v68, v53, vcc
	v_sub_f32_e32 v52, 1.0, v52
.LBB443_27:                             ;   in Loop: Header=BB443_9 Depth=1
	s_andn2_saveexec_b64 s[14:15], s[14:15]
; %bb.28:                               ;   in Loop: Header=BB443_9 Depth=1
	v_mul_f32_e32 v52, v48, v48
	v_fmamk_f32 v53, v52, 0xba1345e1, v66
	v_fmaak_f32 v53, v52, v53, 0xbcdac9b8
	v_fmaak_f32 v53, v52, v53, 0x3de703be
	;; [unrolled: 1-line block ×4, first 2 shown]
	v_fma_f32 v52, |v48|, v52, |v48|
; %bb.29:                               ;   in Loop: Header=BB443_9 Depth=1
	s_or_b64 exec, exec, s[14:15]
	v_add_f32_e32 v45, v45, v49
	v_mul_f32_e32 v49, 0x3f3504f3, v45
	v_cmp_nlt_f32_e64 s[14:15], |v49|, 1.0
                                        ; implicit-def: $vgpr53
	s_and_saveexec_b64 s[40:41], s[14:15]
	s_xor_b64 s[14:15], exec, s[40:41]
	s_cbranch_execz .LBB443_31
; %bb.30:                               ;   in Loop: Header=BB443_9 Depth=1
	v_fma_f32 v53, |v49|, s28, v67
	v_fma_f32 v53, |v49|, v53, s29
	;; [unrolled: 1-line block ×6, first 2 shown]
	v_fma_f32 v53, |v49|, v53, |v49|
	v_mul_f32_e32 v54, 0xbfb8aa3b, v53
	v_fma_f32 v55, v53, s35, -v54
	v_rndne_f32_e32 v56, v54
	v_fmac_f32_e32 v55, 0xb2a5705f, v53
	v_sub_f32_e32 v54, v54, v56
	v_add_f32_e32 v54, v54, v55
	v_cvt_i32_f32_e32 v55, v56
	v_exp_f32_e32 v54, v54
	v_cmp_nlt_f32_e32 vcc, s36, v53
	v_ldexp_f32 v54, v54, v55
	s_nop 0
	v_cndmask_b32_e32 v54, 0, v54, vcc
	v_cmp_ngt_f32_e32 vcc, s37, v53
	s_nop 1
	v_cndmask_b32_e32 v53, v68, v54, vcc
	v_sub_f32_e32 v53, 1.0, v53
.LBB443_31:                             ;   in Loop: Header=BB443_9 Depth=1
	s_andn2_saveexec_b64 s[14:15], s[14:15]
; %bb.32:                               ;   in Loop: Header=BB443_9 Depth=1
	v_mul_f32_e32 v53, v49, v49
	v_fmamk_f32 v54, v53, 0xba1345e1, v66
	v_fmaak_f32 v54, v53, v54, 0xbcdac9b8
	v_fmaak_f32 v54, v53, v54, 0x3de703be
	;; [unrolled: 1-line block ×4, first 2 shown]
	v_fma_f32 v53, |v49|, v53, |v49|
; %bb.33:                               ;   in Loop: Header=BB443_9 Depth=1
	s_or_b64 exec, exec, s[14:15]
	s_waitcnt vmcnt(2)
	v_add_f32_e32 v37, v37, v41
	v_bfi_b32 v41, s38, v53, v49
	v_add_f32_e32 v36, v36, v40
	v_mul_f32_e32 v40, 0.5, v45
	v_add_f32_e32 v41, 1.0, v41
	v_bfi_b32 v48, s38, v52, v48
	v_mul_f32_e32 v45, v40, v41
	v_add_f32_e32 v40, v46, v50
	v_mul_f32_e32 v44, 0.5, v44
	v_add_f32_e32 v48, 1.0, v48
	v_mul_f32_e32 v41, 0x3f3504f3, v40
	v_mul_f32_e32 v44, v44, v48
	v_cmp_nlt_f32_e64 s[14:15], |v41|, 1.0
	;;#ASMSTART
	v_pk_mul_f32 v[36:37], v[44:45], v[36:37]
	;;#ASMEND
                                        ; implicit-def: $vgpr44
	s_and_saveexec_b64 s[40:41], s[14:15]
	s_xor_b64 s[14:15], exec, s[40:41]
	s_cbranch_execz .LBB443_35
; %bb.34:                               ;   in Loop: Header=BB443_9 Depth=1
	v_fma_f32 v44, |v41|, s28, v67
	v_fma_f32 v44, |v41|, v44, s29
	;; [unrolled: 1-line block ×6, first 2 shown]
	v_fma_f32 v44, |v41|, v44, |v41|
	v_mul_f32_e32 v45, 0xbfb8aa3b, v44
	v_fma_f32 v46, v44, s35, -v45
	v_rndne_f32_e32 v48, v45
	v_fmac_f32_e32 v46, 0xb2a5705f, v44
	v_sub_f32_e32 v45, v45, v48
	v_add_f32_e32 v45, v45, v46
	v_cvt_i32_f32_e32 v46, v48
	v_exp_f32_e32 v45, v45
	v_cmp_nlt_f32_e32 vcc, s36, v44
	v_ldexp_f32 v45, v45, v46
	s_nop 0
	v_cndmask_b32_e32 v45, 0, v45, vcc
	v_cmp_ngt_f32_e32 vcc, s37, v44
	s_nop 1
	v_cndmask_b32_e32 v44, v68, v45, vcc
	v_sub_f32_e32 v44, 1.0, v44
.LBB443_35:                             ;   in Loop: Header=BB443_9 Depth=1
	s_andn2_saveexec_b64 s[14:15], s[14:15]
; %bb.36:                               ;   in Loop: Header=BB443_9 Depth=1
	v_mul_f32_e32 v44, v41, v41
	v_fmamk_f32 v45, v44, 0xba1345e1, v66
	v_fmaak_f32 v45, v44, v45, 0xbcdac9b8
	v_fmaak_f32 v45, v44, v45, 0x3de703be
	;; [unrolled: 1-line block ×4, first 2 shown]
	v_fma_f32 v44, |v41|, v44, |v41|
; %bb.37:                               ;   in Loop: Header=BB443_9 Depth=1
	s_or_b64 exec, exec, s[14:15]
	v_add_f32_e32 v45, v47, v51
	v_mul_f32_e32 v46, 0x3f3504f3, v45
	v_cmp_nlt_f32_e64 s[14:15], |v46|, 1.0
                                        ; implicit-def: $vgpr47
	s_and_saveexec_b64 s[40:41], s[14:15]
	s_xor_b64 s[14:15], exec, s[40:41]
	s_cbranch_execz .LBB443_39
; %bb.38:                               ;   in Loop: Header=BB443_9 Depth=1
	v_fma_f32 v47, |v46|, s28, v67
	v_fma_f32 v47, |v46|, v47, s29
	;; [unrolled: 1-line block ×6, first 2 shown]
	v_fma_f32 v47, |v46|, v47, |v46|
	v_mul_f32_e32 v48, 0xbfb8aa3b, v47
	v_fma_f32 v49, v47, s35, -v48
	v_rndne_f32_e32 v50, v48
	v_fmac_f32_e32 v49, 0xb2a5705f, v47
	v_sub_f32_e32 v48, v48, v50
	v_add_f32_e32 v48, v48, v49
	v_cvt_i32_f32_e32 v49, v50
	v_exp_f32_e32 v48, v48
	v_cmp_nlt_f32_e32 vcc, s36, v47
	v_ldexp_f32 v48, v48, v49
	s_nop 0
	v_cndmask_b32_e32 v48, 0, v48, vcc
	v_cmp_ngt_f32_e32 vcc, s37, v47
	s_nop 1
	v_cndmask_b32_e32 v47, v68, v48, vcc
	v_sub_f32_e32 v47, 1.0, v47
.LBB443_39:                             ;   in Loop: Header=BB443_9 Depth=1
	s_andn2_saveexec_b64 s[14:15], s[14:15]
; %bb.40:                               ;   in Loop: Header=BB443_9 Depth=1
	v_mul_f32_e32 v47, v46, v46
	v_fmamk_f32 v48, v47, 0xba1345e1, v66
	v_fmaak_f32 v48, v47, v48, 0xbcdac9b8
	v_fmaak_f32 v48, v47, v48, 0x3de703be
	;; [unrolled: 1-line block ×4, first 2 shown]
	v_fma_f32 v47, |v46|, v47, |v46|
; %bb.41:                               ;   in Loop: Header=BB443_9 Depth=1
	s_or_b64 exec, exec, s[14:15]
	v_bfi_b32 v41, s38, v44, v41
	v_add_f32_e32 v28, v28, v32
	v_mul_f32_e32 v40, 0.5, v40
	v_add_f32_e32 v41, 1.0, v41
	v_add_f32_e32 v38, v38, v42
	v_bfi_b32 v42, s38, v47, v46
	v_mul_f32_e32 v32, 0x3f3504f3, v28
	v_mul_f32_e32 v40, v40, v41
	v_add_f32_e32 v39, v39, v43
	v_mul_f32_e32 v41, 0.5, v45
	v_add_f32_e32 v42, 1.0, v42
	v_cmp_nlt_f32_e64 s[14:15], |v32|, 1.0
	v_mul_f32_e32 v41, v41, v42
	;;#ASMSTART
	v_pk_mul_f32 v[38:39], v[40:41], v[38:39]
	;;#ASMEND
                                        ; implicit-def: $vgpr40
	s_and_saveexec_b64 s[40:41], s[14:15]
	s_xor_b64 s[14:15], exec, s[40:41]
	s_cbranch_execz .LBB443_43
; %bb.42:                               ;   in Loop: Header=BB443_9 Depth=1
	v_fma_f32 v40, |v32|, s28, v67
	v_fma_f32 v40, |v32|, v40, s29
	;; [unrolled: 1-line block ×6, first 2 shown]
	v_fma_f32 v40, |v32|, v40, |v32|
	v_mul_f32_e32 v41, 0xbfb8aa3b, v40
	v_fma_f32 v42, v40, s35, -v41
	v_rndne_f32_e32 v43, v41
	v_fmac_f32_e32 v42, 0xb2a5705f, v40
	v_sub_f32_e32 v41, v41, v43
	v_add_f32_e32 v41, v41, v42
	v_cvt_i32_f32_e32 v42, v43
	v_exp_f32_e32 v41, v41
	v_cmp_nlt_f32_e32 vcc, s36, v40
	v_ldexp_f32 v41, v41, v42
	s_nop 0
	v_cndmask_b32_e32 v41, 0, v41, vcc
	v_cmp_ngt_f32_e32 vcc, s37, v40
	s_nop 1
	v_cndmask_b32_e32 v40, v68, v41, vcc
	v_sub_f32_e32 v40, 1.0, v40
.LBB443_43:                             ;   in Loop: Header=BB443_9 Depth=1
	s_andn2_saveexec_b64 s[14:15], s[14:15]
; %bb.44:                               ;   in Loop: Header=BB443_9 Depth=1
	v_mul_f32_e32 v40, v32, v32
	v_fmamk_f32 v41, v40, 0xba1345e1, v66
	v_fmaak_f32 v41, v40, v41, 0xbcdac9b8
	v_fmaak_f32 v41, v40, v41, 0x3de703be
	;; [unrolled: 1-line block ×4, first 2 shown]
	v_fma_f32 v40, |v32|, v40, |v32|
; %bb.45:                               ;   in Loop: Header=BB443_9 Depth=1
	s_or_b64 exec, exec, s[14:15]
	v_add_f32_e32 v29, v29, v33
	v_mul_f32_e32 v33, 0x3f3504f3, v29
	v_cmp_nlt_f32_e64 s[14:15], |v33|, 1.0
                                        ; implicit-def: $vgpr41
	s_and_saveexec_b64 s[40:41], s[14:15]
	s_xor_b64 s[14:15], exec, s[40:41]
	s_cbranch_execz .LBB443_47
; %bb.46:                               ;   in Loop: Header=BB443_9 Depth=1
	v_fma_f32 v41, |v33|, s28, v67
	v_fma_f32 v41, |v33|, v41, s29
	;; [unrolled: 1-line block ×6, first 2 shown]
	v_fma_f32 v41, |v33|, v41, |v33|
	v_mul_f32_e32 v42, 0xbfb8aa3b, v41
	v_fma_f32 v43, v41, s35, -v42
	v_rndne_f32_e32 v44, v42
	v_fmac_f32_e32 v43, 0xb2a5705f, v41
	v_sub_f32_e32 v42, v42, v44
	v_add_f32_e32 v42, v42, v43
	v_cvt_i32_f32_e32 v43, v44
	v_exp_f32_e32 v42, v42
	v_cmp_nlt_f32_e32 vcc, s36, v41
	v_ldexp_f32 v42, v42, v43
	s_nop 0
	v_cndmask_b32_e32 v42, 0, v42, vcc
	v_cmp_ngt_f32_e32 vcc, s37, v41
	s_nop 1
	v_cndmask_b32_e32 v41, v68, v42, vcc
	v_sub_f32_e32 v41, 1.0, v41
.LBB443_47:                             ;   in Loop: Header=BB443_9 Depth=1
	s_andn2_saveexec_b64 s[14:15], s[14:15]
; %bb.48:                               ;   in Loop: Header=BB443_9 Depth=1
	v_mul_f32_e32 v41, v33, v33
	v_fmamk_f32 v42, v41, 0xba1345e1, v66
	v_fmaak_f32 v42, v41, v42, 0xbcdac9b8
	v_fmaak_f32 v42, v41, v42, 0x3de703be
	;; [unrolled: 1-line block ×4, first 2 shown]
	v_fma_f32 v41, |v33|, v41, |v33|
; %bb.49:                               ;   in Loop: Header=BB443_9 Depth=1
	s_or_b64 exec, exec, s[14:15]
	s_waitcnt vmcnt(1)
	v_add_f32_e32 v21, v21, v25
	v_bfi_b32 v25, s38, v41, v33
	v_add_f32_e32 v20, v20, v24
	v_mul_f32_e32 v24, 0.5, v29
	v_add_f32_e32 v25, 1.0, v25
	v_bfi_b32 v32, s38, v40, v32
	v_mul_f32_e32 v29, v24, v25
	v_add_f32_e32 v24, v30, v34
	v_mul_f32_e32 v28, 0.5, v28
	v_add_f32_e32 v32, 1.0, v32
	v_mul_f32_e32 v25, 0x3f3504f3, v24
	v_mul_f32_e32 v28, v28, v32
	v_cmp_nlt_f32_e64 s[14:15], |v25|, 1.0
	;;#ASMSTART
	v_pk_mul_f32 v[20:21], v[28:29], v[20:21]
	;;#ASMEND
                                        ; implicit-def: $vgpr28
	s_and_saveexec_b64 s[40:41], s[14:15]
	s_xor_b64 s[14:15], exec, s[40:41]
	s_cbranch_execz .LBB443_51
; %bb.50:                               ;   in Loop: Header=BB443_9 Depth=1
	v_fma_f32 v28, |v25|, s28, v67
	v_fma_f32 v28, |v25|, v28, s29
	;; [unrolled: 1-line block ×6, first 2 shown]
	v_fma_f32 v28, |v25|, v28, |v25|
	v_mul_f32_e32 v29, 0xbfb8aa3b, v28
	v_fma_f32 v30, v28, s35, -v29
	v_rndne_f32_e32 v32, v29
	v_fmac_f32_e32 v30, 0xb2a5705f, v28
	v_sub_f32_e32 v29, v29, v32
	v_add_f32_e32 v29, v29, v30
	v_cvt_i32_f32_e32 v30, v32
	v_exp_f32_e32 v29, v29
	v_cmp_nlt_f32_e32 vcc, s36, v28
	v_ldexp_f32 v29, v29, v30
	s_nop 0
	v_cndmask_b32_e32 v29, 0, v29, vcc
	v_cmp_ngt_f32_e32 vcc, s37, v28
	s_nop 1
	v_cndmask_b32_e32 v28, v68, v29, vcc
	v_sub_f32_e32 v28, 1.0, v28
.LBB443_51:                             ;   in Loop: Header=BB443_9 Depth=1
	s_andn2_saveexec_b64 s[14:15], s[14:15]
; %bb.52:                               ;   in Loop: Header=BB443_9 Depth=1
	v_mul_f32_e32 v28, v25, v25
	v_fmamk_f32 v29, v28, 0xba1345e1, v66
	v_fmaak_f32 v29, v28, v29, 0xbcdac9b8
	v_fmaak_f32 v29, v28, v29, 0x3de703be
	;; [unrolled: 1-line block ×4, first 2 shown]
	v_fma_f32 v28, |v25|, v28, |v25|
; %bb.53:                               ;   in Loop: Header=BB443_9 Depth=1
	s_or_b64 exec, exec, s[14:15]
	v_add_f32_e32 v29, v31, v35
	v_mul_f32_e32 v30, 0x3f3504f3, v29
	v_cmp_nlt_f32_e64 s[14:15], |v30|, 1.0
                                        ; implicit-def: $vgpr31
	s_and_saveexec_b64 s[40:41], s[14:15]
	s_xor_b64 s[14:15], exec, s[40:41]
	s_cbranch_execz .LBB443_55
; %bb.54:                               ;   in Loop: Header=BB443_9 Depth=1
	v_fma_f32 v31, |v30|, s28, v67
	v_fma_f32 v31, |v30|, v31, s29
	;; [unrolled: 1-line block ×6, first 2 shown]
	v_fma_f32 v31, |v30|, v31, |v30|
	v_mul_f32_e32 v32, 0xbfb8aa3b, v31
	v_fma_f32 v33, v31, s35, -v32
	v_rndne_f32_e32 v34, v32
	v_fmac_f32_e32 v33, 0xb2a5705f, v31
	v_sub_f32_e32 v32, v32, v34
	v_add_f32_e32 v32, v32, v33
	v_cvt_i32_f32_e32 v33, v34
	v_exp_f32_e32 v32, v32
	v_cmp_nlt_f32_e32 vcc, s36, v31
	v_ldexp_f32 v32, v32, v33
	s_nop 0
	v_cndmask_b32_e32 v32, 0, v32, vcc
	v_cmp_ngt_f32_e32 vcc, s37, v31
	s_nop 1
	v_cndmask_b32_e32 v31, v68, v32, vcc
	v_sub_f32_e32 v31, 1.0, v31
.LBB443_55:                             ;   in Loop: Header=BB443_9 Depth=1
	s_andn2_saveexec_b64 s[14:15], s[14:15]
; %bb.56:                               ;   in Loop: Header=BB443_9 Depth=1
	v_mul_f32_e32 v31, v30, v30
	v_fmamk_f32 v32, v31, 0xba1345e1, v66
	v_fmaak_f32 v32, v31, v32, 0xbcdac9b8
	v_fmaak_f32 v32, v31, v32, 0x3de703be
	;; [unrolled: 1-line block ×4, first 2 shown]
	v_fma_f32 v31, |v30|, v31, |v30|
; %bb.57:                               ;   in Loop: Header=BB443_9 Depth=1
	s_or_b64 exec, exec, s[14:15]
	v_bfi_b32 v25, s38, v28, v25
	v_add_f32_e32 v8, v8, v12
	v_mul_f32_e32 v24, 0.5, v24
	v_add_f32_e32 v25, 1.0, v25
	v_add_f32_e32 v22, v22, v26
	v_bfi_b32 v26, s38, v31, v30
	v_mul_f32_e32 v12, 0x3f3504f3, v8
	v_mul_f32_e32 v24, v24, v25
	v_add_f32_e32 v23, v23, v27
	v_mul_f32_e32 v25, 0.5, v29
	v_add_f32_e32 v26, 1.0, v26
	v_cmp_nlt_f32_e64 s[14:15], |v12|, 1.0
	v_mul_f32_e32 v25, v25, v26
	;;#ASMSTART
	v_pk_mul_f32 v[22:23], v[24:25], v[22:23]
	;;#ASMEND
                                        ; implicit-def: $vgpr24
	s_and_saveexec_b64 s[40:41], s[14:15]
	s_xor_b64 s[14:15], exec, s[40:41]
	s_cbranch_execz .LBB443_59
; %bb.58:                               ;   in Loop: Header=BB443_9 Depth=1
	v_fma_f32 v24, |v12|, s28, v67
	v_fma_f32 v24, |v12|, v24, s29
	;; [unrolled: 1-line block ×6, first 2 shown]
	v_fma_f32 v24, |v12|, v24, |v12|
	v_mul_f32_e32 v25, 0xbfb8aa3b, v24
	v_fma_f32 v26, v24, s35, -v25
	v_rndne_f32_e32 v27, v25
	v_fmac_f32_e32 v26, 0xb2a5705f, v24
	v_sub_f32_e32 v25, v25, v27
	v_add_f32_e32 v25, v25, v26
	v_cvt_i32_f32_e32 v26, v27
	v_exp_f32_e32 v25, v25
	v_cmp_nlt_f32_e32 vcc, s36, v24
	v_ldexp_f32 v25, v25, v26
	s_nop 0
	v_cndmask_b32_e32 v25, 0, v25, vcc
	v_cmp_ngt_f32_e32 vcc, s37, v24
	s_nop 1
	v_cndmask_b32_e32 v24, v68, v25, vcc
	v_sub_f32_e32 v24, 1.0, v24
.LBB443_59:                             ;   in Loop: Header=BB443_9 Depth=1
	s_andn2_saveexec_b64 s[14:15], s[14:15]
; %bb.60:                               ;   in Loop: Header=BB443_9 Depth=1
	v_mul_f32_e32 v24, v12, v12
	v_fmamk_f32 v25, v24, 0xba1345e1, v66
	v_fmaak_f32 v25, v24, v25, 0xbcdac9b8
	v_fmaak_f32 v25, v24, v25, 0x3de703be
	;; [unrolled: 1-line block ×4, first 2 shown]
	v_fma_f32 v24, |v12|, v24, |v12|
; %bb.61:                               ;   in Loop: Header=BB443_9 Depth=1
	s_or_b64 exec, exec, s[14:15]
	v_add_f32_e32 v9, v9, v13
	v_mul_f32_e32 v13, 0x3f3504f3, v9
	v_cmp_nlt_f32_e64 s[14:15], |v13|, 1.0
                                        ; implicit-def: $vgpr25
	s_and_saveexec_b64 s[40:41], s[14:15]
	s_xor_b64 s[14:15], exec, s[40:41]
	s_cbranch_execz .LBB443_63
; %bb.62:                               ;   in Loop: Header=BB443_9 Depth=1
	v_fma_f32 v25, |v13|, s28, v67
	v_fma_f32 v25, |v13|, v25, s29
	;; [unrolled: 1-line block ×6, first 2 shown]
	v_fma_f32 v25, |v13|, v25, |v13|
	v_mul_f32_e32 v26, 0xbfb8aa3b, v25
	v_fma_f32 v27, v25, s35, -v26
	v_rndne_f32_e32 v28, v26
	v_fmac_f32_e32 v27, 0xb2a5705f, v25
	v_sub_f32_e32 v26, v26, v28
	v_add_f32_e32 v26, v26, v27
	v_cvt_i32_f32_e32 v27, v28
	v_exp_f32_e32 v26, v26
	v_cmp_nlt_f32_e32 vcc, s36, v25
	v_ldexp_f32 v26, v26, v27
	s_nop 0
	v_cndmask_b32_e32 v26, 0, v26, vcc
	v_cmp_ngt_f32_e32 vcc, s37, v25
	s_nop 1
	v_cndmask_b32_e32 v25, v68, v26, vcc
	v_sub_f32_e32 v25, 1.0, v25
.LBB443_63:                             ;   in Loop: Header=BB443_9 Depth=1
	s_andn2_saveexec_b64 s[14:15], s[14:15]
; %bb.64:                               ;   in Loop: Header=BB443_9 Depth=1
	v_mul_f32_e32 v25, v13, v13
	v_fmamk_f32 v26, v25, 0xba1345e1, v66
	v_fmaak_f32 v26, v25, v26, 0xbcdac9b8
	v_fmaak_f32 v26, v25, v26, 0x3de703be
	;; [unrolled: 1-line block ×4, first 2 shown]
	v_fma_f32 v25, |v13|, v25, |v13|
; %bb.65:                               ;   in Loop: Header=BB443_9 Depth=1
	s_or_b64 exec, exec, s[14:15]
	s_waitcnt vmcnt(0)
	v_add_f32_e32 v1, v1, v5
	v_bfi_b32 v5, s38, v25, v13
	v_add_f32_e32 v0, v0, v4
	v_mul_f32_e32 v4, 0.5, v9
	v_add_f32_e32 v5, 1.0, v5
	v_bfi_b32 v12, s38, v24, v12
	v_mul_f32_e32 v9, v4, v5
	v_add_f32_e32 v4, v10, v14
	v_mul_f32_e32 v8, 0.5, v8
	v_add_f32_e32 v12, 1.0, v12
	v_mul_f32_e32 v5, 0x3f3504f3, v4
	v_mul_f32_e32 v8, v8, v12
	v_cmp_nlt_f32_e64 s[14:15], |v5|, 1.0
	;;#ASMSTART
	v_pk_mul_f32 v[0:1], v[8:9], v[0:1]
	;;#ASMEND
                                        ; implicit-def: $vgpr8
	s_and_saveexec_b64 s[40:41], s[14:15]
	s_xor_b64 s[14:15], exec, s[40:41]
	s_cbranch_execz .LBB443_67
; %bb.66:                               ;   in Loop: Header=BB443_9 Depth=1
	v_fma_f32 v8, |v5|, s28, v67
	v_fma_f32 v8, |v5|, v8, s29
	;; [unrolled: 1-line block ×6, first 2 shown]
	v_fma_f32 v8, |v5|, v8, |v5|
	v_mul_f32_e32 v9, 0xbfb8aa3b, v8
	v_fma_f32 v10, v8, s35, -v9
	v_rndne_f32_e32 v12, v9
	v_fmac_f32_e32 v10, 0xb2a5705f, v8
	v_sub_f32_e32 v9, v9, v12
	v_add_f32_e32 v9, v9, v10
	v_cvt_i32_f32_e32 v10, v12
	v_exp_f32_e32 v9, v9
	v_cmp_nlt_f32_e32 vcc, s36, v8
	v_ldexp_f32 v9, v9, v10
	s_nop 0
	v_cndmask_b32_e32 v9, 0, v9, vcc
	v_cmp_ngt_f32_e32 vcc, s37, v8
	s_nop 1
	v_cndmask_b32_e32 v8, v68, v9, vcc
	v_sub_f32_e32 v8, 1.0, v8
.LBB443_67:                             ;   in Loop: Header=BB443_9 Depth=1
	s_andn2_saveexec_b64 s[14:15], s[14:15]
; %bb.68:                               ;   in Loop: Header=BB443_9 Depth=1
	v_mul_f32_e32 v8, v5, v5
	v_fmamk_f32 v9, v8, 0xba1345e1, v66
	v_fmaak_f32 v9, v8, v9, 0xbcdac9b8
	v_fmaak_f32 v9, v8, v9, 0x3de703be
	;; [unrolled: 1-line block ×4, first 2 shown]
	v_fma_f32 v8, |v5|, v8, |v5|
; %bb.69:                               ;   in Loop: Header=BB443_9 Depth=1
	s_or_b64 exec, exec, s[14:15]
	v_add_f32_e32 v9, v11, v15
	v_mul_f32_e32 v10, 0x3f3504f3, v9
	v_cmp_nlt_f32_e64 s[14:15], |v10|, 1.0
                                        ; implicit-def: $vgpr11
	s_and_saveexec_b64 s[40:41], s[14:15]
	s_xor_b64 s[14:15], exec, s[40:41]
	s_cbranch_execz .LBB443_71
; %bb.70:                               ;   in Loop: Header=BB443_9 Depth=1
	v_fma_f32 v11, |v10|, s28, v67
	v_fma_f32 v11, |v10|, v11, s29
	;; [unrolled: 1-line block ×6, first 2 shown]
	v_fma_f32 v11, |v10|, v11, |v10|
	v_mul_f32_e32 v12, 0xbfb8aa3b, v11
	v_fma_f32 v13, v11, s35, -v12
	v_rndne_f32_e32 v14, v12
	v_fmac_f32_e32 v13, 0xb2a5705f, v11
	v_sub_f32_e32 v12, v12, v14
	v_add_f32_e32 v12, v12, v13
	v_cvt_i32_f32_e32 v13, v14
	v_exp_f32_e32 v12, v12
	v_cmp_nlt_f32_e32 vcc, s36, v11
	v_ldexp_f32 v12, v12, v13
	s_nop 0
	v_cndmask_b32_e32 v12, 0, v12, vcc
	v_cmp_ngt_f32_e32 vcc, s37, v11
	s_nop 1
	v_cndmask_b32_e32 v11, v68, v12, vcc
	v_sub_f32_e32 v11, 1.0, v11
.LBB443_71:                             ;   in Loop: Header=BB443_9 Depth=1
	s_andn2_saveexec_b64 s[14:15], s[14:15]
	s_cbranch_execz .LBB443_8
; %bb.72:                               ;   in Loop: Header=BB443_9 Depth=1
	v_mul_f32_e32 v11, v10, v10
	v_fmamk_f32 v12, v11, 0xba1345e1, v66
	v_fmaak_f32 v12, v11, v12, 0xbcdac9b8
	v_fmaak_f32 v12, v11, v12, 0x3de703be
	;; [unrolled: 1-line block ×4, first 2 shown]
	v_fma_f32 v11, |v10|, v11, |v10|
	s_branch .LBB443_8
.LBB443_73:
	s_endpgm
	.section	.rodata,"a",@progbits
	.p2align	6, 0x0
	.amdhsa_kernel _ZN5aiter23act_and_mul_bias_kernelIffifTnPFfRKT2_EXadL_ZNS_11gelu_kernelIfEEfRKT_EELi16EEEvPT0_PS8_PKT1_PS2_il
		.amdhsa_group_segment_fixed_size 0
		.amdhsa_private_segment_fixed_size 0
		.amdhsa_kernarg_size 304
		.amdhsa_user_sgpr_count 2
		.amdhsa_user_sgpr_dispatch_ptr 0
		.amdhsa_user_sgpr_queue_ptr 0
		.amdhsa_user_sgpr_kernarg_segment_ptr 1
		.amdhsa_user_sgpr_dispatch_id 0
		.amdhsa_user_sgpr_kernarg_preload_length 0
		.amdhsa_user_sgpr_kernarg_preload_offset 0
		.amdhsa_user_sgpr_private_segment_size 0
		.amdhsa_uses_dynamic_stack 0
		.amdhsa_enable_private_segment 0
		.amdhsa_system_sgpr_workgroup_id_x 1
		.amdhsa_system_sgpr_workgroup_id_y 0
		.amdhsa_system_sgpr_workgroup_id_z 0
		.amdhsa_system_sgpr_workgroup_info 0
		.amdhsa_system_vgpr_workitem_id 0
		.amdhsa_next_free_vgpr 75
		.amdhsa_next_free_sgpr 42
		.amdhsa_accum_offset 76
		.amdhsa_reserve_vcc 1
		.amdhsa_float_round_mode_32 0
		.amdhsa_float_round_mode_16_64 0
		.amdhsa_float_denorm_mode_32 3
		.amdhsa_float_denorm_mode_16_64 3
		.amdhsa_dx10_clamp 1
		.amdhsa_ieee_mode 1
		.amdhsa_fp16_overflow 0
		.amdhsa_tg_split 0
		.amdhsa_exception_fp_ieee_invalid_op 0
		.amdhsa_exception_fp_denorm_src 0
		.amdhsa_exception_fp_ieee_div_zero 0
		.amdhsa_exception_fp_ieee_overflow 0
		.amdhsa_exception_fp_ieee_underflow 0
		.amdhsa_exception_fp_ieee_inexact 0
		.amdhsa_exception_int_div_zero 0
	.end_amdhsa_kernel
	.section	.text._ZN5aiter23act_and_mul_bias_kernelIffifTnPFfRKT2_EXadL_ZNS_11gelu_kernelIfEEfRKT_EELi16EEEvPT0_PS8_PKT1_PS2_il,"axG",@progbits,_ZN5aiter23act_and_mul_bias_kernelIffifTnPFfRKT2_EXadL_ZNS_11gelu_kernelIfEEfRKT_EELi16EEEvPT0_PS8_PKT1_PS2_il,comdat
.Lfunc_end443:
	.size	_ZN5aiter23act_and_mul_bias_kernelIffifTnPFfRKT2_EXadL_ZNS_11gelu_kernelIfEEfRKT_EELi16EEEvPT0_PS8_PKT1_PS2_il, .Lfunc_end443-_ZN5aiter23act_and_mul_bias_kernelIffifTnPFfRKT2_EXadL_ZNS_11gelu_kernelIfEEfRKT_EELi16EEEvPT0_PS8_PKT1_PS2_il
                                        ; -- End function
	.section	.AMDGPU.csdata,"",@progbits
; Kernel info:
; codeLenInByte = 4952
; NumSgprs: 48
; NumVgprs: 75
; NumAgprs: 0
; TotalNumVgprs: 75
; ScratchSize: 0
; MemoryBound: 0
; FloatMode: 240
; IeeeMode: 1
; LDSByteSize: 0 bytes/workgroup (compile time only)
; SGPRBlocks: 5
; VGPRBlocks: 9
; NumSGPRsForWavesPerEU: 48
; NumVGPRsForWavesPerEU: 75
; AccumOffset: 76
; Occupancy: 6
; WaveLimiterHint : 0
; COMPUTE_PGM_RSRC2:SCRATCH_EN: 0
; COMPUTE_PGM_RSRC2:USER_SGPR: 2
; COMPUTE_PGM_RSRC2:TRAP_HANDLER: 0
; COMPUTE_PGM_RSRC2:TGID_X_EN: 1
; COMPUTE_PGM_RSRC2:TGID_Y_EN: 0
; COMPUTE_PGM_RSRC2:TGID_Z_EN: 0
; COMPUTE_PGM_RSRC2:TIDIG_COMP_CNT: 0
; COMPUTE_PGM_RSRC3_GFX90A:ACCUM_OFFSET: 18
; COMPUTE_PGM_RSRC3_GFX90A:TG_SPLIT: 0
	.section	.text._ZN5aiter23act_and_mul_bias_kernelIffifTnPFfRKT2_EXadL_ZNS_11gelu_kernelIfEEfRKT_EELi8EEEvPT0_PS8_PKT1_PS2_il,"axG",@progbits,_ZN5aiter23act_and_mul_bias_kernelIffifTnPFfRKT2_EXadL_ZNS_11gelu_kernelIfEEfRKT_EELi8EEEvPT0_PS8_PKT1_PS2_il,comdat
	.protected	_ZN5aiter23act_and_mul_bias_kernelIffifTnPFfRKT2_EXadL_ZNS_11gelu_kernelIfEEfRKT_EELi8EEEvPT0_PS8_PKT1_PS2_il ; -- Begin function _ZN5aiter23act_and_mul_bias_kernelIffifTnPFfRKT2_EXadL_ZNS_11gelu_kernelIfEEfRKT_EELi8EEEvPT0_PS8_PKT1_PS2_il
	.globl	_ZN5aiter23act_and_mul_bias_kernelIffifTnPFfRKT2_EXadL_ZNS_11gelu_kernelIfEEfRKT_EELi8EEEvPT0_PS8_PKT1_PS2_il
	.p2align	8
	.type	_ZN5aiter23act_and_mul_bias_kernelIffifTnPFfRKT2_EXadL_ZNS_11gelu_kernelIfEEfRKT_EELi8EEEvPT0_PS8_PKT1_PS2_il,@function
_ZN5aiter23act_and_mul_bias_kernelIffifTnPFfRKT2_EXadL_ZNS_11gelu_kernelIfEEfRKT_EELi8EEEvPT0_PS8_PKT1_PS2_il: ; @_ZN5aiter23act_and_mul_bias_kernelIffifTnPFfRKT2_EXadL_ZNS_11gelu_kernelIfEEfRKT_EELi8EEEvPT0_PS8_PKT1_PS2_il
; %bb.0:
	s_load_dword s24, s[0:1], 0x20
	s_load_dwordx2 s[4:5], s[0:1], 0x10
	s_load_dwordx2 s[12:13], s[0:1], 0x28
	s_mov_b32 s3, 0
	s_lshl_b64 s[6:7], s[2:3], 2
	s_waitcnt lgkmcnt(0)
	s_ashr_i32 s25, s24, 31
	s_add_u32 s4, s4, s6
	s_addc_u32 s5, s5, s7
	s_load_dword s8, s[4:5], 0x0
	s_load_dwordx2 s[14:15], s[0:1], 0x0
	s_mul_hi_u32 s3, s24, s2
	s_mul_i32 s4, s25, s2
	s_add_i32 s5, s3, s4
	s_mul_i32 s4, s24, s2
	s_waitcnt lgkmcnt(0)
	s_ashr_i32 s9, s8, 31
	s_lshl_b32 s6, s24, 2
	s_lshl_b64 s[4:5], s[4:5], 2
	v_mov_b64_e32 v[2:3], s[12:13]
	v_cmp_gt_i64_e64 s[16:17], s[8:9], -1
	s_add_u32 s4, s14, s4
	v_cmp_lt_i64_e32 vcc, s[8:9], v[2:3]
	s_addc_u32 s3, s15, s5
	s_and_b64 s[12:13], s[16:17], vcc
	s_mov_b64 s[10:11], -1
	s_and_b32 s5, s3, 0xffff
	s_and_b64 vcc, exec, s[12:13]
	v_lshlrev_b32_e32 v32, 3, v0
	s_cbranch_vccnz .LBB444_5
; %bb.1:
	v_cmp_gt_i32_e32 vcc, s24, v32
	s_and_saveexec_b64 s[10:11], vcc
	s_cbranch_execz .LBB444_4
; %bb.2:
	s_load_dword s3, s[0:1], 0x3c
	s_mov_b32 s13, 0
	s_mov_b32 s16, s13
	;; [unrolled: 1-line block ×3, first 2 shown]
	v_mov_b32_e32 v33, 0
	v_lshlrev_b32_e32 v6, 5, v0
	s_waitcnt lgkmcnt(0)
	s_and_b32 s3, s3, 0xffff
	s_mov_b32 s18, s13
	s_mov_b32 s19, s13
	v_mov_b64_e32 v[0:1], s[16:17]
	s_lshl_b32 s12, s3, 3
	s_lshl_b32 s3, s3, 5
	s_mov_b64 s[14:15], 0
	s_mov_b32 s7, 0x20000
	v_mov_b64_e32 v[2:3], s[18:19]
	v_mov_b64_e32 v[4:5], v[32:33]
.LBB444_3:                              ; =>This Inner Loop Header: Depth=1
	v_lshl_add_u64 v[4:5], s[12:13], 0, v[4:5]
	v_cmp_le_i64_e32 vcc, s[24:25], v[4:5]
	buffer_store_dwordx4 v[0:3], v6, s[4:7], 0 offen
	buffer_store_dwordx4 v[0:3], v6, s[4:7], 16 offen
	s_or_b64 s[14:15], vcc, s[14:15]
	v_add_u32_e32 v6, s3, v6
	s_andn2_b64 exec, exec, s[14:15]
	s_cbranch_execnz .LBB444_3
.LBB444_4:
	s_or_b64 exec, exec, s[10:11]
	s_mov_b64 s[10:11], 0
.LBB444_5:
	s_andn2_b64 vcc, exec, s[10:11]
	s_cbranch_vccnz .LBB444_41
; %bb.6:
	v_cmp_gt_i32_e32 vcc, s24, v32
	s_and_saveexec_b64 s[10:11], vcc
	s_cbranch_execz .LBB444_41
; %bb.7:
	s_load_dwordx2 s[10:11], s[0:1], 0x18
	s_load_dwordx2 s[14:15], s[0:1], 0x8
	s_mul_hi_i32 s9, s24, s8
	s_mul_i32 s8, s24, s8
	s_lshl_b64 s[8:9], s[8:9], 3
	s_waitcnt lgkmcnt(0)
	s_add_u32 s8, s10, s8
	s_addc_u32 s3, s11, s9
	s_lshl_b64 s[18:19], s[24:25], 2
	s_add_u32 s12, s8, s18
	s_addc_u32 s13, s3, s19
	s_and_b32 s9, s3, 0xffff
	s_mul_i32 s3, s2, s25
	s_mul_hi_u32 s16, s2, s24
	s_add_i32 s3, s16, s3
	s_mul_i32 s2, s2, s24
	s_and_b32 s13, s13, 0xffff
	s_lshl_b64 s[2:3], s[2:3], 3
	s_add_u32 s16, s14, s2
	s_addc_u32 s2, s15, s3
	s_add_u32 s20, s16, s18
	s_addc_u32 s3, s2, s19
	s_and_b32 s17, s2, 0xffff
	s_and_b32 s21, s3, 0xffff
	s_mov_b32 s7, 0x20000
	s_add_u32 s0, s0, 48
	s_mov_b64 s[10:11], s[6:7]
	v_mov_b32_e32 v33, 0
	s_addc_u32 s1, s1, 0
	s_mov_b64 s[2:3], 0
	s_mov_b32 s18, s6
	s_mov_b32 s19, s7
	;; [unrolled: 1-line block ×12, first 2 shown]
	v_mov_b32_e32 v34, 0x3ba10414
	s_brev_b32 s38, -2
	s_mov_b32 s22, s6
	s_mov_b32 s23, s7
	v_mov_b32_e32 v35, 0xb9c68948
	v_mov_b32_e32 v36, 0x7f800000
                                        ; implicit-def: $vgpr0
                                        ; implicit-def: $vgpr0
	;; [unrolled: 1-line block ×4, first 2 shown]
	s_branch .LBB444_9
.LBB444_8:                              ;   in Loop: Header=BB444_9 Depth=1
	s_or_b64 exec, exec, s[14:15]
	v_bfi_b32 v5, s38, v8, v5
	v_mul_f32_e32 v4, 0.5, v4
	v_add_f32_e32 v5, 1.0, v5
	v_add_f32_e32 v2, v2, v6
	v_bfi_b32 v6, s38, v11, v10
	v_mul_f32_e32 v4, v4, v5
	v_add_f32_e32 v3, v3, v7
	v_mul_f32_e32 v5, 0.5, v9
	v_add_f32_e32 v6, 1.0, v6
	v_mul_f32_e32 v5, v5, v6
	;;#ASMSTART
	v_pk_mul_f32 v[2:3], v[4:5], v[2:3]
	;;#ASMEND
	s_load_dword s14, s[0:1], 0xc
	buffer_store_dwordx4 v[16:19], v37, s[4:7], 0 offen
	buffer_store_dwordx4 v[0:3], v37, s[4:7], 16 offen
	s_waitcnt lgkmcnt(0)
	s_and_b32 s14, s14, 0xffff
	s_lshl_b32 s26, s14, 3
	v_lshl_add_u64 v[32:33], s[26:27], 0, v[32:33]
	v_cmp_le_i64_e32 vcc, s[24:25], v[32:33]
	s_or_b64 s[2:3], vcc, s[2:3]
	s_andn2_b64 exec, exec, s[2:3]
	s_cbranch_execz .LBB444_41
.LBB444_9:                              ; =>This Inner Loop Header: Depth=1
	v_lshlrev_b32_e32 v37, 2, v32
	buffer_load_dwordx4 v[24:27], v37, s[16:19], 0 offen
	buffer_load_dwordx4 v[8:11], v37, s[16:19], 16 offen
	;; [unrolled: 1-line block ×6, first 2 shown]
	s_mov_b32 s14, s10
	s_mov_b32 s15, s11
	buffer_load_dwordx4 v[20:23], v37, s[12:15], 0 offen
	buffer_load_dwordx4 v[4:7], v37, s[12:15], 16 offen
                                        ; implicit-def: $vgpr38
	s_waitcnt vmcnt(3)
	v_add_f32_e32 v24, v24, v28
	v_mul_f32_e32 v28, 0x3f3504f3, v24
	v_cmp_nlt_f32_e64 s[14:15], |v28|, 1.0
	s_and_saveexec_b64 s[40:41], s[14:15]
	s_xor_b64 s[14:15], exec, s[40:41]
	s_cbranch_execz .LBB444_11
; %bb.10:                               ;   in Loop: Header=BB444_9 Depth=1
	v_fma_f32 v38, |v28|, s28, v35
	v_fma_f32 v38, |v28|, v38, s29
	;; [unrolled: 1-line block ×6, first 2 shown]
	v_fma_f32 v38, |v28|, v38, |v28|
	v_mul_f32_e32 v39, 0xbfb8aa3b, v38
	v_fma_f32 v40, v38, s35, -v39
	v_rndne_f32_e32 v41, v39
	v_fmac_f32_e32 v40, 0xb2a5705f, v38
	v_sub_f32_e32 v39, v39, v41
	v_add_f32_e32 v39, v39, v40
	v_cvt_i32_f32_e32 v40, v41
	v_exp_f32_e32 v39, v39
	v_cmp_nlt_f32_e32 vcc, s36, v38
	v_ldexp_f32 v39, v39, v40
	s_nop 0
	v_cndmask_b32_e32 v39, 0, v39, vcc
	v_cmp_ngt_f32_e32 vcc, s37, v38
	s_nop 1
	v_cndmask_b32_e32 v38, v36, v39, vcc
	v_sub_f32_e32 v38, 1.0, v38
.LBB444_11:                             ;   in Loop: Header=BB444_9 Depth=1
	s_andn2_saveexec_b64 s[14:15], s[14:15]
; %bb.12:                               ;   in Loop: Header=BB444_9 Depth=1
	v_mul_f32_e32 v38, v28, v28
	v_fmamk_f32 v39, v38, 0xba1345e1, v34
	v_fmaak_f32 v39, v38, v39, 0xbcdac9b8
	v_fmaak_f32 v39, v38, v39, 0x3de703be
	;; [unrolled: 1-line block ×4, first 2 shown]
	v_fma_f32 v38, |v28|, v38, |v28|
; %bb.13:                               ;   in Loop: Header=BB444_9 Depth=1
	s_or_b64 exec, exec, s[14:15]
	v_add_f32_e32 v25, v25, v29
	v_mul_f32_e32 v29, 0x3f3504f3, v25
	v_cmp_nlt_f32_e64 s[14:15], |v29|, 1.0
                                        ; implicit-def: $vgpr39
	s_and_saveexec_b64 s[40:41], s[14:15]
	s_xor_b64 s[14:15], exec, s[40:41]
	s_cbranch_execz .LBB444_15
; %bb.14:                               ;   in Loop: Header=BB444_9 Depth=1
	v_fma_f32 v39, |v29|, s28, v35
	v_fma_f32 v39, |v29|, v39, s29
	;; [unrolled: 1-line block ×6, first 2 shown]
	v_fma_f32 v39, |v29|, v39, |v29|
	v_mul_f32_e32 v40, 0xbfb8aa3b, v39
	v_fma_f32 v41, v39, s35, -v40
	v_rndne_f32_e32 v42, v40
	v_fmac_f32_e32 v41, 0xb2a5705f, v39
	v_sub_f32_e32 v40, v40, v42
	v_add_f32_e32 v40, v40, v41
	v_cvt_i32_f32_e32 v41, v42
	v_exp_f32_e32 v40, v40
	v_cmp_nlt_f32_e32 vcc, s36, v39
	v_ldexp_f32 v40, v40, v41
	s_nop 0
	v_cndmask_b32_e32 v40, 0, v40, vcc
	v_cmp_ngt_f32_e32 vcc, s37, v39
	s_nop 1
	v_cndmask_b32_e32 v39, v36, v40, vcc
	v_sub_f32_e32 v39, 1.0, v39
.LBB444_15:                             ;   in Loop: Header=BB444_9 Depth=1
	s_andn2_saveexec_b64 s[14:15], s[14:15]
; %bb.16:                               ;   in Loop: Header=BB444_9 Depth=1
	v_mul_f32_e32 v39, v29, v29
	v_fmamk_f32 v40, v39, 0xba1345e1, v34
	v_fmaak_f32 v40, v39, v40, 0xbcdac9b8
	v_fmaak_f32 v40, v39, v40, 0x3de703be
	;; [unrolled: 1-line block ×4, first 2 shown]
	v_fma_f32 v39, |v29|, v39, |v29|
; %bb.17:                               ;   in Loop: Header=BB444_9 Depth=1
	s_or_b64 exec, exec, s[14:15]
	s_waitcnt vmcnt(1)
	v_add_f32_e32 v17, v17, v21
	v_bfi_b32 v21, s38, v39, v29
	v_add_f32_e32 v16, v16, v20
	v_mul_f32_e32 v20, 0.5, v25
	v_add_f32_e32 v21, 1.0, v21
	v_bfi_b32 v28, s38, v38, v28
	v_mul_f32_e32 v25, v20, v21
	v_add_f32_e32 v20, v26, v30
	v_mul_f32_e32 v24, 0.5, v24
	v_add_f32_e32 v28, 1.0, v28
	v_mul_f32_e32 v21, 0x3f3504f3, v20
	v_mul_f32_e32 v24, v24, v28
	v_cmp_nlt_f32_e64 s[14:15], |v21|, 1.0
	;;#ASMSTART
	v_pk_mul_f32 v[16:17], v[24:25], v[16:17]
	;;#ASMEND
                                        ; implicit-def: $vgpr24
	s_and_saveexec_b64 s[40:41], s[14:15]
	s_xor_b64 s[14:15], exec, s[40:41]
	s_cbranch_execz .LBB444_19
; %bb.18:                               ;   in Loop: Header=BB444_9 Depth=1
	v_fma_f32 v24, |v21|, s28, v35
	v_fma_f32 v24, |v21|, v24, s29
	;; [unrolled: 1-line block ×6, first 2 shown]
	v_fma_f32 v24, |v21|, v24, |v21|
	v_mul_f32_e32 v25, 0xbfb8aa3b, v24
	v_fma_f32 v26, v24, s35, -v25
	v_rndne_f32_e32 v28, v25
	v_fmac_f32_e32 v26, 0xb2a5705f, v24
	v_sub_f32_e32 v25, v25, v28
	v_add_f32_e32 v25, v25, v26
	v_cvt_i32_f32_e32 v26, v28
	v_exp_f32_e32 v25, v25
	v_cmp_nlt_f32_e32 vcc, s36, v24
	v_ldexp_f32 v25, v25, v26
	s_nop 0
	v_cndmask_b32_e32 v25, 0, v25, vcc
	v_cmp_ngt_f32_e32 vcc, s37, v24
	s_nop 1
	v_cndmask_b32_e32 v24, v36, v25, vcc
	v_sub_f32_e32 v24, 1.0, v24
.LBB444_19:                             ;   in Loop: Header=BB444_9 Depth=1
	s_andn2_saveexec_b64 s[14:15], s[14:15]
; %bb.20:                               ;   in Loop: Header=BB444_9 Depth=1
	v_mul_f32_e32 v24, v21, v21
	v_fmamk_f32 v25, v24, 0xba1345e1, v34
	v_fmaak_f32 v25, v24, v25, 0xbcdac9b8
	v_fmaak_f32 v25, v24, v25, 0x3de703be
	v_fmaak_f32 v25, v24, v25, 0xbec09330
	v_fmaak_f32 v24, v24, v25, 0x3e0375d0
	v_fma_f32 v24, |v21|, v24, |v21|
; %bb.21:                               ;   in Loop: Header=BB444_9 Depth=1
	s_or_b64 exec, exec, s[14:15]
	v_add_f32_e32 v25, v27, v31
	v_mul_f32_e32 v26, 0x3f3504f3, v25
	v_cmp_nlt_f32_e64 s[14:15], |v26|, 1.0
                                        ; implicit-def: $vgpr27
	s_and_saveexec_b64 s[40:41], s[14:15]
	s_xor_b64 s[14:15], exec, s[40:41]
	s_cbranch_execz .LBB444_23
; %bb.22:                               ;   in Loop: Header=BB444_9 Depth=1
	v_fma_f32 v27, |v26|, s28, v35
	v_fma_f32 v27, |v26|, v27, s29
	;; [unrolled: 1-line block ×6, first 2 shown]
	v_fma_f32 v27, |v26|, v27, |v26|
	v_mul_f32_e32 v28, 0xbfb8aa3b, v27
	v_fma_f32 v29, v27, s35, -v28
	v_rndne_f32_e32 v30, v28
	v_fmac_f32_e32 v29, 0xb2a5705f, v27
	v_sub_f32_e32 v28, v28, v30
	v_add_f32_e32 v28, v28, v29
	v_cvt_i32_f32_e32 v29, v30
	v_exp_f32_e32 v28, v28
	v_cmp_nlt_f32_e32 vcc, s36, v27
	v_ldexp_f32 v28, v28, v29
	s_nop 0
	v_cndmask_b32_e32 v28, 0, v28, vcc
	v_cmp_ngt_f32_e32 vcc, s37, v27
	s_nop 1
	v_cndmask_b32_e32 v27, v36, v28, vcc
	v_sub_f32_e32 v27, 1.0, v27
.LBB444_23:                             ;   in Loop: Header=BB444_9 Depth=1
	s_andn2_saveexec_b64 s[14:15], s[14:15]
; %bb.24:                               ;   in Loop: Header=BB444_9 Depth=1
	v_mul_f32_e32 v27, v26, v26
	v_fmamk_f32 v28, v27, 0xba1345e1, v34
	v_fmaak_f32 v28, v27, v28, 0xbcdac9b8
	v_fmaak_f32 v28, v27, v28, 0x3de703be
	;; [unrolled: 1-line block ×4, first 2 shown]
	v_fma_f32 v27, |v26|, v27, |v26|
; %bb.25:                               ;   in Loop: Header=BB444_9 Depth=1
	s_or_b64 exec, exec, s[14:15]
	v_bfi_b32 v21, s38, v24, v21
	v_add_f32_e32 v8, v8, v12
	v_mul_f32_e32 v20, 0.5, v20
	v_add_f32_e32 v21, 1.0, v21
	v_add_f32_e32 v18, v18, v22
	v_bfi_b32 v22, s38, v27, v26
	v_mul_f32_e32 v12, 0x3f3504f3, v8
	v_mul_f32_e32 v20, v20, v21
	v_add_f32_e32 v19, v19, v23
	v_mul_f32_e32 v21, 0.5, v25
	v_add_f32_e32 v22, 1.0, v22
	v_cmp_nlt_f32_e64 s[14:15], |v12|, 1.0
	v_mul_f32_e32 v21, v21, v22
	;;#ASMSTART
	v_pk_mul_f32 v[18:19], v[20:21], v[18:19]
	;;#ASMEND
                                        ; implicit-def: $vgpr20
	s_and_saveexec_b64 s[40:41], s[14:15]
	s_xor_b64 s[14:15], exec, s[40:41]
	s_cbranch_execz .LBB444_27
; %bb.26:                               ;   in Loop: Header=BB444_9 Depth=1
	v_fma_f32 v20, |v12|, s28, v35
	v_fma_f32 v20, |v12|, v20, s29
	;; [unrolled: 1-line block ×6, first 2 shown]
	v_fma_f32 v20, |v12|, v20, |v12|
	v_mul_f32_e32 v21, 0xbfb8aa3b, v20
	v_fma_f32 v22, v20, s35, -v21
	v_rndne_f32_e32 v23, v21
	v_fmac_f32_e32 v22, 0xb2a5705f, v20
	v_sub_f32_e32 v21, v21, v23
	v_add_f32_e32 v21, v21, v22
	v_cvt_i32_f32_e32 v22, v23
	v_exp_f32_e32 v21, v21
	v_cmp_nlt_f32_e32 vcc, s36, v20
	v_ldexp_f32 v21, v21, v22
	s_nop 0
	v_cndmask_b32_e32 v21, 0, v21, vcc
	v_cmp_ngt_f32_e32 vcc, s37, v20
	s_nop 1
	v_cndmask_b32_e32 v20, v36, v21, vcc
	v_sub_f32_e32 v20, 1.0, v20
.LBB444_27:                             ;   in Loop: Header=BB444_9 Depth=1
	s_andn2_saveexec_b64 s[14:15], s[14:15]
; %bb.28:                               ;   in Loop: Header=BB444_9 Depth=1
	v_mul_f32_e32 v20, v12, v12
	v_fmamk_f32 v21, v20, 0xba1345e1, v34
	v_fmaak_f32 v21, v20, v21, 0xbcdac9b8
	v_fmaak_f32 v21, v20, v21, 0x3de703be
	;; [unrolled: 1-line block ×4, first 2 shown]
	v_fma_f32 v20, |v12|, v20, |v12|
; %bb.29:                               ;   in Loop: Header=BB444_9 Depth=1
	s_or_b64 exec, exec, s[14:15]
	v_add_f32_e32 v9, v9, v13
	v_mul_f32_e32 v13, 0x3f3504f3, v9
	v_cmp_nlt_f32_e64 s[14:15], |v13|, 1.0
                                        ; implicit-def: $vgpr21
	s_and_saveexec_b64 s[40:41], s[14:15]
	s_xor_b64 s[14:15], exec, s[40:41]
	s_cbranch_execz .LBB444_31
; %bb.30:                               ;   in Loop: Header=BB444_9 Depth=1
	v_fma_f32 v21, |v13|, s28, v35
	v_fma_f32 v21, |v13|, v21, s29
	;; [unrolled: 1-line block ×6, first 2 shown]
	v_fma_f32 v21, |v13|, v21, |v13|
	v_mul_f32_e32 v22, 0xbfb8aa3b, v21
	v_fma_f32 v23, v21, s35, -v22
	v_rndne_f32_e32 v24, v22
	v_fmac_f32_e32 v23, 0xb2a5705f, v21
	v_sub_f32_e32 v22, v22, v24
	v_add_f32_e32 v22, v22, v23
	v_cvt_i32_f32_e32 v23, v24
	v_exp_f32_e32 v22, v22
	v_cmp_nlt_f32_e32 vcc, s36, v21
	v_ldexp_f32 v22, v22, v23
	s_nop 0
	v_cndmask_b32_e32 v22, 0, v22, vcc
	v_cmp_ngt_f32_e32 vcc, s37, v21
	s_nop 1
	v_cndmask_b32_e32 v21, v36, v22, vcc
	v_sub_f32_e32 v21, 1.0, v21
.LBB444_31:                             ;   in Loop: Header=BB444_9 Depth=1
	s_andn2_saveexec_b64 s[14:15], s[14:15]
; %bb.32:                               ;   in Loop: Header=BB444_9 Depth=1
	v_mul_f32_e32 v21, v13, v13
	v_fmamk_f32 v22, v21, 0xba1345e1, v34
	v_fmaak_f32 v22, v21, v22, 0xbcdac9b8
	v_fmaak_f32 v22, v21, v22, 0x3de703be
	;; [unrolled: 1-line block ×4, first 2 shown]
	v_fma_f32 v21, |v13|, v21, |v13|
; %bb.33:                               ;   in Loop: Header=BB444_9 Depth=1
	s_or_b64 exec, exec, s[14:15]
	s_waitcnt vmcnt(0)
	v_add_f32_e32 v1, v1, v5
	v_bfi_b32 v5, s38, v21, v13
	v_add_f32_e32 v0, v0, v4
	v_mul_f32_e32 v4, 0.5, v9
	v_add_f32_e32 v5, 1.0, v5
	v_bfi_b32 v12, s38, v20, v12
	v_mul_f32_e32 v9, v4, v5
	v_add_f32_e32 v4, v10, v14
	v_mul_f32_e32 v8, 0.5, v8
	v_add_f32_e32 v12, 1.0, v12
	v_mul_f32_e32 v5, 0x3f3504f3, v4
	v_mul_f32_e32 v8, v8, v12
	v_cmp_nlt_f32_e64 s[14:15], |v5|, 1.0
	;;#ASMSTART
	v_pk_mul_f32 v[0:1], v[8:9], v[0:1]
	;;#ASMEND
                                        ; implicit-def: $vgpr8
	s_and_saveexec_b64 s[40:41], s[14:15]
	s_xor_b64 s[14:15], exec, s[40:41]
	s_cbranch_execz .LBB444_35
; %bb.34:                               ;   in Loop: Header=BB444_9 Depth=1
	v_fma_f32 v8, |v5|, s28, v35
	v_fma_f32 v8, |v5|, v8, s29
	;; [unrolled: 1-line block ×6, first 2 shown]
	v_fma_f32 v8, |v5|, v8, |v5|
	v_mul_f32_e32 v9, 0xbfb8aa3b, v8
	v_fma_f32 v10, v8, s35, -v9
	v_rndne_f32_e32 v12, v9
	v_fmac_f32_e32 v10, 0xb2a5705f, v8
	v_sub_f32_e32 v9, v9, v12
	v_add_f32_e32 v9, v9, v10
	v_cvt_i32_f32_e32 v10, v12
	v_exp_f32_e32 v9, v9
	v_cmp_nlt_f32_e32 vcc, s36, v8
	v_ldexp_f32 v9, v9, v10
	s_nop 0
	v_cndmask_b32_e32 v9, 0, v9, vcc
	v_cmp_ngt_f32_e32 vcc, s37, v8
	s_nop 1
	v_cndmask_b32_e32 v8, v36, v9, vcc
	v_sub_f32_e32 v8, 1.0, v8
.LBB444_35:                             ;   in Loop: Header=BB444_9 Depth=1
	s_andn2_saveexec_b64 s[14:15], s[14:15]
; %bb.36:                               ;   in Loop: Header=BB444_9 Depth=1
	v_mul_f32_e32 v8, v5, v5
	v_fmamk_f32 v9, v8, 0xba1345e1, v34
	v_fmaak_f32 v9, v8, v9, 0xbcdac9b8
	v_fmaak_f32 v9, v8, v9, 0x3de703be
	;; [unrolled: 1-line block ×4, first 2 shown]
	v_fma_f32 v8, |v5|, v8, |v5|
; %bb.37:                               ;   in Loop: Header=BB444_9 Depth=1
	s_or_b64 exec, exec, s[14:15]
	v_add_f32_e32 v9, v11, v15
	v_mul_f32_e32 v10, 0x3f3504f3, v9
	v_cmp_nlt_f32_e64 s[14:15], |v10|, 1.0
                                        ; implicit-def: $vgpr11
	s_and_saveexec_b64 s[40:41], s[14:15]
	s_xor_b64 s[14:15], exec, s[40:41]
	s_cbranch_execz .LBB444_39
; %bb.38:                               ;   in Loop: Header=BB444_9 Depth=1
	v_fma_f32 v11, |v10|, s28, v35
	v_fma_f32 v11, |v10|, v11, s29
	v_fma_f32 v11, |v10|, v11, s30
	v_fma_f32 v11, |v10|, v11, s31
	v_fma_f32 v11, |v10|, v11, s33
	v_fma_f32 v11, |v10|, v11, s34
	v_fma_f32 v11, |v10|, v11, |v10|
	v_mul_f32_e32 v12, 0xbfb8aa3b, v11
	v_fma_f32 v13, v11, s35, -v12
	v_rndne_f32_e32 v14, v12
	v_fmac_f32_e32 v13, 0xb2a5705f, v11
	v_sub_f32_e32 v12, v12, v14
	v_add_f32_e32 v12, v12, v13
	v_cvt_i32_f32_e32 v13, v14
	v_exp_f32_e32 v12, v12
	v_cmp_nlt_f32_e32 vcc, s36, v11
	v_ldexp_f32 v12, v12, v13
	s_nop 0
	v_cndmask_b32_e32 v12, 0, v12, vcc
	v_cmp_ngt_f32_e32 vcc, s37, v11
	s_nop 1
	v_cndmask_b32_e32 v11, v36, v12, vcc
	v_sub_f32_e32 v11, 1.0, v11
.LBB444_39:                             ;   in Loop: Header=BB444_9 Depth=1
	s_andn2_saveexec_b64 s[14:15], s[14:15]
	s_cbranch_execz .LBB444_8
; %bb.40:                               ;   in Loop: Header=BB444_9 Depth=1
	v_mul_f32_e32 v11, v10, v10
	v_fmamk_f32 v12, v11, 0xba1345e1, v34
	v_fmaak_f32 v12, v11, v12, 0xbcdac9b8
	v_fmaak_f32 v12, v11, v12, 0x3de703be
	;; [unrolled: 1-line block ×4, first 2 shown]
	v_fma_f32 v11, |v10|, v11, |v10|
	s_branch .LBB444_8
.LBB444_41:
	s_endpgm
	.section	.rodata,"a",@progbits
	.p2align	6, 0x0
	.amdhsa_kernel _ZN5aiter23act_and_mul_bias_kernelIffifTnPFfRKT2_EXadL_ZNS_11gelu_kernelIfEEfRKT_EELi8EEEvPT0_PS8_PKT1_PS2_il
		.amdhsa_group_segment_fixed_size 0
		.amdhsa_private_segment_fixed_size 0
		.amdhsa_kernarg_size 304
		.amdhsa_user_sgpr_count 2
		.amdhsa_user_sgpr_dispatch_ptr 0
		.amdhsa_user_sgpr_queue_ptr 0
		.amdhsa_user_sgpr_kernarg_segment_ptr 1
		.amdhsa_user_sgpr_dispatch_id 0
		.amdhsa_user_sgpr_kernarg_preload_length 0
		.amdhsa_user_sgpr_kernarg_preload_offset 0
		.amdhsa_user_sgpr_private_segment_size 0
		.amdhsa_uses_dynamic_stack 0
		.amdhsa_enable_private_segment 0
		.amdhsa_system_sgpr_workgroup_id_x 1
		.amdhsa_system_sgpr_workgroup_id_y 0
		.amdhsa_system_sgpr_workgroup_id_z 0
		.amdhsa_system_sgpr_workgroup_info 0
		.amdhsa_system_vgpr_workitem_id 0
		.amdhsa_next_free_vgpr 43
		.amdhsa_next_free_sgpr 42
		.amdhsa_accum_offset 44
		.amdhsa_reserve_vcc 1
		.amdhsa_float_round_mode_32 0
		.amdhsa_float_round_mode_16_64 0
		.amdhsa_float_denorm_mode_32 3
		.amdhsa_float_denorm_mode_16_64 3
		.amdhsa_dx10_clamp 1
		.amdhsa_ieee_mode 1
		.amdhsa_fp16_overflow 0
		.amdhsa_tg_split 0
		.amdhsa_exception_fp_ieee_invalid_op 0
		.amdhsa_exception_fp_denorm_src 0
		.amdhsa_exception_fp_ieee_div_zero 0
		.amdhsa_exception_fp_ieee_overflow 0
		.amdhsa_exception_fp_ieee_underflow 0
		.amdhsa_exception_fp_ieee_inexact 0
		.amdhsa_exception_int_div_zero 0
	.end_amdhsa_kernel
	.section	.text._ZN5aiter23act_and_mul_bias_kernelIffifTnPFfRKT2_EXadL_ZNS_11gelu_kernelIfEEfRKT_EELi8EEEvPT0_PS8_PKT1_PS2_il,"axG",@progbits,_ZN5aiter23act_and_mul_bias_kernelIffifTnPFfRKT2_EXadL_ZNS_11gelu_kernelIfEEfRKT_EELi8EEEvPT0_PS8_PKT1_PS2_il,comdat
.Lfunc_end444:
	.size	_ZN5aiter23act_and_mul_bias_kernelIffifTnPFfRKT2_EXadL_ZNS_11gelu_kernelIfEEfRKT_EELi8EEEvPT0_PS8_PKT1_PS2_il, .Lfunc_end444-_ZN5aiter23act_and_mul_bias_kernelIffifTnPFfRKT2_EXadL_ZNS_11gelu_kernelIfEEfRKT_EELi8EEEvPT0_PS8_PKT1_PS2_il
                                        ; -- End function
	.section	.AMDGPU.csdata,"",@progbits
; Kernel info:
; codeLenInByte = 2796
; NumSgprs: 48
; NumVgprs: 43
; NumAgprs: 0
; TotalNumVgprs: 43
; ScratchSize: 0
; MemoryBound: 0
; FloatMode: 240
; IeeeMode: 1
; LDSByteSize: 0 bytes/workgroup (compile time only)
; SGPRBlocks: 5
; VGPRBlocks: 5
; NumSGPRsForWavesPerEU: 48
; NumVGPRsForWavesPerEU: 43
; AccumOffset: 44
; Occupancy: 8
; WaveLimiterHint : 0
; COMPUTE_PGM_RSRC2:SCRATCH_EN: 0
; COMPUTE_PGM_RSRC2:USER_SGPR: 2
; COMPUTE_PGM_RSRC2:TRAP_HANDLER: 0
; COMPUTE_PGM_RSRC2:TGID_X_EN: 1
; COMPUTE_PGM_RSRC2:TGID_Y_EN: 0
; COMPUTE_PGM_RSRC2:TGID_Z_EN: 0
; COMPUTE_PGM_RSRC2:TIDIG_COMP_CNT: 0
; COMPUTE_PGM_RSRC3_GFX90A:ACCUM_OFFSET: 10
; COMPUTE_PGM_RSRC3_GFX90A:TG_SPLIT: 0
	.section	.text._ZN5aiter23act_and_mul_bias_kernelIffifTnPFfRKT2_EXadL_ZNS_11gelu_kernelIfEEfRKT_EELi4EEEvPT0_PS8_PKT1_PS2_il,"axG",@progbits,_ZN5aiter23act_and_mul_bias_kernelIffifTnPFfRKT2_EXadL_ZNS_11gelu_kernelIfEEfRKT_EELi4EEEvPT0_PS8_PKT1_PS2_il,comdat
	.protected	_ZN5aiter23act_and_mul_bias_kernelIffifTnPFfRKT2_EXadL_ZNS_11gelu_kernelIfEEfRKT_EELi4EEEvPT0_PS8_PKT1_PS2_il ; -- Begin function _ZN5aiter23act_and_mul_bias_kernelIffifTnPFfRKT2_EXadL_ZNS_11gelu_kernelIfEEfRKT_EELi4EEEvPT0_PS8_PKT1_PS2_il
	.globl	_ZN5aiter23act_and_mul_bias_kernelIffifTnPFfRKT2_EXadL_ZNS_11gelu_kernelIfEEfRKT_EELi4EEEvPT0_PS8_PKT1_PS2_il
	.p2align	8
	.type	_ZN5aiter23act_and_mul_bias_kernelIffifTnPFfRKT2_EXadL_ZNS_11gelu_kernelIfEEfRKT_EELi4EEEvPT0_PS8_PKT1_PS2_il,@function
_ZN5aiter23act_and_mul_bias_kernelIffifTnPFfRKT2_EXadL_ZNS_11gelu_kernelIfEEfRKT_EELi4EEEvPT0_PS8_PKT1_PS2_il: ; @_ZN5aiter23act_and_mul_bias_kernelIffifTnPFfRKT2_EXadL_ZNS_11gelu_kernelIfEEfRKT_EELi4EEEvPT0_PS8_PKT1_PS2_il
; %bb.0:
	s_load_dword s24, s[0:1], 0x20
	s_load_dwordx2 s[4:5], s[0:1], 0x10
	s_load_dwordx2 s[12:13], s[0:1], 0x28
	s_mov_b32 s3, 0
	s_lshl_b64 s[6:7], s[2:3], 2
	s_waitcnt lgkmcnt(0)
	s_ashr_i32 s25, s24, 31
	s_add_u32 s4, s4, s6
	s_addc_u32 s5, s5, s7
	s_load_dword s8, s[4:5], 0x0
	s_load_dwordx2 s[14:15], s[0:1], 0x0
	s_mul_hi_u32 s3, s24, s2
	s_mul_i32 s4, s25, s2
	s_add_i32 s5, s3, s4
	s_mul_i32 s4, s24, s2
	s_waitcnt lgkmcnt(0)
	s_ashr_i32 s9, s8, 31
	s_lshl_b32 s6, s24, 2
	s_lshl_b64 s[4:5], s[4:5], 2
	v_mov_b64_e32 v[2:3], s[12:13]
	v_cmp_gt_i64_e64 s[16:17], s[8:9], -1
	s_add_u32 s4, s14, s4
	v_cmp_lt_i64_e32 vcc, s[8:9], v[2:3]
	s_addc_u32 s3, s15, s5
	s_and_b64 s[12:13], s[16:17], vcc
	s_mov_b64 s[10:11], -1
	s_and_b32 s5, s3, 0xffff
	s_and_b64 vcc, exec, s[12:13]
	v_lshlrev_b32_e32 v16, 2, v0
	s_cbranch_vccnz .LBB445_5
; %bb.1:
	v_cmp_gt_i32_e32 vcc, s24, v16
	s_and_saveexec_b64 s[10:11], vcc
	s_cbranch_execz .LBB445_4
; %bb.2:
	s_load_dword s3, s[0:1], 0x3c
	v_mov_b32_e32 v17, 0
	s_mov_b32 s13, 0
	v_lshlrev_b32_e32 v6, 4, v0
	s_mov_b64 s[14:15], 0
	s_waitcnt lgkmcnt(0)
	s_and_b32 s3, s3, 0xffff
	s_lshl_b32 s12, s3, 2
	s_lshl_b32 s3, s3, 4
	s_mov_b32 s7, 0x20000
	v_mov_b32_e32 v0, v17
	v_mov_b32_e32 v1, v17
	;; [unrolled: 1-line block ×4, first 2 shown]
	v_mov_b64_e32 v[4:5], v[16:17]
.LBB445_3:                              ; =>This Inner Loop Header: Depth=1
	v_lshl_add_u64 v[4:5], s[12:13], 0, v[4:5]
	v_cmp_le_i64_e32 vcc, s[24:25], v[4:5]
	buffer_store_dwordx4 v[0:3], v6, s[4:7], 0 offen
	s_or_b64 s[14:15], vcc, s[14:15]
	v_add_u32_e32 v6, s3, v6
	s_andn2_b64 exec, exec, s[14:15]
	s_cbranch_execnz .LBB445_3
.LBB445_4:
	s_or_b64 exec, exec, s[10:11]
	s_mov_b64 s[10:11], 0
.LBB445_5:
	s_andn2_b64 vcc, exec, s[10:11]
	s_cbranch_vccnz .LBB445_25
; %bb.6:
	v_cmp_gt_i32_e32 vcc, s24, v16
	s_and_saveexec_b64 s[10:11], vcc
	s_cbranch_execz .LBB445_25
; %bb.7:
	s_load_dwordx2 s[10:11], s[0:1], 0x18
	s_load_dwordx2 s[14:15], s[0:1], 0x8
	s_mul_hi_i32 s9, s24, s8
	s_mul_i32 s8, s24, s8
	s_lshl_b64 s[8:9], s[8:9], 3
	s_waitcnt lgkmcnt(0)
	s_add_u32 s8, s10, s8
	s_addc_u32 s3, s11, s9
	s_lshl_b64 s[10:11], s[24:25], 2
	s_add_u32 s12, s8, s10
	s_addc_u32 s13, s3, s11
	s_and_b32 s9, s3, 0xffff
	s_mul_i32 s3, s2, s25
	s_mul_hi_u32 s16, s2, s24
	s_add_i32 s3, s16, s3
	s_mul_i32 s2, s2, s24
	s_and_b32 s13, s13, 0xffff
	s_lshl_b64 s[2:3], s[2:3], 3
	s_add_u32 s16, s14, s2
	s_addc_u32 s2, s15, s3
	s_add_u32 s20, s16, s10
	s_addc_u32 s3, s2, s11
	s_and_b32 s17, s2, 0xffff
	s_and_b32 s21, s3, 0xffff
	s_mov_b32 s7, 0x20000
	s_add_u32 s0, s0, 48
	v_mov_b32_e32 v17, 0
	s_addc_u32 s1, s1, 0
	s_mov_b64 s[2:3], 0
	s_mov_b32 s23, s7
	s_mov_b32 s22, s6
	;; [unrolled: 1-line block ×14, first 2 shown]
	v_mov_b32_e32 v18, 0x3ba10414
	s_brev_b32 s38, -2
	v_mov_b32_e32 v19, 0xb9c68948
	v_mov_b32_e32 v20, 0x7f800000
                                        ; implicit-def: $vgpr0
                                        ; implicit-def: $vgpr0
	;; [unrolled: 1-line block ×4, first 2 shown]
	s_branch .LBB445_9
.LBB445_8:                              ;   in Loop: Header=BB445_9 Depth=1
	s_or_b64 exec, exec, s[10:11]
	v_bfi_b32 v5, s38, v8, v5
	v_mul_f32_e32 v4, 0.5, v4
	v_add_f32_e32 v5, 1.0, v5
	v_add_f32_e32 v2, v2, v6
	v_bfi_b32 v6, s38, v11, v10
	v_mul_f32_e32 v4, v4, v5
	v_add_f32_e32 v3, v3, v7
	v_mul_f32_e32 v5, 0.5, v9
	v_add_f32_e32 v6, 1.0, v6
	v_mul_f32_e32 v5, v5, v6
	;;#ASMSTART
	v_pk_mul_f32 v[2:3], v[4:5], v[2:3]
	;;#ASMEND
	s_load_dword s10, s[0:1], 0xc
	buffer_store_dwordx4 v[0:3], v21, s[4:7], 0 offen
	s_waitcnt lgkmcnt(0)
	s_and_b32 s10, s10, 0xffff
	s_lshl_b32 s26, s10, 2
	v_lshl_add_u64 v[16:17], s[26:27], 0, v[16:17]
	v_cmp_le_i64_e32 vcc, s[24:25], v[16:17]
	s_or_b64 s[2:3], vcc, s[2:3]
	s_andn2_b64 exec, exec, s[2:3]
	s_cbranch_execz .LBB445_25
.LBB445_9:                              ; =>This Inner Loop Header: Depth=1
	v_lshlrev_b32_e32 v21, 2, v16
	s_mov_b32 s10, s22
	s_mov_b32 s11, s23
	buffer_load_dwordx4 v[8:11], v21, s[16:19], 0 offen
	buffer_load_dwordx4 v[0:3], v21, s[20:23], 0 offen
	;; [unrolled: 1-line block ×3, first 2 shown]
	s_mov_b32 s14, s22
	s_mov_b32 s15, s23
	buffer_load_dwordx4 v[4:7], v21, s[12:15], 0 offen
                                        ; implicit-def: $vgpr22
	s_waitcnt vmcnt(1)
	v_add_f32_e32 v8, v8, v12
	v_mul_f32_e32 v12, 0x3f3504f3, v8
	v_cmp_nlt_f32_e64 s[10:11], |v12|, 1.0
	s_and_saveexec_b64 s[14:15], s[10:11]
	s_xor_b64 s[10:11], exec, s[14:15]
	s_cbranch_execz .LBB445_11
; %bb.10:                               ;   in Loop: Header=BB445_9 Depth=1
	v_fma_f32 v22, |v12|, s28, v19
	v_fma_f32 v22, |v12|, v22, s29
	;; [unrolled: 1-line block ×6, first 2 shown]
	v_fma_f32 v22, |v12|, v22, |v12|
	v_mul_f32_e32 v23, 0xbfb8aa3b, v22
	v_fma_f32 v24, v22, s35, -v23
	v_rndne_f32_e32 v25, v23
	v_fmac_f32_e32 v24, 0xb2a5705f, v22
	v_sub_f32_e32 v23, v23, v25
	v_add_f32_e32 v23, v23, v24
	v_cvt_i32_f32_e32 v24, v25
	v_exp_f32_e32 v23, v23
	v_cmp_nlt_f32_e32 vcc, s36, v22
	v_ldexp_f32 v23, v23, v24
	s_nop 0
	v_cndmask_b32_e32 v23, 0, v23, vcc
	v_cmp_ngt_f32_e32 vcc, s37, v22
	s_nop 1
	v_cndmask_b32_e32 v22, v20, v23, vcc
	v_sub_f32_e32 v22, 1.0, v22
.LBB445_11:                             ;   in Loop: Header=BB445_9 Depth=1
	s_andn2_saveexec_b64 s[10:11], s[10:11]
; %bb.12:                               ;   in Loop: Header=BB445_9 Depth=1
	v_mul_f32_e32 v22, v12, v12
	v_fmamk_f32 v23, v22, 0xba1345e1, v18
	v_fmaak_f32 v23, v22, v23, 0xbcdac9b8
	v_fmaak_f32 v23, v22, v23, 0x3de703be
	;; [unrolled: 1-line block ×4, first 2 shown]
	v_fma_f32 v22, |v12|, v22, |v12|
; %bb.13:                               ;   in Loop: Header=BB445_9 Depth=1
	s_or_b64 exec, exec, s[10:11]
	v_add_f32_e32 v9, v9, v13
	v_mul_f32_e32 v13, 0x3f3504f3, v9
	v_cmp_nlt_f32_e64 s[10:11], |v13|, 1.0
                                        ; implicit-def: $vgpr23
	s_and_saveexec_b64 s[14:15], s[10:11]
	s_xor_b64 s[10:11], exec, s[14:15]
	s_cbranch_execz .LBB445_15
; %bb.14:                               ;   in Loop: Header=BB445_9 Depth=1
	v_fma_f32 v23, |v13|, s28, v19
	v_fma_f32 v23, |v13|, v23, s29
	;; [unrolled: 1-line block ×6, first 2 shown]
	v_fma_f32 v23, |v13|, v23, |v13|
	v_mul_f32_e32 v24, 0xbfb8aa3b, v23
	v_fma_f32 v25, v23, s35, -v24
	v_rndne_f32_e32 v26, v24
	v_fmac_f32_e32 v25, 0xb2a5705f, v23
	v_sub_f32_e32 v24, v24, v26
	v_add_f32_e32 v24, v24, v25
	v_cvt_i32_f32_e32 v25, v26
	v_exp_f32_e32 v24, v24
	v_cmp_nlt_f32_e32 vcc, s36, v23
	v_ldexp_f32 v24, v24, v25
	s_nop 0
	v_cndmask_b32_e32 v24, 0, v24, vcc
	v_cmp_ngt_f32_e32 vcc, s37, v23
	s_nop 1
	v_cndmask_b32_e32 v23, v20, v24, vcc
	v_sub_f32_e32 v23, 1.0, v23
.LBB445_15:                             ;   in Loop: Header=BB445_9 Depth=1
	s_andn2_saveexec_b64 s[10:11], s[10:11]
; %bb.16:                               ;   in Loop: Header=BB445_9 Depth=1
	v_mul_f32_e32 v23, v13, v13
	v_fmamk_f32 v24, v23, 0xba1345e1, v18
	v_fmaak_f32 v24, v23, v24, 0xbcdac9b8
	v_fmaak_f32 v24, v23, v24, 0x3de703be
	;; [unrolled: 1-line block ×4, first 2 shown]
	v_fma_f32 v23, |v13|, v23, |v13|
; %bb.17:                               ;   in Loop: Header=BB445_9 Depth=1
	s_or_b64 exec, exec, s[10:11]
	s_waitcnt vmcnt(0)
	v_add_f32_e32 v1, v1, v5
	v_bfi_b32 v5, s38, v23, v13
	v_add_f32_e32 v0, v0, v4
	v_mul_f32_e32 v4, 0.5, v9
	v_add_f32_e32 v5, 1.0, v5
	v_bfi_b32 v12, s38, v22, v12
	v_mul_f32_e32 v9, v4, v5
	v_add_f32_e32 v4, v10, v14
	v_mul_f32_e32 v8, 0.5, v8
	v_add_f32_e32 v12, 1.0, v12
	v_mul_f32_e32 v5, 0x3f3504f3, v4
	v_mul_f32_e32 v8, v8, v12
	v_cmp_nlt_f32_e64 s[10:11], |v5|, 1.0
	;;#ASMSTART
	v_pk_mul_f32 v[0:1], v[8:9], v[0:1]
	;;#ASMEND
                                        ; implicit-def: $vgpr8
	s_and_saveexec_b64 s[14:15], s[10:11]
	s_xor_b64 s[10:11], exec, s[14:15]
	s_cbranch_execz .LBB445_19
; %bb.18:                               ;   in Loop: Header=BB445_9 Depth=1
	v_fma_f32 v8, |v5|, s28, v19
	v_fma_f32 v8, |v5|, v8, s29
	;; [unrolled: 1-line block ×6, first 2 shown]
	v_fma_f32 v8, |v5|, v8, |v5|
	v_mul_f32_e32 v9, 0xbfb8aa3b, v8
	v_fma_f32 v10, v8, s35, -v9
	v_rndne_f32_e32 v12, v9
	v_fmac_f32_e32 v10, 0xb2a5705f, v8
	v_sub_f32_e32 v9, v9, v12
	v_add_f32_e32 v9, v9, v10
	v_cvt_i32_f32_e32 v10, v12
	v_exp_f32_e32 v9, v9
	v_cmp_nlt_f32_e32 vcc, s36, v8
	v_ldexp_f32 v9, v9, v10
	s_nop 0
	v_cndmask_b32_e32 v9, 0, v9, vcc
	v_cmp_ngt_f32_e32 vcc, s37, v8
	s_nop 1
	v_cndmask_b32_e32 v8, v20, v9, vcc
	v_sub_f32_e32 v8, 1.0, v8
.LBB445_19:                             ;   in Loop: Header=BB445_9 Depth=1
	s_andn2_saveexec_b64 s[10:11], s[10:11]
; %bb.20:                               ;   in Loop: Header=BB445_9 Depth=1
	v_mul_f32_e32 v8, v5, v5
	v_fmamk_f32 v9, v8, 0xba1345e1, v18
	v_fmaak_f32 v9, v8, v9, 0xbcdac9b8
	v_fmaak_f32 v9, v8, v9, 0x3de703be
	;; [unrolled: 1-line block ×4, first 2 shown]
	v_fma_f32 v8, |v5|, v8, |v5|
; %bb.21:                               ;   in Loop: Header=BB445_9 Depth=1
	s_or_b64 exec, exec, s[10:11]
	v_add_f32_e32 v9, v11, v15
	v_mul_f32_e32 v10, 0x3f3504f3, v9
	v_cmp_nlt_f32_e64 s[10:11], |v10|, 1.0
                                        ; implicit-def: $vgpr11
	s_and_saveexec_b64 s[14:15], s[10:11]
	s_xor_b64 s[10:11], exec, s[14:15]
	s_cbranch_execz .LBB445_23
; %bb.22:                               ;   in Loop: Header=BB445_9 Depth=1
	v_fma_f32 v11, |v10|, s28, v19
	v_fma_f32 v11, |v10|, v11, s29
	;; [unrolled: 1-line block ×6, first 2 shown]
	v_fma_f32 v11, |v10|, v11, |v10|
	v_mul_f32_e32 v12, 0xbfb8aa3b, v11
	v_fma_f32 v13, v11, s35, -v12
	v_rndne_f32_e32 v14, v12
	v_fmac_f32_e32 v13, 0xb2a5705f, v11
	v_sub_f32_e32 v12, v12, v14
	v_add_f32_e32 v12, v12, v13
	v_cvt_i32_f32_e32 v13, v14
	v_exp_f32_e32 v12, v12
	v_cmp_nlt_f32_e32 vcc, s36, v11
	v_ldexp_f32 v12, v12, v13
	s_nop 0
	v_cndmask_b32_e32 v12, 0, v12, vcc
	v_cmp_ngt_f32_e32 vcc, s37, v11
	s_nop 1
	v_cndmask_b32_e32 v11, v20, v12, vcc
	v_sub_f32_e32 v11, 1.0, v11
.LBB445_23:                             ;   in Loop: Header=BB445_9 Depth=1
	s_andn2_saveexec_b64 s[10:11], s[10:11]
	s_cbranch_execz .LBB445_8
; %bb.24:                               ;   in Loop: Header=BB445_9 Depth=1
	v_mul_f32_e32 v11, v10, v10
	v_fmamk_f32 v12, v11, 0xba1345e1, v18
	v_fmaak_f32 v12, v11, v12, 0xbcdac9b8
	v_fmaak_f32 v12, v11, v12, 0x3de703be
	v_fmaak_f32 v12, v11, v12, 0xbec09330
	v_fmaak_f32 v11, v11, v12, 0x3e0375d0
	v_fma_f32 v11, |v10|, v11, |v10|
	s_branch .LBB445_8
.LBB445_25:
	s_endpgm
	.section	.rodata,"a",@progbits
	.p2align	6, 0x0
	.amdhsa_kernel _ZN5aiter23act_and_mul_bias_kernelIffifTnPFfRKT2_EXadL_ZNS_11gelu_kernelIfEEfRKT_EELi4EEEvPT0_PS8_PKT1_PS2_il
		.amdhsa_group_segment_fixed_size 0
		.amdhsa_private_segment_fixed_size 0
		.amdhsa_kernarg_size 304
		.amdhsa_user_sgpr_count 2
		.amdhsa_user_sgpr_dispatch_ptr 0
		.amdhsa_user_sgpr_queue_ptr 0
		.amdhsa_user_sgpr_kernarg_segment_ptr 1
		.amdhsa_user_sgpr_dispatch_id 0
		.amdhsa_user_sgpr_kernarg_preload_length 0
		.amdhsa_user_sgpr_kernarg_preload_offset 0
		.amdhsa_user_sgpr_private_segment_size 0
		.amdhsa_uses_dynamic_stack 0
		.amdhsa_enable_private_segment 0
		.amdhsa_system_sgpr_workgroup_id_x 1
		.amdhsa_system_sgpr_workgroup_id_y 0
		.amdhsa_system_sgpr_workgroup_id_z 0
		.amdhsa_system_sgpr_workgroup_info 0
		.amdhsa_system_vgpr_workitem_id 0
		.amdhsa_next_free_vgpr 27
		.amdhsa_next_free_sgpr 39
		.amdhsa_accum_offset 28
		.amdhsa_reserve_vcc 1
		.amdhsa_float_round_mode_32 0
		.amdhsa_float_round_mode_16_64 0
		.amdhsa_float_denorm_mode_32 3
		.amdhsa_float_denorm_mode_16_64 3
		.amdhsa_dx10_clamp 1
		.amdhsa_ieee_mode 1
		.amdhsa_fp16_overflow 0
		.amdhsa_tg_split 0
		.amdhsa_exception_fp_ieee_invalid_op 0
		.amdhsa_exception_fp_denorm_src 0
		.amdhsa_exception_fp_ieee_div_zero 0
		.amdhsa_exception_fp_ieee_overflow 0
		.amdhsa_exception_fp_ieee_underflow 0
		.amdhsa_exception_fp_ieee_inexact 0
		.amdhsa_exception_int_div_zero 0
	.end_amdhsa_kernel
	.section	.text._ZN5aiter23act_and_mul_bias_kernelIffifTnPFfRKT2_EXadL_ZNS_11gelu_kernelIfEEfRKT_EELi4EEEvPT0_PS8_PKT1_PS2_il,"axG",@progbits,_ZN5aiter23act_and_mul_bias_kernelIffifTnPFfRKT2_EXadL_ZNS_11gelu_kernelIfEEfRKT_EELi4EEEvPT0_PS8_PKT1_PS2_il,comdat
.Lfunc_end445:
	.size	_ZN5aiter23act_and_mul_bias_kernelIffifTnPFfRKT2_EXadL_ZNS_11gelu_kernelIfEEfRKT_EELi4EEEvPT0_PS8_PKT1_PS2_il, .Lfunc_end445-_ZN5aiter23act_and_mul_bias_kernelIffifTnPFfRKT2_EXadL_ZNS_11gelu_kernelIfEEfRKT_EELi4EEEvPT0_PS8_PKT1_PS2_il
                                        ; -- End function
	.section	.AMDGPU.csdata,"",@progbits
; Kernel info:
; codeLenInByte = 1716
; NumSgprs: 45
; NumVgprs: 27
; NumAgprs: 0
; TotalNumVgprs: 27
; ScratchSize: 0
; MemoryBound: 0
; FloatMode: 240
; IeeeMode: 1
; LDSByteSize: 0 bytes/workgroup (compile time only)
; SGPRBlocks: 5
; VGPRBlocks: 3
; NumSGPRsForWavesPerEU: 45
; NumVGPRsForWavesPerEU: 27
; AccumOffset: 28
; Occupancy: 8
; WaveLimiterHint : 0
; COMPUTE_PGM_RSRC2:SCRATCH_EN: 0
; COMPUTE_PGM_RSRC2:USER_SGPR: 2
; COMPUTE_PGM_RSRC2:TRAP_HANDLER: 0
; COMPUTE_PGM_RSRC2:TGID_X_EN: 1
; COMPUTE_PGM_RSRC2:TGID_Y_EN: 0
; COMPUTE_PGM_RSRC2:TGID_Z_EN: 0
; COMPUTE_PGM_RSRC2:TIDIG_COMP_CNT: 0
; COMPUTE_PGM_RSRC3_GFX90A:ACCUM_OFFSET: 6
; COMPUTE_PGM_RSRC3_GFX90A:TG_SPLIT: 0
	.section	.text._ZN5aiter23act_and_mul_bias_kernelIffifTnPFfRKT2_EXadL_ZNS_11gelu_kernelIfEEfRKT_EELi2EEEvPT0_PS8_PKT1_PS2_il,"axG",@progbits,_ZN5aiter23act_and_mul_bias_kernelIffifTnPFfRKT2_EXadL_ZNS_11gelu_kernelIfEEfRKT_EELi2EEEvPT0_PS8_PKT1_PS2_il,comdat
	.protected	_ZN5aiter23act_and_mul_bias_kernelIffifTnPFfRKT2_EXadL_ZNS_11gelu_kernelIfEEfRKT_EELi2EEEvPT0_PS8_PKT1_PS2_il ; -- Begin function _ZN5aiter23act_and_mul_bias_kernelIffifTnPFfRKT2_EXadL_ZNS_11gelu_kernelIfEEfRKT_EELi2EEEvPT0_PS8_PKT1_PS2_il
	.globl	_ZN5aiter23act_and_mul_bias_kernelIffifTnPFfRKT2_EXadL_ZNS_11gelu_kernelIfEEfRKT_EELi2EEEvPT0_PS8_PKT1_PS2_il
	.p2align	8
	.type	_ZN5aiter23act_and_mul_bias_kernelIffifTnPFfRKT2_EXadL_ZNS_11gelu_kernelIfEEfRKT_EELi2EEEvPT0_PS8_PKT1_PS2_il,@function
_ZN5aiter23act_and_mul_bias_kernelIffifTnPFfRKT2_EXadL_ZNS_11gelu_kernelIfEEfRKT_EELi2EEEvPT0_PS8_PKT1_PS2_il: ; @_ZN5aiter23act_and_mul_bias_kernelIffifTnPFfRKT2_EXadL_ZNS_11gelu_kernelIfEEfRKT_EELi2EEEvPT0_PS8_PKT1_PS2_il
; %bb.0:
	s_load_dword s24, s[0:1], 0x20
	s_load_dwordx2 s[4:5], s[0:1], 0x10
	s_load_dwordx2 s[12:13], s[0:1], 0x28
	s_mov_b32 s3, 0
	s_lshl_b64 s[6:7], s[2:3], 2
	s_waitcnt lgkmcnt(0)
	s_ashr_i32 s25, s24, 31
	s_add_u32 s4, s4, s6
	s_addc_u32 s5, s5, s7
	s_load_dword s8, s[4:5], 0x0
	s_load_dwordx2 s[14:15], s[0:1], 0x0
	s_mul_hi_u32 s3, s24, s2
	s_mul_i32 s4, s25, s2
	s_add_i32 s5, s3, s4
	s_mul_i32 s4, s24, s2
	s_waitcnt lgkmcnt(0)
	s_ashr_i32 s9, s8, 31
	s_lshl_b32 s6, s24, 2
	s_lshl_b64 s[4:5], s[4:5], 2
	v_mov_b64_e32 v[2:3], s[12:13]
	v_cmp_gt_i64_e64 s[16:17], s[8:9], -1
	s_add_u32 s4, s14, s4
	v_cmp_lt_i64_e32 vcc, s[8:9], v[2:3]
	s_addc_u32 s3, s15, s5
	s_and_b64 s[12:13], s[16:17], vcc
	s_mov_b64 s[10:11], -1
	s_and_b32 s5, s3, 0xffff
	s_and_b64 vcc, exec, s[12:13]
	v_lshlrev_b32_e32 v2, 1, v0
	s_cbranch_vccnz .LBB446_5
; %bb.1:
	v_cmp_gt_i32_e32 vcc, s24, v2
	s_and_saveexec_b64 s[10:11], vcc
	s_cbranch_execz .LBB446_4
; %bb.2:
	s_load_dword s3, s[0:1], 0x3c
	v_mov_b32_e32 v3, 0
	s_mov_b32 s13, 0
	v_lshlrev_b32_e32 v6, 3, v0
	s_mov_b64 s[14:15], 0
	s_waitcnt lgkmcnt(0)
	s_and_b32 s3, s3, 0xffff
	s_lshl_b32 s12, s3, 1
	s_lshl_b32 s3, s3, 3
	s_mov_b32 s7, 0x20000
	v_mov_b32_e32 v0, v3
	v_mov_b32_e32 v1, v3
	v_mov_b64_e32 v[4:5], v[2:3]
.LBB446_3:                              ; =>This Inner Loop Header: Depth=1
	v_lshl_add_u64 v[4:5], s[12:13], 0, v[4:5]
	v_cmp_le_i64_e32 vcc, s[24:25], v[4:5]
	buffer_store_dwordx2 v[0:1], v6, s[4:7], 0 offen
	s_or_b64 s[14:15], vcc, s[14:15]
	v_add_u32_e32 v6, s3, v6
	s_andn2_b64 exec, exec, s[14:15]
	s_cbranch_execnz .LBB446_3
.LBB446_4:
	s_or_b64 exec, exec, s[10:11]
	s_mov_b64 s[10:11], 0
.LBB446_5:
	s_andn2_b64 vcc, exec, s[10:11]
	s_cbranch_vccnz .LBB446_13
; %bb.6:
	v_cmp_gt_i32_e32 vcc, s24, v2
	s_and_saveexec_b64 s[10:11], vcc
	s_cbranch_execz .LBB446_13
; %bb.7:
	s_load_dwordx2 s[10:11], s[0:1], 0x18
	s_load_dwordx2 s[14:15], s[0:1], 0x8
	s_mul_hi_i32 s9, s24, s8
	s_mul_i32 s8, s24, s8
	s_lshl_b64 s[8:9], s[8:9], 3
	s_waitcnt lgkmcnt(0)
	s_add_u32 s8, s10, s8
	s_addc_u32 s3, s11, s9
	s_lshl_b64 s[10:11], s[24:25], 2
	s_add_u32 s12, s8, s10
	s_addc_u32 s13, s3, s11
	s_and_b32 s9, s3, 0xffff
	s_mul_i32 s3, s2, s25
	s_mul_hi_u32 s16, s2, s24
	s_add_i32 s3, s16, s3
	s_mul_i32 s2, s2, s24
	s_and_b32 s13, s13, 0xffff
	s_lshl_b64 s[2:3], s[2:3], 3
	s_add_u32 s16, s14, s2
	s_addc_u32 s2, s15, s3
	s_add_u32 s20, s16, s10
	s_addc_u32 s3, s2, s11
	s_and_b32 s17, s2, 0xffff
	s_and_b32 s21, s3, 0xffff
	s_mov_b32 s7, 0x20000
	s_add_u32 s0, s0, 48
	v_mov_b32_e32 v3, 0
	s_addc_u32 s1, s1, 0
	s_mov_b64 s[2:3], 0
	s_mov_b32 s23, s7
	s_mov_b32 s22, s6
	;; [unrolled: 1-line block ×15, first 2 shown]
	v_mov_b32_e32 v12, 0x3ba10414
	v_mov_b32_e32 v13, 0xb9c68948
	;; [unrolled: 1-line block ×3, first 2 shown]
	s_brev_b32 s39, -2
                                        ; implicit-def: $vgpr0
                                        ; implicit-def: $vgpr0
	;; [unrolled: 1-line block ×4, first 2 shown]
	s_branch .LBB446_9
.LBB446_8:                              ;   in Loop: Header=BB446_9 Depth=1
	s_or_b64 exec, exec, s[10:11]
	v_fma_f32 v10, |v1|, s29, v13
	v_fma_f32 v10, |v1|, v10, s30
	;; [unrolled: 1-line block ×6, first 2 shown]
	v_fma_f32 v10, |v1|, v10, |v1|
	v_mul_f32_e32 v17, 0xbfb8aa3b, v10
	v_fma_f32 v18, v10, s36, -v17
	v_rndne_f32_e32 v19, v17
	v_fmac_f32_e32 v18, 0xb2a5705f, v10
	v_sub_f32_e32 v17, v17, v19
	v_add_f32_e32 v17, v17, v18
	v_exp_f32_e32 v17, v17
	v_cvt_i32_f32_e32 v18, v19
	s_waitcnt vmcnt(0)
	v_pk_add_f32 v[6:7], v[6:7], v[8:9]
	v_fmamk_f32 v9, v11, 0xba1345e1, v12
	v_fmaak_f32 v9, v11, v9, 0xbcdac9b8
	v_ldexp_f32 v8, v17, v18
	v_cmp_nlt_f32_e32 vcc, s37, v10
	v_fmaak_f32 v9, v11, v9, 0x3de703be
	v_fmaak_f32 v9, v11, v9, 0xbec09330
	v_cndmask_b32_e32 v8, 0, v8, vcc
	v_cmp_ngt_f32_e32 vcc, s38, v10
	v_fmaak_f32 v9, v11, v9, 0x3e0375d0
	v_fma_f32 v9, |v1|, v9, |v1|
	v_cndmask_b32_e32 v8, v14, v8, vcc
	v_sub_f32_e32 v8, 1.0, v8
	v_cmp_lt_f32_e64 vcc, |v1|, 1.0
	v_bfi_b32 v0, s39, v16, v0
	v_mul_f32_e32 v5, 0.5, v5
	v_cndmask_b32_e32 v8, v8, v9, vcc
	v_bfi_b32 v1, s39, v8, v1
	v_mul_f32_e32 v4, 0.5, v4
	v_pk_add_f32 v[0:1], v[0:1], 1.0 op_sel_hi:[1,0]
	s_nop 0
	v_pk_mul_f32 v[0:1], v[4:5], v[0:1]
	s_nop 0
	;;#ASMSTART
	v_pk_mul_f32 v[0:1], v[0:1], v[6:7]
	;;#ASMEND
	s_load_dword s10, s[0:1], 0xc
	buffer_store_dwordx2 v[0:1], v15, s[4:7], 0 offen
	s_waitcnt lgkmcnt(0)
	s_and_b32 s10, s10, 0xffff
	s_lshl_b32 s26, s10, 1
	v_lshl_add_u64 v[2:3], s[26:27], 0, v[2:3]
	v_cmp_le_i64_e32 vcc, s[24:25], v[2:3]
	s_or_b64 s[2:3], vcc, s[2:3]
	s_andn2_b64 exec, exec, s[2:3]
	s_cbranch_execz .LBB446_13
.LBB446_9:                              ; =>This Inner Loop Header: Depth=1
	v_lshlrev_b32_e32 v15, 2, v2
	s_mov_b32 s10, s22
	s_mov_b32 s11, s23
	buffer_load_dwordx2 v[0:1], v15, s[16:19], 0 offen
	buffer_load_dwordx2 v[6:7], v15, s[20:23], 0 offen
	;; [unrolled: 1-line block ×3, first 2 shown]
	s_mov_b32 s14, s22
	s_mov_b32 s15, s23
	buffer_load_dwordx2 v[8:9], v15, s[12:15], 0 offen
                                        ; implicit-def: $vgpr16
	s_waitcnt vmcnt(1)
	v_pk_add_f32 v[4:5], v[0:1], v[4:5]
	s_nop 0
	v_pk_mul_f32 v[0:1], v[4:5], s[28:29] op_sel_hi:[1,0]
	s_nop 0
	v_cmp_nlt_f32_e64 s[10:11], |v0|, 1.0
	s_and_saveexec_b64 s[14:15], s[10:11]
	s_xor_b64 s[10:11], exec, s[14:15]
	s_cbranch_execz .LBB446_11
; %bb.10:                               ;   in Loop: Header=BB446_9 Depth=1
	v_fma_f32 v10, |v0|, s29, v13
	v_fma_f32 v10, |v0|, v10, s30
	;; [unrolled: 1-line block ×6, first 2 shown]
	v_fma_f32 v10, |v0|, v10, |v0|
	v_mul_f32_e32 v11, 0xbfb8aa3b, v10
	v_fma_f32 v16, v10, s36, -v11
	v_rndne_f32_e32 v17, v11
	v_fmac_f32_e32 v16, 0xb2a5705f, v10
	v_sub_f32_e32 v11, v11, v17
	v_add_f32_e32 v11, v11, v16
	v_cvt_i32_f32_e32 v16, v17
	v_exp_f32_e32 v11, v11
	v_cmp_nlt_f32_e32 vcc, s37, v10
	v_ldexp_f32 v11, v11, v16
	s_nop 0
	v_cndmask_b32_e32 v11, 0, v11, vcc
	v_cmp_ngt_f32_e32 vcc, s38, v10
	s_nop 1
	v_cndmask_b32_e32 v10, v14, v11, vcc
	v_sub_f32_e32 v16, 1.0, v10
.LBB446_11:                             ;   in Loop: Header=BB446_9 Depth=1
	s_or_saveexec_b64 s[10:11], s[10:11]
	v_pk_mul_f32 v[10:11], v[0:1], v[0:1]
	s_xor_b64 exec, exec, s[10:11]
	s_cbranch_execz .LBB446_8
; %bb.12:                               ;   in Loop: Header=BB446_9 Depth=1
	v_fmamk_f32 v16, v10, 0xba1345e1, v12
	v_fmaak_f32 v16, v10, v16, 0xbcdac9b8
	v_fmaak_f32 v16, v10, v16, 0x3de703be
	;; [unrolled: 1-line block ×4, first 2 shown]
	v_fma_f32 v16, |v0|, v10, |v0|
	s_branch .LBB446_8
.LBB446_13:
	s_endpgm
	.section	.rodata,"a",@progbits
	.p2align	6, 0x0
	.amdhsa_kernel _ZN5aiter23act_and_mul_bias_kernelIffifTnPFfRKT2_EXadL_ZNS_11gelu_kernelIfEEfRKT_EELi2EEEvPT0_PS8_PKT1_PS2_il
		.amdhsa_group_segment_fixed_size 0
		.amdhsa_private_segment_fixed_size 0
		.amdhsa_kernarg_size 304
		.amdhsa_user_sgpr_count 2
		.amdhsa_user_sgpr_dispatch_ptr 0
		.amdhsa_user_sgpr_queue_ptr 0
		.amdhsa_user_sgpr_kernarg_segment_ptr 1
		.amdhsa_user_sgpr_dispatch_id 0
		.amdhsa_user_sgpr_kernarg_preload_length 0
		.amdhsa_user_sgpr_kernarg_preload_offset 0
		.amdhsa_user_sgpr_private_segment_size 0
		.amdhsa_uses_dynamic_stack 0
		.amdhsa_enable_private_segment 0
		.amdhsa_system_sgpr_workgroup_id_x 1
		.amdhsa_system_sgpr_workgroup_id_y 0
		.amdhsa_system_sgpr_workgroup_id_z 0
		.amdhsa_system_sgpr_workgroup_info 0
		.amdhsa_system_vgpr_workitem_id 0
		.amdhsa_next_free_vgpr 20
		.amdhsa_next_free_sgpr 40
		.amdhsa_accum_offset 20
		.amdhsa_reserve_vcc 1
		.amdhsa_float_round_mode_32 0
		.amdhsa_float_round_mode_16_64 0
		.amdhsa_float_denorm_mode_32 3
		.amdhsa_float_denorm_mode_16_64 3
		.amdhsa_dx10_clamp 1
		.amdhsa_ieee_mode 1
		.amdhsa_fp16_overflow 0
		.amdhsa_tg_split 0
		.amdhsa_exception_fp_ieee_invalid_op 0
		.amdhsa_exception_fp_denorm_src 0
		.amdhsa_exception_fp_ieee_div_zero 0
		.amdhsa_exception_fp_ieee_overflow 0
		.amdhsa_exception_fp_ieee_underflow 0
		.amdhsa_exception_fp_ieee_inexact 0
		.amdhsa_exception_int_div_zero 0
	.end_amdhsa_kernel
	.section	.text._ZN5aiter23act_and_mul_bias_kernelIffifTnPFfRKT2_EXadL_ZNS_11gelu_kernelIfEEfRKT_EELi2EEEvPT0_PS8_PKT1_PS2_il,"axG",@progbits,_ZN5aiter23act_and_mul_bias_kernelIffifTnPFfRKT2_EXadL_ZNS_11gelu_kernelIfEEfRKT_EELi2EEEvPT0_PS8_PKT1_PS2_il,comdat
.Lfunc_end446:
	.size	_ZN5aiter23act_and_mul_bias_kernelIffifTnPFfRKT2_EXadL_ZNS_11gelu_kernelIfEEfRKT_EELi2EEEvPT0_PS8_PKT1_PS2_il, .Lfunc_end446-_ZN5aiter23act_and_mul_bias_kernelIffifTnPFfRKT2_EXadL_ZNS_11gelu_kernelIfEEfRKT_EELi2EEEvPT0_PS8_PKT1_PS2_il
                                        ; -- End function
	.section	.AMDGPU.csdata,"",@progbits
; Kernel info:
; codeLenInByte = 1192
; NumSgprs: 46
; NumVgprs: 20
; NumAgprs: 0
; TotalNumVgprs: 20
; ScratchSize: 0
; MemoryBound: 0
; FloatMode: 240
; IeeeMode: 1
; LDSByteSize: 0 bytes/workgroup (compile time only)
; SGPRBlocks: 5
; VGPRBlocks: 2
; NumSGPRsForWavesPerEU: 46
; NumVGPRsForWavesPerEU: 20
; AccumOffset: 20
; Occupancy: 8
; WaveLimiterHint : 0
; COMPUTE_PGM_RSRC2:SCRATCH_EN: 0
; COMPUTE_PGM_RSRC2:USER_SGPR: 2
; COMPUTE_PGM_RSRC2:TRAP_HANDLER: 0
; COMPUTE_PGM_RSRC2:TGID_X_EN: 1
; COMPUTE_PGM_RSRC2:TGID_Y_EN: 0
; COMPUTE_PGM_RSRC2:TGID_Z_EN: 0
; COMPUTE_PGM_RSRC2:TIDIG_COMP_CNT: 0
; COMPUTE_PGM_RSRC3_GFX90A:ACCUM_OFFSET: 4
; COMPUTE_PGM_RSRC3_GFX90A:TG_SPLIT: 0
	.section	.text._ZN5aiter23act_and_mul_bias_kernelIffifTnPFfRKT2_EXadL_ZNS_11gelu_kernelIfEEfRKT_EELi1EEEvPT0_PS8_PKT1_PS2_il,"axG",@progbits,_ZN5aiter23act_and_mul_bias_kernelIffifTnPFfRKT2_EXadL_ZNS_11gelu_kernelIfEEfRKT_EELi1EEEvPT0_PS8_PKT1_PS2_il,comdat
	.protected	_ZN5aiter23act_and_mul_bias_kernelIffifTnPFfRKT2_EXadL_ZNS_11gelu_kernelIfEEfRKT_EELi1EEEvPT0_PS8_PKT1_PS2_il ; -- Begin function _ZN5aiter23act_and_mul_bias_kernelIffifTnPFfRKT2_EXadL_ZNS_11gelu_kernelIfEEfRKT_EELi1EEEvPT0_PS8_PKT1_PS2_il
	.globl	_ZN5aiter23act_and_mul_bias_kernelIffifTnPFfRKT2_EXadL_ZNS_11gelu_kernelIfEEfRKT_EELi1EEEvPT0_PS8_PKT1_PS2_il
	.p2align	8
	.type	_ZN5aiter23act_and_mul_bias_kernelIffifTnPFfRKT2_EXadL_ZNS_11gelu_kernelIfEEfRKT_EELi1EEEvPT0_PS8_PKT1_PS2_il,@function
_ZN5aiter23act_and_mul_bias_kernelIffifTnPFfRKT2_EXadL_ZNS_11gelu_kernelIfEEfRKT_EELi1EEEvPT0_PS8_PKT1_PS2_il: ; @_ZN5aiter23act_and_mul_bias_kernelIffifTnPFfRKT2_EXadL_ZNS_11gelu_kernelIfEEfRKT_EELi1EEEvPT0_PS8_PKT1_PS2_il
; %bb.0:
	s_load_dword s20, s[0:1], 0x20
	s_load_dwordx2 s[4:5], s[0:1], 0x10
	s_load_dwordx2 s[14:15], s[0:1], 0x28
	s_mov_b32 s3, 0
	s_lshl_b64 s[6:7], s[2:3], 2
	s_waitcnt lgkmcnt(0)
	s_ashr_i32 s21, s20, 31
	s_add_u32 s4, s4, s6
	s_addc_u32 s5, s5, s7
	s_load_dword s6, s[4:5], 0x0
	s_load_dwordx2 s[8:9], s[0:1], 0x0
	s_mul_hi_u32 s3, s20, s2
	s_mul_i32 s11, s21, s2
	s_add_i32 s17, s3, s11
	s_mul_i32 s16, s20, s2
	s_waitcnt lgkmcnt(0)
	s_ashr_i32 s7, s6, 31
	s_lshl_b32 s10, s20, 2
	s_lshl_b64 s[16:17], s[16:17], 2
	v_mov_b64_e32 v[2:3], s[14:15]
	v_cmp_gt_i64_e64 s[4:5], s[6:7], -1
	s_add_u32 s8, s8, s16
	v_cmp_lt_i64_e32 vcc, s[6:7], v[2:3]
	s_addc_u32 s3, s9, s17
	s_and_b64 s[4:5], s[4:5], vcc
	s_mov_b64 s[12:13], -1
	s_and_b32 s9, s3, 0xffff
	s_and_b64 vcc, exec, s[4:5]
	v_cmp_gt_i32_e64 s[4:5], s20, v0
	s_cbranch_vccnz .LBB447_5
; %bb.1:
	s_and_saveexec_b64 s[12:13], s[4:5]
	s_cbranch_execz .LBB447_4
; %bb.2:
	s_load_dword s3, s[0:1], 0x3c
	v_mov_b32_e32 v1, 0
	s_mov_b32 s5, 0
	v_lshlrev_b32_e32 v4, 2, v0
	s_mov_b64 s[14:15], 0
	s_waitcnt lgkmcnt(0)
	s_and_b32 s4, s3, 0xffff
	s_lshl_b32 s3, s4, 2
	s_mov_b32 s11, 0x20000
	v_mov_b64_e32 v[2:3], v[0:1]
.LBB447_3:                              ; =>This Inner Loop Header: Depth=1
	v_lshl_add_u64 v[2:3], v[2:3], 0, s[4:5]
	v_cmp_le_i64_e32 vcc, s[20:21], v[2:3]
	buffer_store_dword v1, v4, s[8:11], 0 offen
	s_or_b64 s[14:15], vcc, s[14:15]
	v_add_u32_e32 v4, s3, v4
	s_andn2_b64 exec, exec, s[14:15]
	s_cbranch_execnz .LBB447_3
.LBB447_4:
	s_or_b64 exec, exec, s[12:13]
	s_mov_b64 s[12:13], 0
.LBB447_5:
	s_andn2_b64 vcc, exec, s[12:13]
	s_cbranch_vccnz .LBB447_13
; %bb.6:
	v_cmp_gt_i32_e32 vcc, s20, v0
	s_and_saveexec_b64 s[4:5], vcc
	s_cbranch_execz .LBB447_13
; %bb.7:
	s_load_dwordx2 s[12:13], s[0:1], 0x8
	s_load_dwordx2 s[4:5], s[0:1], 0x18
	s_mul_hi_i32 s7, s20, s6
	s_mul_i32 s6, s20, s6
	s_lshl_b64 s[6:7], s[6:7], 3
	s_load_dword s18, s[0:1], 0x3c
	s_waitcnt lgkmcnt(0)
	s_add_u32 s4, s4, s6
	s_addc_u32 s1, s5, s7
	s_lshl_b64 s[14:15], s[20:21], 2
	s_add_u32 s0, s4, s14
	s_addc_u32 s3, s1, s15
	s_and_b32 s5, s1, 0xffff
	s_and_b32 s1, s3, 0xffff
	s_mul_i32 s3, s2, s21
	s_mul_hi_u32 s16, s2, s20
	s_add_i32 s3, s16, s3
	s_mul_i32 s2, s2, s20
	s_lshl_b64 s[2:3], s[2:3], 3
	s_add_u32 s12, s12, s2
	s_addc_u32 s2, s13, s3
	s_add_u32 s16, s12, s14
	s_mov_b32 s11, 0x20000
	s_addc_u32 s3, s2, s15
	s_and_b32 s22, s18, 0xffff
                                        ; implicit-def: $vgpr4
                                        ; implicit-def: $vgpr4
	;; [unrolled: 1-line block ×4, first 2 shown]
	s_mov_b64 s[6:7], s[10:11]
	s_and_b32 s13, s2, 0xffff
	s_and_b32 s17, s3, 0xffff
	s_mov_b32 s23, 0
	v_mov_b32_e32 v1, 0
	v_lshlrev_b32_e32 v2, 2, v0
	s_lshl_b32 s26, s22, 2
	s_mov_b64 s[24:25], 0
	s_mov_b32 s19, s11
	s_mov_b32 s18, s10
	;; [unrolled: 1-line block ×13, first 2 shown]
	v_mov_b32_e32 v3, 0x3ba10414
	s_brev_b32 s37, -2
	v_mov_b32_e32 v4, 0xb9c68948
	v_mov_b32_e32 v5, 0x7f800000
	s_branch .LBB447_9
.LBB447_8:                              ;   in Loop: Header=BB447_9 Depth=1
	s_or_b64 exec, exec, s[2:3]
	s_waitcnt vmcnt(0)
	v_add_f32_e32 v6, v6, v7
	v_mul_f32_e32 v7, 0.5, v8
	v_bfi_b32 v8, s37, v10, v9
	v_add_f32_e32 v8, 1.0, v8
	v_mul_f32_e32 v7, v7, v8
	v_lshl_add_u64 v[0:1], v[0:1], 0, s[22:23]
	v_mul_f32_e32 v6, v6, v7
	v_cmp_le_i64_e32 vcc, s[20:21], v[0:1]
	buffer_store_dword v6, v2, s[8:11], 0 offen
	s_or_b64 s[24:25], vcc, s[24:25]
	v_add_u32_e32 v2, s26, v2
	s_andn2_b64 exec, exec, s[24:25]
	s_cbranch_execz .LBB447_13
.LBB447_9:                              ; =>This Inner Loop Header: Depth=1
	buffer_load_dword v8, v2, s[12:15], 0 offen
	buffer_load_dword v6, v2, s[16:19], 0 offen
	;; [unrolled: 1-line block ×3, first 2 shown]
	s_mov_b32 s2, s6
	s_mov_b32 s3, s7
	buffer_load_dword v7, v2, s[0:3], 0 offen
                                        ; implicit-def: $vgpr10
	s_waitcnt vmcnt(1)
	v_add_f32_e32 v8, v8, v9
	v_mul_f32_e32 v9, 0x3f3504f3, v8
	v_cmp_nlt_f32_e64 s[2:3], |v9|, 1.0
	s_and_saveexec_b64 s[38:39], s[2:3]
	s_xor_b64 s[2:3], exec, s[38:39]
	s_cbranch_execz .LBB447_11
; %bb.10:                               ;   in Loop: Header=BB447_9 Depth=1
	v_fma_f32 v10, |v9|, s27, v4
	v_fma_f32 v10, |v9|, v10, s28
	;; [unrolled: 1-line block ×6, first 2 shown]
	v_fma_f32 v10, |v9|, v10, |v9|
	v_mul_f32_e32 v11, 0xbfb8aa3b, v10
	v_fma_f32 v12, v10, s34, -v11
	v_rndne_f32_e32 v13, v11
	v_fmac_f32_e32 v12, 0xb2a5705f, v10
	v_sub_f32_e32 v11, v11, v13
	v_add_f32_e32 v11, v11, v12
	v_cvt_i32_f32_e32 v12, v13
	v_exp_f32_e32 v11, v11
	v_cmp_nlt_f32_e32 vcc, s35, v10
	v_ldexp_f32 v11, v11, v12
	s_nop 0
	v_cndmask_b32_e32 v11, 0, v11, vcc
	v_cmp_ngt_f32_e32 vcc, s36, v10
	s_nop 1
	v_cndmask_b32_e32 v10, v5, v11, vcc
	v_sub_f32_e32 v10, 1.0, v10
.LBB447_11:                             ;   in Loop: Header=BB447_9 Depth=1
	s_andn2_saveexec_b64 s[2:3], s[2:3]
	s_cbranch_execz .LBB447_8
; %bb.12:                               ;   in Loop: Header=BB447_9 Depth=1
	v_mul_f32_e32 v10, v9, v9
	v_fmamk_f32 v11, v10, 0xba1345e1, v3
	v_fmaak_f32 v11, v10, v11, 0xbcdac9b8
	v_fmaak_f32 v11, v10, v11, 0x3de703be
	v_fmaak_f32 v11, v10, v11, 0xbec09330
	v_fmaak_f32 v10, v10, v11, 0x3e0375d0
	v_fma_f32 v10, |v9|, v10, |v9|
	s_branch .LBB447_8
.LBB447_13:
	s_endpgm
	.section	.rodata,"a",@progbits
	.p2align	6, 0x0
	.amdhsa_kernel _ZN5aiter23act_and_mul_bias_kernelIffifTnPFfRKT2_EXadL_ZNS_11gelu_kernelIfEEfRKT_EELi1EEEvPT0_PS8_PKT1_PS2_il
		.amdhsa_group_segment_fixed_size 0
		.amdhsa_private_segment_fixed_size 0
		.amdhsa_kernarg_size 304
		.amdhsa_user_sgpr_count 2
		.amdhsa_user_sgpr_dispatch_ptr 0
		.amdhsa_user_sgpr_queue_ptr 0
		.amdhsa_user_sgpr_kernarg_segment_ptr 1
		.amdhsa_user_sgpr_dispatch_id 0
		.amdhsa_user_sgpr_kernarg_preload_length 0
		.amdhsa_user_sgpr_kernarg_preload_offset 0
		.amdhsa_user_sgpr_private_segment_size 0
		.amdhsa_uses_dynamic_stack 0
		.amdhsa_enable_private_segment 0
		.amdhsa_system_sgpr_workgroup_id_x 1
		.amdhsa_system_sgpr_workgroup_id_y 0
		.amdhsa_system_sgpr_workgroup_id_z 0
		.amdhsa_system_sgpr_workgroup_info 0
		.amdhsa_system_vgpr_workitem_id 0
		.amdhsa_next_free_vgpr 14
		.amdhsa_next_free_sgpr 40
		.amdhsa_accum_offset 16
		.amdhsa_reserve_vcc 1
		.amdhsa_float_round_mode_32 0
		.amdhsa_float_round_mode_16_64 0
		.amdhsa_float_denorm_mode_32 3
		.amdhsa_float_denorm_mode_16_64 3
		.amdhsa_dx10_clamp 1
		.amdhsa_ieee_mode 1
		.amdhsa_fp16_overflow 0
		.amdhsa_tg_split 0
		.amdhsa_exception_fp_ieee_invalid_op 0
		.amdhsa_exception_fp_denorm_src 0
		.amdhsa_exception_fp_ieee_div_zero 0
		.amdhsa_exception_fp_ieee_overflow 0
		.amdhsa_exception_fp_ieee_underflow 0
		.amdhsa_exception_fp_ieee_inexact 0
		.amdhsa_exception_int_div_zero 0
	.end_amdhsa_kernel
	.section	.text._ZN5aiter23act_and_mul_bias_kernelIffifTnPFfRKT2_EXadL_ZNS_11gelu_kernelIfEEfRKT_EELi1EEEvPT0_PS8_PKT1_PS2_il,"axG",@progbits,_ZN5aiter23act_and_mul_bias_kernelIffifTnPFfRKT2_EXadL_ZNS_11gelu_kernelIfEEfRKT_EELi1EEEvPT0_PS8_PKT1_PS2_il,comdat
.Lfunc_end447:
	.size	_ZN5aiter23act_and_mul_bias_kernelIffifTnPFfRKT2_EXadL_ZNS_11gelu_kernelIfEEfRKT_EELi1EEEvPT0_PS8_PKT1_PS2_il, .Lfunc_end447-_ZN5aiter23act_and_mul_bias_kernelIffifTnPFfRKT2_EXadL_ZNS_11gelu_kernelIfEEfRKT_EELi1EEEvPT0_PS8_PKT1_PS2_il
                                        ; -- End function
	.section	.AMDGPU.csdata,"",@progbits
; Kernel info:
; codeLenInByte = 916
; NumSgprs: 46
; NumVgprs: 14
; NumAgprs: 0
; TotalNumVgprs: 14
; ScratchSize: 0
; MemoryBound: 0
; FloatMode: 240
; IeeeMode: 1
; LDSByteSize: 0 bytes/workgroup (compile time only)
; SGPRBlocks: 5
; VGPRBlocks: 1
; NumSGPRsForWavesPerEU: 46
; NumVGPRsForWavesPerEU: 14
; AccumOffset: 16
; Occupancy: 8
; WaveLimiterHint : 0
; COMPUTE_PGM_RSRC2:SCRATCH_EN: 0
; COMPUTE_PGM_RSRC2:USER_SGPR: 2
; COMPUTE_PGM_RSRC2:TRAP_HANDLER: 0
; COMPUTE_PGM_RSRC2:TGID_X_EN: 1
; COMPUTE_PGM_RSRC2:TGID_Y_EN: 0
; COMPUTE_PGM_RSRC2:TGID_Z_EN: 0
; COMPUTE_PGM_RSRC2:TIDIG_COMP_CNT: 0
; COMPUTE_PGM_RSRC3_GFX90A:ACCUM_OFFSET: 3
; COMPUTE_PGM_RSRC3_GFX90A:TG_SPLIT: 0
	.section	.text._ZN5aiter23act_and_mul_bias_kernelIDF16_DF16_ifTnPFfRKT2_EXadL_ZNS_11gelu_kernelIfEEfRKT_EELi32EEEvPT0_PS8_PKT1_PS2_il,"axG",@progbits,_ZN5aiter23act_and_mul_bias_kernelIDF16_DF16_ifTnPFfRKT2_EXadL_ZNS_11gelu_kernelIfEEfRKT_EELi32EEEvPT0_PS8_PKT1_PS2_il,comdat
	.protected	_ZN5aiter23act_and_mul_bias_kernelIDF16_DF16_ifTnPFfRKT2_EXadL_ZNS_11gelu_kernelIfEEfRKT_EELi32EEEvPT0_PS8_PKT1_PS2_il ; -- Begin function _ZN5aiter23act_and_mul_bias_kernelIDF16_DF16_ifTnPFfRKT2_EXadL_ZNS_11gelu_kernelIfEEfRKT_EELi32EEEvPT0_PS8_PKT1_PS2_il
	.globl	_ZN5aiter23act_and_mul_bias_kernelIDF16_DF16_ifTnPFfRKT2_EXadL_ZNS_11gelu_kernelIfEEfRKT_EELi32EEEvPT0_PS8_PKT1_PS2_il
	.p2align	8
	.type	_ZN5aiter23act_and_mul_bias_kernelIDF16_DF16_ifTnPFfRKT2_EXadL_ZNS_11gelu_kernelIfEEfRKT_EELi32EEEvPT0_PS8_PKT1_PS2_il,@function
_ZN5aiter23act_and_mul_bias_kernelIDF16_DF16_ifTnPFfRKT2_EXadL_ZNS_11gelu_kernelIfEEfRKT_EELi32EEEvPT0_PS8_PKT1_PS2_il: ; @_ZN5aiter23act_and_mul_bias_kernelIDF16_DF16_ifTnPFfRKT2_EXadL_ZNS_11gelu_kernelIfEEfRKT_EELi32EEEvPT0_PS8_PKT1_PS2_il
; %bb.0:
	s_load_dword s24, s[0:1], 0x20
	s_load_dwordx2 s[4:5], s[0:1], 0x10
	s_load_dwordx2 s[12:13], s[0:1], 0x28
	s_mov_b32 s3, 0
	s_lshl_b64 s[6:7], s[2:3], 2
	s_waitcnt lgkmcnt(0)
	s_ashr_i32 s25, s24, 31
	s_add_u32 s4, s4, s6
	s_addc_u32 s5, s5, s7
	s_add_i32 s3, s24, 1
	s_load_dword s8, s[4:5], 0x0
	s_load_dwordx2 s[14:15], s[0:1], 0x0
	s_lshr_b32 s4, s3, 31
	s_add_i32 s3, s3, s4
	s_lshl_b32 s3, s3, 1
	s_and_b32 s6, s3, -4
	s_mul_hi_u32 s3, s24, s2
	s_mul_i32 s4, s25, s2
	s_add_i32 s5, s3, s4
	s_mul_i32 s4, s24, s2
	s_waitcnt lgkmcnt(0)
	s_ashr_i32 s9, s8, 31
	s_lshl_b64 s[4:5], s[4:5], 1
	v_mov_b64_e32 v[2:3], s[12:13]
	v_cmp_gt_i64_e64 s[16:17], s[8:9], -1
	s_add_u32 s4, s14, s4
	v_cmp_lt_i64_e32 vcc, s[8:9], v[2:3]
	s_addc_u32 s3, s15, s5
	s_and_b64 s[12:13], s[16:17], vcc
	s_mov_b64 s[10:11], -1
	s_and_b32 s5, s3, 0xffff
	s_and_b64 vcc, exec, s[12:13]
	v_lshlrev_b32_e32 v96, 5, v0
	s_cbranch_vccnz .LBB448_5
; %bb.1:
	v_cmp_gt_i32_e32 vcc, s24, v96
	s_and_saveexec_b64 s[10:11], vcc
	s_cbranch_execz .LBB448_4
; %bb.2:
	s_load_dword s3, s[0:1], 0x3c
	s_mov_b32 s13, 0
	s_mov_b32 s16, s13
	;; [unrolled: 1-line block ×3, first 2 shown]
	v_mov_b32_e32 v97, 0
	v_lshlrev_b32_e32 v6, 6, v0
	s_waitcnt lgkmcnt(0)
	s_and_b32 s3, s3, 0xffff
	s_mov_b32 s18, s13
	s_mov_b32 s19, s13
	v_mov_b64_e32 v[0:1], s[16:17]
	s_lshl_b32 s12, s3, 5
	s_lshl_b32 s3, s3, 6
	s_mov_b64 s[14:15], 0
	s_mov_b32 s7, 0x20000
	v_mov_b64_e32 v[2:3], s[18:19]
	v_mov_b64_e32 v[4:5], v[96:97]
.LBB448_3:                              ; =>This Inner Loop Header: Depth=1
	v_lshl_add_u64 v[4:5], s[12:13], 0, v[4:5]
	v_cmp_le_i64_e32 vcc, s[24:25], v[4:5]
	buffer_store_dwordx4 v[0:3], v6, s[4:7], 0 offen
	buffer_store_dwordx4 v[0:3], v6, s[4:7], 16 offen
	;; [unrolled: 1-line block ×4, first 2 shown]
	s_or_b64 s[14:15], vcc, s[14:15]
	v_add_u32_e32 v6, s3, v6
	s_andn2_b64 exec, exec, s[14:15]
	s_cbranch_execnz .LBB448_3
.LBB448_4:
	s_or_b64 exec, exec, s[10:11]
	s_mov_b64 s[10:11], 0
.LBB448_5:
	s_andn2_b64 vcc, exec, s[10:11]
	s_cbranch_vccnz .LBB448_137
; %bb.6:
	v_cmp_gt_i32_e32 vcc, s24, v96
	s_and_saveexec_b64 s[10:11], vcc
	s_cbranch_execz .LBB448_137
; %bb.7:
	s_load_dwordx2 s[10:11], s[0:1], 0x18
	s_load_dwordx2 s[14:15], s[0:1], 0x8
	s_mul_hi_i32 s9, s24, s8
	s_mul_i32 s8, s24, s8
	s_lshl_b64 s[8:9], s[8:9], 3
	s_waitcnt lgkmcnt(0)
	s_add_u32 s8, s10, s8
	s_addc_u32 s3, s11, s9
	s_lshl_b64 s[10:11], s[24:25], 2
	s_add_u32 s12, s8, s10
	s_addc_u32 s13, s3, s11
	s_and_b32 s9, s3, 0xffff
	s_mul_i32 s3, s2, s25
	s_mul_hi_u32 s16, s2, s24
	s_add_i32 s3, s16, s3
	s_mul_i32 s2, s2, s24
	s_lshl_b32 s10, s24, 2
	s_and_b32 s13, s13, 0xffff
	s_lshl_b64 s[2:3], s[2:3], 2
	s_add_u32 s16, s14, s2
	s_addc_u32 s14, s15, s3
	s_lshl_b64 s[2:3], s[24:25], 1
	s_add_u32 s20, s16, s2
	s_addc_u32 s2, s14, s3
	s_and_b32 s17, s14, 0xffff
	s_and_b32 s21, s2, 0xffff
	s_mov_b32 s7, 0x20000
	s_add_u32 s0, s0, 48
	s_mov_b32 s11, s7
	s_mov_b64 s[22:23], s[6:7]
	v_mov_b32_e32 v97, 0
	s_addc_u32 s1, s1, 0
	s_mov_b64 s[2:3], 0
	s_mov_b32 s18, s6
	s_mov_b32 s19, s7
	s_mov_b32 s27, 0
	s_movk_i32 s28, 0x50
	s_movk_i32 s29, 0x60
	;; [unrolled: 1-line block ×3, first 2 shown]
	s_mov_b32 s31, 0x378e98ab
	s_mov_b32 s33, 0x3b7cd369
	;; [unrolled: 1-line block ×9, first 2 shown]
	v_mov_b32_e32 v98, 0x3ba10414
	s_brev_b32 s41, -2
	v_mov_b32_e32 v99, 0xb9c68948
	v_mov_b32_e32 v100, 0x7f800000
                                        ; implicit-def: $vgpr0
                                        ; implicit-def: $vgpr0
	;; [unrolled: 1-line block ×4, first 2 shown]
	s_branch .LBB448_9
.LBB448_8:                              ;   in Loop: Header=BB448_9 Depth=1
	s_or_b64 exec, exec, s[14:15]
	v_cvt_f32_f16_sdwa v13, v3 dst_sel:DWORD dst_unused:UNUSED_PAD src0_sel:WORD_1
	v_bfi_b32 v2, s41, v12, v2
	v_cvt_f16_f32_e32 v14, v1
	v_bfi_b32 v1, s41, v11, v10
	v_add_f32_e32 v7, v7, v13
	v_cvt_f16_f32_e32 v13, v0
	v_cvt_f32_f16_e32 v0, v3
	v_mul_f32_e32 v8, 0.5, v8
	v_add_f32_e32 v2, 1.0, v2
	v_add_f32_e32 v1, 1.0, v1
	v_add_f32_e32 v6, v6, v0
	v_mul_f32_e32 v0, 0.5, v9
	v_mul_f32_e32 v2, v8, v2
	v_mul_f32_e32 v3, v0, v1
	;;#ASMSTART
	v_pk_mul_f32 v[0:1], v[2:3], v[6:7]
	;;#ASMEND
	s_load_dword s14, s[0:1], 0xc
	v_cvt_f16_f32_e32 v31, v88
	v_cvt_f16_f32_e32 v32, v89
	;; [unrolled: 1-line block ×30, first 2 shown]
	s_waitcnt lgkmcnt(0)
	s_and_b32 s14, s14, 0xffff
	v_pack_b32_f16 v3, v37, v38
	v_pack_b32_f16 v2, v35, v36
	;; [unrolled: 1-line block ×4, first 2 shown]
	s_lshl_b32 s26, s14, 5
	buffer_store_dwordx4 v[0:3], v101, s[4:7], 0 offen
	v_lshl_add_u64 v[96:97], s[26:27], 0, v[96:97]
	v_cmp_le_i64_e32 vcc, s[24:25], v[96:97]
	v_pack_b32_f16 v3, v29, v30
	v_pack_b32_f16 v2, v27, v28
	;; [unrolled: 1-line block ×4, first 2 shown]
	buffer_store_dwordx4 v[0:3], v101, s[4:7], 16 offen
	s_or_b64 s[2:3], vcc, s[2:3]
	s_nop 0
	v_pack_b32_f16 v3, v21, v22
	v_pack_b32_f16 v2, v19, v20
	;; [unrolled: 1-line block ×4, first 2 shown]
	buffer_store_dwordx4 v[0:3], v101, s[4:7], 32 offen
	s_nop 1
	v_pack_b32_f16 v3, v6, v7
	v_pack_b32_f16 v2, v4, v5
	v_pack_b32_f16 v1, v13, v14
	v_pack_b32_f16 v0, v8, v12
	buffer_store_dwordx4 v[0:3], v101, s[4:7], 48 offen
	s_andn2_b64 exec, exec, s[2:3]
	s_cbranch_execz .LBB448_137
.LBB448_9:                              ; =>This Inner Loop Header: Depth=1
	v_lshlrev_b32_e32 v101, 1, v96
	v_lshlrev_b32_e32 v4, 2, v96
	s_mov_b32 s14, s10
	s_mov_b32 s15, s11
	buffer_load_dwordx4 v[80:83], v101, s[16:19], 0 offen
	buffer_load_dwordx4 v[56:59], v101, s[16:19], 16 offen
	;; [unrolled: 1-line block ×23, first 2 shown]
	s_nop 0
	buffer_load_dwordx4 v[4:7], v4, s[12:15], s30 offen
                                        ; implicit-def: $vgpr103
	s_waitcnt vmcnt(23)
	v_cvt_f32_f16_e32 v102, v80
	s_waitcnt vmcnt(15)
	v_add_f32_e32 v92, v92, v102
	v_mul_f32_e32 v102, 0x3f3504f3, v92
	v_cmp_nlt_f32_e64 s[14:15], |v102|, 1.0
	s_and_saveexec_b64 s[42:43], s[14:15]
	s_xor_b64 s[14:15], exec, s[42:43]
	s_cbranch_execz .LBB448_11
; %bb.10:                               ;   in Loop: Header=BB448_9 Depth=1
	v_fma_f32 v103, |v102|, s31, v99
	v_fma_f32 v103, |v102|, v103, s33
	;; [unrolled: 1-line block ×6, first 2 shown]
	v_fma_f32 v103, |v102|, v103, |v102|
	v_mul_f32_e32 v104, 0xbfb8aa3b, v103
	v_fma_f32 v105, v103, s38, -v104
	v_rndne_f32_e32 v106, v104
	v_fmac_f32_e32 v105, 0xb2a5705f, v103
	v_sub_f32_e32 v104, v104, v106
	v_add_f32_e32 v104, v104, v105
	v_cvt_i32_f32_e32 v105, v106
	v_exp_f32_e32 v104, v104
	v_cmp_nlt_f32_e32 vcc, s39, v103
	v_ldexp_f32 v104, v104, v105
	s_nop 0
	v_cndmask_b32_e32 v104, 0, v104, vcc
	v_cmp_ngt_f32_e32 vcc, s40, v103
	s_nop 1
	v_cndmask_b32_e32 v103, v100, v104, vcc
	v_sub_f32_e32 v103, 1.0, v103
.LBB448_11:                             ;   in Loop: Header=BB448_9 Depth=1
	s_andn2_saveexec_b64 s[14:15], s[14:15]
; %bb.12:                               ;   in Loop: Header=BB448_9 Depth=1
	v_mul_f32_e32 v103, v102, v102
	v_fmamk_f32 v104, v103, 0xba1345e1, v98
	v_fmaak_f32 v104, v103, v104, 0xbcdac9b8
	v_fmaak_f32 v104, v103, v104, 0x3de703be
	v_fmaak_f32 v104, v103, v104, 0xbec09330
	v_fmaak_f32 v103, v103, v104, 0x3e0375d0
	v_fma_f32 v103, |v102|, v103, |v102|
; %bb.13:                               ;   in Loop: Header=BB448_9 Depth=1
	s_or_b64 exec, exec, s[14:15]
	v_cvt_f32_f16_sdwa v80, v80 dst_sel:DWORD dst_unused:UNUSED_PAD src0_sel:WORD_1
                                        ; implicit-def: $vgpr104
	v_add_f32_e32 v80, v93, v80
	v_mul_f32_e32 v93, 0x3f3504f3, v80
	v_cmp_nlt_f32_e64 s[14:15], |v93|, 1.0
	s_and_saveexec_b64 s[42:43], s[14:15]
	s_xor_b64 s[14:15], exec, s[42:43]
	s_cbranch_execz .LBB448_15
; %bb.14:                               ;   in Loop: Header=BB448_9 Depth=1
	v_fma_f32 v104, |v93|, s31, v99
	v_fma_f32 v104, |v93|, v104, s33
	;; [unrolled: 1-line block ×6, first 2 shown]
	v_fma_f32 v104, |v93|, v104, |v93|
	v_mul_f32_e32 v105, 0xbfb8aa3b, v104
	v_fma_f32 v106, v104, s38, -v105
	v_rndne_f32_e32 v107, v105
	v_fmac_f32_e32 v106, 0xb2a5705f, v104
	v_sub_f32_e32 v105, v105, v107
	v_add_f32_e32 v105, v105, v106
	v_cvt_i32_f32_e32 v106, v107
	v_exp_f32_e32 v105, v105
	v_cmp_nlt_f32_e32 vcc, s39, v104
	v_ldexp_f32 v105, v105, v106
	s_nop 0
	v_cndmask_b32_e32 v105, 0, v105, vcc
	v_cmp_ngt_f32_e32 vcc, s40, v104
	s_nop 1
	v_cndmask_b32_e32 v104, v100, v105, vcc
	v_sub_f32_e32 v104, 1.0, v104
.LBB448_15:                             ;   in Loop: Header=BB448_9 Depth=1
	s_andn2_saveexec_b64 s[14:15], s[14:15]
; %bb.16:                               ;   in Loop: Header=BB448_9 Depth=1
	v_mul_f32_e32 v104, v93, v93
	v_fmamk_f32 v105, v104, 0xba1345e1, v98
	v_fmaak_f32 v105, v104, v105, 0xbcdac9b8
	v_fmaak_f32 v105, v104, v105, 0x3de703be
	;; [unrolled: 1-line block ×4, first 2 shown]
	v_fma_f32 v104, |v93|, v104, |v93|
; %bb.17:                               ;   in Loop: Header=BB448_9 Depth=1
	s_or_b64 exec, exec, s[14:15]
	v_bfi_b32 v102, s41, v103, v102
	v_cvt_f32_f16_sdwa v103, v72 dst_sel:DWORD dst_unused:UNUSED_PAD src0_sel:WORD_1
	v_cvt_f32_f16_e32 v72, v72
	v_mul_f32_e32 v92, 0.5, v92
	v_add_f32_e32 v102, 1.0, v102
	v_mul_f32_e32 v92, v92, v102
	v_cvt_f32_f16_e32 v102, v81
	s_waitcnt vmcnt(7)
	v_add_f32_e32 v88, v88, v72
	v_mul_f32_e32 v72, 0.5, v80
	v_bfi_b32 v80, s41, v104, v93
	v_add_f32_e32 v80, 1.0, v80
	v_mul_f32_e32 v93, v72, v80
	v_add_f32_e32 v72, v94, v102
	v_mul_f32_e32 v80, 0x3f3504f3, v72
	v_add_f32_e32 v89, v89, v103
	v_cmp_nlt_f32_e64 s[14:15], |v80|, 1.0
	;;#ASMSTART
	v_pk_mul_f32 v[88:89], v[92:93], v[88:89]
	;;#ASMEND
                                        ; implicit-def: $vgpr92
	s_and_saveexec_b64 s[42:43], s[14:15]
	s_xor_b64 s[14:15], exec, s[42:43]
	s_cbranch_execz .LBB448_19
; %bb.18:                               ;   in Loop: Header=BB448_9 Depth=1
	v_fma_f32 v92, |v80|, s31, v99
	v_fma_f32 v92, |v80|, v92, s33
	;; [unrolled: 1-line block ×6, first 2 shown]
	v_fma_f32 v92, |v80|, v92, |v80|
	v_mul_f32_e32 v93, 0xbfb8aa3b, v92
	v_fma_f32 v94, v92, s38, -v93
	v_rndne_f32_e32 v102, v93
	v_fmac_f32_e32 v94, 0xb2a5705f, v92
	v_sub_f32_e32 v93, v93, v102
	v_add_f32_e32 v93, v93, v94
	v_cvt_i32_f32_e32 v94, v102
	v_exp_f32_e32 v93, v93
	v_cmp_nlt_f32_e32 vcc, s39, v92
	v_ldexp_f32 v93, v93, v94
	s_nop 0
	v_cndmask_b32_e32 v93, 0, v93, vcc
	v_cmp_ngt_f32_e32 vcc, s40, v92
	s_nop 1
	v_cndmask_b32_e32 v92, v100, v93, vcc
	v_sub_f32_e32 v92, 1.0, v92
.LBB448_19:                             ;   in Loop: Header=BB448_9 Depth=1
	s_andn2_saveexec_b64 s[14:15], s[14:15]
; %bb.20:                               ;   in Loop: Header=BB448_9 Depth=1
	v_mul_f32_e32 v92, v80, v80
	v_fmamk_f32 v93, v92, 0xba1345e1, v98
	v_fmaak_f32 v93, v92, v93, 0xbcdac9b8
	v_fmaak_f32 v93, v92, v93, 0x3de703be
	;; [unrolled: 1-line block ×4, first 2 shown]
	v_fma_f32 v92, |v80|, v92, |v80|
; %bb.21:                               ;   in Loop: Header=BB448_9 Depth=1
	s_or_b64 exec, exec, s[14:15]
	v_cvt_f32_f16_sdwa v81, v81 dst_sel:DWORD dst_unused:UNUSED_PAD src0_sel:WORD_1
                                        ; implicit-def: $vgpr94
	v_add_f32_e32 v81, v95, v81
	v_mul_f32_e32 v93, 0x3f3504f3, v81
	v_cmp_nlt_f32_e64 s[14:15], |v93|, 1.0
	s_and_saveexec_b64 s[42:43], s[14:15]
	s_xor_b64 s[14:15], exec, s[42:43]
	s_cbranch_execz .LBB448_23
; %bb.22:                               ;   in Loop: Header=BB448_9 Depth=1
	v_fma_f32 v94, |v93|, s31, v99
	v_fma_f32 v94, |v93|, v94, s33
	;; [unrolled: 1-line block ×6, first 2 shown]
	v_fma_f32 v94, |v93|, v94, |v93|
	v_mul_f32_e32 v95, 0xbfb8aa3b, v94
	v_fma_f32 v102, v94, s38, -v95
	v_rndne_f32_e32 v103, v95
	v_fmac_f32_e32 v102, 0xb2a5705f, v94
	v_sub_f32_e32 v95, v95, v103
	v_add_f32_e32 v95, v95, v102
	v_cvt_i32_f32_e32 v102, v103
	v_exp_f32_e32 v95, v95
	v_cmp_nlt_f32_e32 vcc, s39, v94
	v_ldexp_f32 v95, v95, v102
	s_nop 0
	v_cndmask_b32_e32 v95, 0, v95, vcc
	v_cmp_ngt_f32_e32 vcc, s40, v94
	s_nop 1
	v_cndmask_b32_e32 v94, v100, v95, vcc
	v_sub_f32_e32 v94, 1.0, v94
.LBB448_23:                             ;   in Loop: Header=BB448_9 Depth=1
	s_andn2_saveexec_b64 s[14:15], s[14:15]
; %bb.24:                               ;   in Loop: Header=BB448_9 Depth=1
	v_mul_f32_e32 v94, v93, v93
	v_fmamk_f32 v95, v94, 0xba1345e1, v98
	v_fmaak_f32 v95, v94, v95, 0xbcdac9b8
	v_fmaak_f32 v95, v94, v95, 0x3de703be
	;; [unrolled: 1-line block ×4, first 2 shown]
	v_fma_f32 v94, |v93|, v94, |v93|
; %bb.25:                               ;   in Loop: Header=BB448_9 Depth=1
	s_or_b64 exec, exec, s[14:15]
	v_bfi_b32 v80, s41, v92, v80
	v_cvt_f32_f16_sdwa v92, v73 dst_sel:DWORD dst_unused:UNUSED_PAD src0_sel:WORD_1
	v_cvt_f32_f16_e32 v73, v73
	v_mul_f32_e32 v72, 0.5, v72
	v_add_f32_e32 v80, 1.0, v80
	v_mul_f32_e32 v72, v72, v80
	v_add_f32_e32 v90, v90, v73
	v_mul_f32_e32 v73, 0.5, v81
	v_cvt_f32_f16_e32 v81, v82
	v_bfi_b32 v80, s41, v94, v93
	v_add_f32_e32 v80, 1.0, v80
	v_mul_f32_e32 v73, v73, v80
	v_add_f32_e32 v80, v84, v81
	v_mul_f32_e32 v81, 0x3f3504f3, v80
	v_cmp_nlt_f32_e64 s[14:15], |v81|, 1.0
	v_add_f32_e32 v91, v91, v92
	;;#ASMSTART
	v_pk_mul_f32 v[72:73], v[72:73], v[90:91]
	;;#ASMEND
                                        ; implicit-def: $vgpr84
	s_and_saveexec_b64 s[42:43], s[14:15]
	s_xor_b64 s[14:15], exec, s[42:43]
	s_cbranch_execz .LBB448_27
; %bb.26:                               ;   in Loop: Header=BB448_9 Depth=1
	v_fma_f32 v84, |v81|, s31, v99
	v_fma_f32 v84, |v81|, v84, s33
	;; [unrolled: 1-line block ×6, first 2 shown]
	v_fma_f32 v84, |v81|, v84, |v81|
	v_mul_f32_e32 v90, 0xbfb8aa3b, v84
	v_fma_f32 v91, v84, s38, -v90
	v_rndne_f32_e32 v92, v90
	v_fmac_f32_e32 v91, 0xb2a5705f, v84
	v_sub_f32_e32 v90, v90, v92
	v_add_f32_e32 v90, v90, v91
	v_cvt_i32_f32_e32 v91, v92
	v_exp_f32_e32 v90, v90
	v_cmp_nlt_f32_e32 vcc, s39, v84
	v_ldexp_f32 v90, v90, v91
	s_nop 0
	v_cndmask_b32_e32 v90, 0, v90, vcc
	v_cmp_ngt_f32_e32 vcc, s40, v84
	s_nop 1
	v_cndmask_b32_e32 v84, v100, v90, vcc
	v_sub_f32_e32 v84, 1.0, v84
.LBB448_27:                             ;   in Loop: Header=BB448_9 Depth=1
	s_andn2_saveexec_b64 s[14:15], s[14:15]
; %bb.28:                               ;   in Loop: Header=BB448_9 Depth=1
	v_mul_f32_e32 v84, v81, v81
	v_fmamk_f32 v90, v84, 0xba1345e1, v98
	v_fmaak_f32 v90, v84, v90, 0xbcdac9b8
	v_fmaak_f32 v90, v84, v90, 0x3de703be
	;; [unrolled: 1-line block ×4, first 2 shown]
	v_fma_f32 v84, |v81|, v84, |v81|
; %bb.29:                               ;   in Loop: Header=BB448_9 Depth=1
	s_or_b64 exec, exec, s[14:15]
	v_cvt_f32_f16_sdwa v82, v82 dst_sel:DWORD dst_unused:UNUSED_PAD src0_sel:WORD_1
                                        ; implicit-def: $vgpr90
	v_add_f32_e32 v82, v85, v82
	v_mul_f32_e32 v85, 0x3f3504f3, v82
	v_cmp_nlt_f32_e64 s[14:15], |v85|, 1.0
	s_and_saveexec_b64 s[42:43], s[14:15]
	s_xor_b64 s[14:15], exec, s[42:43]
	s_cbranch_execz .LBB448_31
; %bb.30:                               ;   in Loop: Header=BB448_9 Depth=1
	v_fma_f32 v90, |v85|, s31, v99
	v_fma_f32 v90, |v85|, v90, s33
	;; [unrolled: 1-line block ×6, first 2 shown]
	v_fma_f32 v90, |v85|, v90, |v85|
	v_mul_f32_e32 v91, 0xbfb8aa3b, v90
	v_fma_f32 v92, v90, s38, -v91
	v_rndne_f32_e32 v93, v91
	v_fmac_f32_e32 v92, 0xb2a5705f, v90
	v_sub_f32_e32 v91, v91, v93
	v_add_f32_e32 v91, v91, v92
	v_cvt_i32_f32_e32 v92, v93
	v_exp_f32_e32 v91, v91
	v_cmp_nlt_f32_e32 vcc, s39, v90
	v_ldexp_f32 v91, v91, v92
	s_nop 0
	v_cndmask_b32_e32 v91, 0, v91, vcc
	v_cmp_ngt_f32_e32 vcc, s40, v90
	s_nop 1
	v_cndmask_b32_e32 v90, v100, v91, vcc
	v_sub_f32_e32 v90, 1.0, v90
.LBB448_31:                             ;   in Loop: Header=BB448_9 Depth=1
	s_andn2_saveexec_b64 s[14:15], s[14:15]
; %bb.32:                               ;   in Loop: Header=BB448_9 Depth=1
	v_mul_f32_e32 v90, v85, v85
	v_fmamk_f32 v91, v90, 0xba1345e1, v98
	v_fmaak_f32 v91, v90, v91, 0xbcdac9b8
	v_fmaak_f32 v91, v90, v91, 0x3de703be
	;; [unrolled: 1-line block ×4, first 2 shown]
	v_fma_f32 v90, |v85|, v90, |v85|
; %bb.33:                               ;   in Loop: Header=BB448_9 Depth=1
	s_or_b64 exec, exec, s[14:15]
	v_bfi_b32 v81, s41, v84, v81
	v_cvt_f32_f16_sdwa v84, v74 dst_sel:DWORD dst_unused:UNUSED_PAD src0_sel:WORD_1
	v_cvt_f32_f16_e32 v74, v74
	v_mul_f32_e32 v80, 0.5, v80
	v_add_f32_e32 v81, 1.0, v81
	v_mul_f32_e32 v80, v80, v81
	s_waitcnt vmcnt(6)
	v_add_f32_e32 v76, v76, v74
	v_mul_f32_e32 v74, 0.5, v82
	v_cvt_f32_f16_e32 v82, v83
	v_bfi_b32 v81, s41, v90, v85
	v_add_f32_e32 v81, 1.0, v81
	v_add_f32_e32 v77, v77, v84
	v_mul_f32_e32 v81, v74, v81
	v_add_f32_e32 v74, v86, v82
	;;#ASMSTART
	v_pk_mul_f32 v[76:77], v[80:81], v[76:77]
	;;#ASMEND
	v_mul_f32_e32 v80, 0x3f3504f3, v74
	v_cmp_nlt_f32_e64 s[14:15], |v80|, 1.0
                                        ; implicit-def: $vgpr81
	s_and_saveexec_b64 s[42:43], s[14:15]
	s_xor_b64 s[14:15], exec, s[42:43]
	s_cbranch_execz .LBB448_35
; %bb.34:                               ;   in Loop: Header=BB448_9 Depth=1
	v_fma_f32 v81, |v80|, s31, v99
	v_fma_f32 v81, |v80|, v81, s33
	;; [unrolled: 1-line block ×6, first 2 shown]
	v_fma_f32 v81, |v80|, v81, |v80|
	v_mul_f32_e32 v82, 0xbfb8aa3b, v81
	v_fma_f32 v84, v81, s38, -v82
	v_rndne_f32_e32 v85, v82
	v_fmac_f32_e32 v84, 0xb2a5705f, v81
	v_sub_f32_e32 v82, v82, v85
	v_add_f32_e32 v82, v82, v84
	v_cvt_i32_f32_e32 v84, v85
	v_exp_f32_e32 v82, v82
	v_cmp_nlt_f32_e32 vcc, s39, v81
	v_ldexp_f32 v82, v82, v84
	s_nop 0
	v_cndmask_b32_e32 v82, 0, v82, vcc
	v_cmp_ngt_f32_e32 vcc, s40, v81
	s_nop 1
	v_cndmask_b32_e32 v81, v100, v82, vcc
	v_sub_f32_e32 v81, 1.0, v81
.LBB448_35:                             ;   in Loop: Header=BB448_9 Depth=1
	s_andn2_saveexec_b64 s[14:15], s[14:15]
; %bb.36:                               ;   in Loop: Header=BB448_9 Depth=1
	v_mul_f32_e32 v81, v80, v80
	v_fmamk_f32 v82, v81, 0xba1345e1, v98
	v_fmaak_f32 v82, v81, v82, 0xbcdac9b8
	v_fmaak_f32 v82, v81, v82, 0x3de703be
	;; [unrolled: 1-line block ×4, first 2 shown]
	v_fma_f32 v81, |v80|, v81, |v80|
; %bb.37:                               ;   in Loop: Header=BB448_9 Depth=1
	s_or_b64 exec, exec, s[14:15]
	v_cvt_f32_f16_sdwa v82, v83 dst_sel:DWORD dst_unused:UNUSED_PAD src0_sel:WORD_1
                                        ; implicit-def: $vgpr84
	v_add_f32_e32 v82, v87, v82
	v_mul_f32_e32 v83, 0x3f3504f3, v82
	v_cmp_nlt_f32_e64 s[14:15], |v83|, 1.0
	s_and_saveexec_b64 s[42:43], s[14:15]
	s_xor_b64 s[14:15], exec, s[42:43]
	s_cbranch_execz .LBB448_39
; %bb.38:                               ;   in Loop: Header=BB448_9 Depth=1
	v_fma_f32 v84, |v83|, s31, v99
	v_fma_f32 v84, |v83|, v84, s33
	;; [unrolled: 1-line block ×6, first 2 shown]
	v_fma_f32 v84, |v83|, v84, |v83|
	v_mul_f32_e32 v85, 0xbfb8aa3b, v84
	v_fma_f32 v86, v84, s38, -v85
	v_rndne_f32_e32 v87, v85
	v_fmac_f32_e32 v86, 0xb2a5705f, v84
	v_sub_f32_e32 v85, v85, v87
	v_add_f32_e32 v85, v85, v86
	v_cvt_i32_f32_e32 v86, v87
	v_exp_f32_e32 v85, v85
	v_cmp_nlt_f32_e32 vcc, s39, v84
	v_ldexp_f32 v85, v85, v86
	s_nop 0
	v_cndmask_b32_e32 v85, 0, v85, vcc
	v_cmp_ngt_f32_e32 vcc, s40, v84
	s_nop 1
	v_cndmask_b32_e32 v84, v100, v85, vcc
	v_sub_f32_e32 v84, 1.0, v84
.LBB448_39:                             ;   in Loop: Header=BB448_9 Depth=1
	s_andn2_saveexec_b64 s[14:15], s[14:15]
; %bb.40:                               ;   in Loop: Header=BB448_9 Depth=1
	v_mul_f32_e32 v84, v83, v83
	v_fmamk_f32 v85, v84, 0xba1345e1, v98
	v_fmaak_f32 v85, v84, v85, 0xbcdac9b8
	v_fmaak_f32 v85, v84, v85, 0x3de703be
	;; [unrolled: 1-line block ×4, first 2 shown]
	v_fma_f32 v84, |v83|, v84, |v83|
; %bb.41:                               ;   in Loop: Header=BB448_9 Depth=1
	s_or_b64 exec, exec, s[14:15]
	v_bfi_b32 v80, s41, v81, v80
	v_cvt_f32_f16_sdwa v81, v75 dst_sel:DWORD dst_unused:UNUSED_PAD src0_sel:WORD_1
	v_cvt_f32_f16_e32 v75, v75
	v_mul_f32_e32 v74, 0.5, v74
	v_add_f32_e32 v80, 1.0, v80
	v_add_f32_e32 v79, v79, v81
	v_cvt_f32_f16_e32 v81, v56
	v_mul_f32_e32 v74, v74, v80
	v_bfi_b32 v80, s41, v84, v83
	v_add_f32_e32 v78, v78, v75
	v_mul_f32_e32 v75, 0.5, v82
	v_add_f32_e32 v80, 1.0, v80
	v_mul_f32_e32 v75, v75, v80
	v_add_f32_e32 v68, v68, v81
	;;#ASMSTART
	v_pk_mul_f32 v[74:75], v[74:75], v[78:79]
	;;#ASMEND
	v_mul_f32_e32 v78, 0x3f3504f3, v68
	v_cmp_nlt_f32_e64 s[14:15], |v78|, 1.0
                                        ; implicit-def: $vgpr79
	s_and_saveexec_b64 s[42:43], s[14:15]
	s_xor_b64 s[14:15], exec, s[42:43]
	s_cbranch_execz .LBB448_43
; %bb.42:                               ;   in Loop: Header=BB448_9 Depth=1
	v_fma_f32 v79, |v78|, s31, v99
	v_fma_f32 v79, |v78|, v79, s33
	v_fma_f32 v79, |v78|, v79, s34
	v_fma_f32 v79, |v78|, v79, s35
	v_fma_f32 v79, |v78|, v79, s36
	v_fma_f32 v79, |v78|, v79, s37
	v_fma_f32 v79, |v78|, v79, |v78|
	v_mul_f32_e32 v80, 0xbfb8aa3b, v79
	v_fma_f32 v81, v79, s38, -v80
	v_rndne_f32_e32 v82, v80
	v_fmac_f32_e32 v81, 0xb2a5705f, v79
	v_sub_f32_e32 v80, v80, v82
	v_add_f32_e32 v80, v80, v81
	v_cvt_i32_f32_e32 v81, v82
	v_exp_f32_e32 v80, v80
	v_cmp_nlt_f32_e32 vcc, s39, v79
	v_ldexp_f32 v80, v80, v81
	s_nop 0
	v_cndmask_b32_e32 v80, 0, v80, vcc
	v_cmp_ngt_f32_e32 vcc, s40, v79
	s_nop 1
	v_cndmask_b32_e32 v79, v100, v80, vcc
	v_sub_f32_e32 v79, 1.0, v79
.LBB448_43:                             ;   in Loop: Header=BB448_9 Depth=1
	s_andn2_saveexec_b64 s[14:15], s[14:15]
; %bb.44:                               ;   in Loop: Header=BB448_9 Depth=1
	v_mul_f32_e32 v79, v78, v78
	v_fmamk_f32 v80, v79, 0xba1345e1, v98
	v_fmaak_f32 v80, v79, v80, 0xbcdac9b8
	v_fmaak_f32 v80, v79, v80, 0x3de703be
	;; [unrolled: 1-line block ×4, first 2 shown]
	v_fma_f32 v79, |v78|, v79, |v78|
; %bb.45:                               ;   in Loop: Header=BB448_9 Depth=1
	s_or_b64 exec, exec, s[14:15]
	v_cvt_f32_f16_sdwa v56, v56 dst_sel:DWORD dst_unused:UNUSED_PAD src0_sel:WORD_1
                                        ; implicit-def: $vgpr80
	v_add_f32_e32 v56, v69, v56
	v_mul_f32_e32 v69, 0x3f3504f3, v56
	v_cmp_nlt_f32_e64 s[14:15], |v69|, 1.0
	s_and_saveexec_b64 s[42:43], s[14:15]
	s_xor_b64 s[14:15], exec, s[42:43]
	s_cbranch_execz .LBB448_47
; %bb.46:                               ;   in Loop: Header=BB448_9 Depth=1
	v_fma_f32 v80, |v69|, s31, v99
	v_fma_f32 v80, |v69|, v80, s33
	;; [unrolled: 1-line block ×6, first 2 shown]
	v_fma_f32 v80, |v69|, v80, |v69|
	v_mul_f32_e32 v81, 0xbfb8aa3b, v80
	v_fma_f32 v82, v80, s38, -v81
	v_rndne_f32_e32 v83, v81
	v_fmac_f32_e32 v82, 0xb2a5705f, v80
	v_sub_f32_e32 v81, v81, v83
	v_add_f32_e32 v81, v81, v82
	v_cvt_i32_f32_e32 v82, v83
	v_exp_f32_e32 v81, v81
	v_cmp_nlt_f32_e32 vcc, s39, v80
	v_ldexp_f32 v81, v81, v82
	s_nop 0
	v_cndmask_b32_e32 v81, 0, v81, vcc
	v_cmp_ngt_f32_e32 vcc, s40, v80
	s_nop 1
	v_cndmask_b32_e32 v80, v100, v81, vcc
	v_sub_f32_e32 v80, 1.0, v80
.LBB448_47:                             ;   in Loop: Header=BB448_9 Depth=1
	s_andn2_saveexec_b64 s[14:15], s[14:15]
; %bb.48:                               ;   in Loop: Header=BB448_9 Depth=1
	v_mul_f32_e32 v80, v69, v69
	v_fmamk_f32 v81, v80, 0xba1345e1, v98
	v_fmaak_f32 v81, v80, v81, 0xbcdac9b8
	v_fmaak_f32 v81, v80, v81, 0x3de703be
	;; [unrolled: 1-line block ×4, first 2 shown]
	v_fma_f32 v80, |v69|, v80, |v69|
; %bb.49:                               ;   in Loop: Header=BB448_9 Depth=1
	s_or_b64 exec, exec, s[14:15]
	v_bfi_b32 v78, s41, v79, v78
	v_cvt_f32_f16_sdwa v79, v48 dst_sel:DWORD dst_unused:UNUSED_PAD src0_sel:WORD_1
	v_cvt_f32_f16_e32 v48, v48
	v_mul_f32_e32 v68, 0.5, v68
	v_add_f32_e32 v78, 1.0, v78
	v_mul_f32_e32 v68, v68, v78
	v_cvt_f32_f16_e32 v78, v57
	s_waitcnt vmcnt(5)
	v_add_f32_e32 v64, v64, v48
	v_mul_f32_e32 v48, 0.5, v56
	v_bfi_b32 v56, s41, v80, v69
	v_add_f32_e32 v56, 1.0, v56
	v_mul_f32_e32 v69, v48, v56
	v_add_f32_e32 v48, v70, v78
	v_mul_f32_e32 v56, 0x3f3504f3, v48
	v_add_f32_e32 v65, v65, v79
	v_cmp_nlt_f32_e64 s[14:15], |v56|, 1.0
	;;#ASMSTART
	v_pk_mul_f32 v[64:65], v[68:69], v[64:65]
	;;#ASMEND
                                        ; implicit-def: $vgpr68
	s_and_saveexec_b64 s[42:43], s[14:15]
	s_xor_b64 s[14:15], exec, s[42:43]
	s_cbranch_execz .LBB448_51
; %bb.50:                               ;   in Loop: Header=BB448_9 Depth=1
	v_fma_f32 v68, |v56|, s31, v99
	v_fma_f32 v68, |v56|, v68, s33
	;; [unrolled: 1-line block ×6, first 2 shown]
	v_fma_f32 v68, |v56|, v68, |v56|
	v_mul_f32_e32 v69, 0xbfb8aa3b, v68
	v_fma_f32 v70, v68, s38, -v69
	v_rndne_f32_e32 v78, v69
	v_fmac_f32_e32 v70, 0xb2a5705f, v68
	v_sub_f32_e32 v69, v69, v78
	v_add_f32_e32 v69, v69, v70
	v_cvt_i32_f32_e32 v70, v78
	v_exp_f32_e32 v69, v69
	v_cmp_nlt_f32_e32 vcc, s39, v68
	v_ldexp_f32 v69, v69, v70
	s_nop 0
	v_cndmask_b32_e32 v69, 0, v69, vcc
	v_cmp_ngt_f32_e32 vcc, s40, v68
	s_nop 1
	v_cndmask_b32_e32 v68, v100, v69, vcc
	v_sub_f32_e32 v68, 1.0, v68
.LBB448_51:                             ;   in Loop: Header=BB448_9 Depth=1
	s_andn2_saveexec_b64 s[14:15], s[14:15]
; %bb.52:                               ;   in Loop: Header=BB448_9 Depth=1
	v_mul_f32_e32 v68, v56, v56
	v_fmamk_f32 v69, v68, 0xba1345e1, v98
	v_fmaak_f32 v69, v68, v69, 0xbcdac9b8
	v_fmaak_f32 v69, v68, v69, 0x3de703be
	;; [unrolled: 1-line block ×4, first 2 shown]
	v_fma_f32 v68, |v56|, v68, |v56|
; %bb.53:                               ;   in Loop: Header=BB448_9 Depth=1
	s_or_b64 exec, exec, s[14:15]
	v_cvt_f32_f16_sdwa v57, v57 dst_sel:DWORD dst_unused:UNUSED_PAD src0_sel:WORD_1
                                        ; implicit-def: $vgpr70
	v_add_f32_e32 v57, v71, v57
	v_mul_f32_e32 v69, 0x3f3504f3, v57
	v_cmp_nlt_f32_e64 s[14:15], |v69|, 1.0
	s_and_saveexec_b64 s[42:43], s[14:15]
	s_xor_b64 s[14:15], exec, s[42:43]
	s_cbranch_execz .LBB448_55
; %bb.54:                               ;   in Loop: Header=BB448_9 Depth=1
	v_fma_f32 v70, |v69|, s31, v99
	v_fma_f32 v70, |v69|, v70, s33
	;; [unrolled: 1-line block ×6, first 2 shown]
	v_fma_f32 v70, |v69|, v70, |v69|
	v_mul_f32_e32 v71, 0xbfb8aa3b, v70
	v_fma_f32 v78, v70, s38, -v71
	v_rndne_f32_e32 v79, v71
	v_fmac_f32_e32 v78, 0xb2a5705f, v70
	v_sub_f32_e32 v71, v71, v79
	v_add_f32_e32 v71, v71, v78
	v_cvt_i32_f32_e32 v78, v79
	v_exp_f32_e32 v71, v71
	v_cmp_nlt_f32_e32 vcc, s39, v70
	v_ldexp_f32 v71, v71, v78
	s_nop 0
	v_cndmask_b32_e32 v71, 0, v71, vcc
	v_cmp_ngt_f32_e32 vcc, s40, v70
	s_nop 1
	v_cndmask_b32_e32 v70, v100, v71, vcc
	v_sub_f32_e32 v70, 1.0, v70
.LBB448_55:                             ;   in Loop: Header=BB448_9 Depth=1
	s_andn2_saveexec_b64 s[14:15], s[14:15]
; %bb.56:                               ;   in Loop: Header=BB448_9 Depth=1
	v_mul_f32_e32 v70, v69, v69
	v_fmamk_f32 v71, v70, 0xba1345e1, v98
	v_fmaak_f32 v71, v70, v71, 0xbcdac9b8
	v_fmaak_f32 v71, v70, v71, 0x3de703be
	;; [unrolled: 1-line block ×4, first 2 shown]
	v_fma_f32 v70, |v69|, v70, |v69|
; %bb.57:                               ;   in Loop: Header=BB448_9 Depth=1
	s_or_b64 exec, exec, s[14:15]
	v_bfi_b32 v56, s41, v68, v56
	v_cvt_f32_f16_sdwa v68, v49 dst_sel:DWORD dst_unused:UNUSED_PAD src0_sel:WORD_1
	v_cvt_f32_f16_e32 v49, v49
	v_mul_f32_e32 v48, 0.5, v48
	v_add_f32_e32 v56, 1.0, v56
	v_mul_f32_e32 v48, v48, v56
	v_add_f32_e32 v66, v66, v49
	v_mul_f32_e32 v49, 0.5, v57
	v_cvt_f32_f16_e32 v57, v58
	v_bfi_b32 v56, s41, v70, v69
	v_add_f32_e32 v56, 1.0, v56
	v_mul_f32_e32 v49, v49, v56
	v_add_f32_e32 v56, v60, v57
	v_mul_f32_e32 v57, 0x3f3504f3, v56
	v_cmp_nlt_f32_e64 s[14:15], |v57|, 1.0
	v_add_f32_e32 v67, v67, v68
	;;#ASMSTART
	v_pk_mul_f32 v[48:49], v[48:49], v[66:67]
	;;#ASMEND
                                        ; implicit-def: $vgpr60
	s_and_saveexec_b64 s[42:43], s[14:15]
	s_xor_b64 s[14:15], exec, s[42:43]
	s_cbranch_execz .LBB448_59
; %bb.58:                               ;   in Loop: Header=BB448_9 Depth=1
	v_fma_f32 v60, |v57|, s31, v99
	v_fma_f32 v60, |v57|, v60, s33
	;; [unrolled: 1-line block ×6, first 2 shown]
	v_fma_f32 v60, |v57|, v60, |v57|
	v_mul_f32_e32 v66, 0xbfb8aa3b, v60
	v_fma_f32 v67, v60, s38, -v66
	v_rndne_f32_e32 v68, v66
	v_fmac_f32_e32 v67, 0xb2a5705f, v60
	v_sub_f32_e32 v66, v66, v68
	v_add_f32_e32 v66, v66, v67
	v_cvt_i32_f32_e32 v67, v68
	v_exp_f32_e32 v66, v66
	v_cmp_nlt_f32_e32 vcc, s39, v60
	v_ldexp_f32 v66, v66, v67
	s_nop 0
	v_cndmask_b32_e32 v66, 0, v66, vcc
	v_cmp_ngt_f32_e32 vcc, s40, v60
	s_nop 1
	v_cndmask_b32_e32 v60, v100, v66, vcc
	v_sub_f32_e32 v60, 1.0, v60
.LBB448_59:                             ;   in Loop: Header=BB448_9 Depth=1
	s_andn2_saveexec_b64 s[14:15], s[14:15]
; %bb.60:                               ;   in Loop: Header=BB448_9 Depth=1
	v_mul_f32_e32 v60, v57, v57
	v_fmamk_f32 v66, v60, 0xba1345e1, v98
	v_fmaak_f32 v66, v60, v66, 0xbcdac9b8
	v_fmaak_f32 v66, v60, v66, 0x3de703be
	;; [unrolled: 1-line block ×4, first 2 shown]
	v_fma_f32 v60, |v57|, v60, |v57|
; %bb.61:                               ;   in Loop: Header=BB448_9 Depth=1
	s_or_b64 exec, exec, s[14:15]
	v_cvt_f32_f16_sdwa v58, v58 dst_sel:DWORD dst_unused:UNUSED_PAD src0_sel:WORD_1
                                        ; implicit-def: $vgpr66
	v_add_f32_e32 v58, v61, v58
	v_mul_f32_e32 v61, 0x3f3504f3, v58
	v_cmp_nlt_f32_e64 s[14:15], |v61|, 1.0
	s_and_saveexec_b64 s[42:43], s[14:15]
	s_xor_b64 s[14:15], exec, s[42:43]
	s_cbranch_execz .LBB448_63
; %bb.62:                               ;   in Loop: Header=BB448_9 Depth=1
	v_fma_f32 v66, |v61|, s31, v99
	v_fma_f32 v66, |v61|, v66, s33
	v_fma_f32 v66, |v61|, v66, s34
	v_fma_f32 v66, |v61|, v66, s35
	v_fma_f32 v66, |v61|, v66, s36
	v_fma_f32 v66, |v61|, v66, s37
	v_fma_f32 v66, |v61|, v66, |v61|
	v_mul_f32_e32 v67, 0xbfb8aa3b, v66
	v_fma_f32 v68, v66, s38, -v67
	v_rndne_f32_e32 v69, v67
	v_fmac_f32_e32 v68, 0xb2a5705f, v66
	v_sub_f32_e32 v67, v67, v69
	v_add_f32_e32 v67, v67, v68
	v_cvt_i32_f32_e32 v68, v69
	v_exp_f32_e32 v67, v67
	v_cmp_nlt_f32_e32 vcc, s39, v66
	v_ldexp_f32 v67, v67, v68
	s_nop 0
	v_cndmask_b32_e32 v67, 0, v67, vcc
	v_cmp_ngt_f32_e32 vcc, s40, v66
	s_nop 1
	v_cndmask_b32_e32 v66, v100, v67, vcc
	v_sub_f32_e32 v66, 1.0, v66
.LBB448_63:                             ;   in Loop: Header=BB448_9 Depth=1
	s_andn2_saveexec_b64 s[14:15], s[14:15]
; %bb.64:                               ;   in Loop: Header=BB448_9 Depth=1
	v_mul_f32_e32 v66, v61, v61
	v_fmamk_f32 v67, v66, 0xba1345e1, v98
	v_fmaak_f32 v67, v66, v67, 0xbcdac9b8
	v_fmaak_f32 v67, v66, v67, 0x3de703be
	;; [unrolled: 1-line block ×4, first 2 shown]
	v_fma_f32 v66, |v61|, v66, |v61|
; %bb.65:                               ;   in Loop: Header=BB448_9 Depth=1
	s_or_b64 exec, exec, s[14:15]
	v_bfi_b32 v57, s41, v60, v57
	v_cvt_f32_f16_sdwa v60, v50 dst_sel:DWORD dst_unused:UNUSED_PAD src0_sel:WORD_1
	v_cvt_f32_f16_e32 v50, v50
	v_mul_f32_e32 v56, 0.5, v56
	v_add_f32_e32 v57, 1.0, v57
	v_mul_f32_e32 v56, v56, v57
	s_waitcnt vmcnt(4)
	v_add_f32_e32 v52, v52, v50
	v_mul_f32_e32 v50, 0.5, v58
	v_cvt_f32_f16_e32 v58, v59
	v_bfi_b32 v57, s41, v66, v61
	v_add_f32_e32 v57, 1.0, v57
	v_add_f32_e32 v53, v53, v60
	v_mul_f32_e32 v57, v50, v57
	v_add_f32_e32 v50, v62, v58
	;;#ASMSTART
	v_pk_mul_f32 v[52:53], v[56:57], v[52:53]
	;;#ASMEND
	v_mul_f32_e32 v56, 0x3f3504f3, v50
	v_cmp_nlt_f32_e64 s[14:15], |v56|, 1.0
                                        ; implicit-def: $vgpr57
	s_and_saveexec_b64 s[42:43], s[14:15]
	s_xor_b64 s[14:15], exec, s[42:43]
	s_cbranch_execz .LBB448_67
; %bb.66:                               ;   in Loop: Header=BB448_9 Depth=1
	v_fma_f32 v57, |v56|, s31, v99
	v_fma_f32 v57, |v56|, v57, s33
	;; [unrolled: 1-line block ×6, first 2 shown]
	v_fma_f32 v57, |v56|, v57, |v56|
	v_mul_f32_e32 v58, 0xbfb8aa3b, v57
	v_fma_f32 v60, v57, s38, -v58
	v_rndne_f32_e32 v61, v58
	v_fmac_f32_e32 v60, 0xb2a5705f, v57
	v_sub_f32_e32 v58, v58, v61
	v_add_f32_e32 v58, v58, v60
	v_cvt_i32_f32_e32 v60, v61
	v_exp_f32_e32 v58, v58
	v_cmp_nlt_f32_e32 vcc, s39, v57
	v_ldexp_f32 v58, v58, v60
	s_nop 0
	v_cndmask_b32_e32 v58, 0, v58, vcc
	v_cmp_ngt_f32_e32 vcc, s40, v57
	s_nop 1
	v_cndmask_b32_e32 v57, v100, v58, vcc
	v_sub_f32_e32 v57, 1.0, v57
.LBB448_67:                             ;   in Loop: Header=BB448_9 Depth=1
	s_andn2_saveexec_b64 s[14:15], s[14:15]
; %bb.68:                               ;   in Loop: Header=BB448_9 Depth=1
	v_mul_f32_e32 v57, v56, v56
	v_fmamk_f32 v58, v57, 0xba1345e1, v98
	v_fmaak_f32 v58, v57, v58, 0xbcdac9b8
	v_fmaak_f32 v58, v57, v58, 0x3de703be
	;; [unrolled: 1-line block ×4, first 2 shown]
	v_fma_f32 v57, |v56|, v57, |v56|
; %bb.69:                               ;   in Loop: Header=BB448_9 Depth=1
	s_or_b64 exec, exec, s[14:15]
	v_cvt_f32_f16_sdwa v58, v59 dst_sel:DWORD dst_unused:UNUSED_PAD src0_sel:WORD_1
                                        ; implicit-def: $vgpr60
	v_add_f32_e32 v58, v63, v58
	v_mul_f32_e32 v59, 0x3f3504f3, v58
	v_cmp_nlt_f32_e64 s[14:15], |v59|, 1.0
	s_and_saveexec_b64 s[42:43], s[14:15]
	s_xor_b64 s[14:15], exec, s[42:43]
	s_cbranch_execz .LBB448_71
; %bb.70:                               ;   in Loop: Header=BB448_9 Depth=1
	v_fma_f32 v60, |v59|, s31, v99
	v_fma_f32 v60, |v59|, v60, s33
	;; [unrolled: 1-line block ×6, first 2 shown]
	v_fma_f32 v60, |v59|, v60, |v59|
	v_mul_f32_e32 v61, 0xbfb8aa3b, v60
	v_fma_f32 v62, v60, s38, -v61
	v_rndne_f32_e32 v63, v61
	v_fmac_f32_e32 v62, 0xb2a5705f, v60
	v_sub_f32_e32 v61, v61, v63
	v_add_f32_e32 v61, v61, v62
	v_cvt_i32_f32_e32 v62, v63
	v_exp_f32_e32 v61, v61
	v_cmp_nlt_f32_e32 vcc, s39, v60
	v_ldexp_f32 v61, v61, v62
	s_nop 0
	v_cndmask_b32_e32 v61, 0, v61, vcc
	v_cmp_ngt_f32_e32 vcc, s40, v60
	s_nop 1
	v_cndmask_b32_e32 v60, v100, v61, vcc
	v_sub_f32_e32 v60, 1.0, v60
.LBB448_71:                             ;   in Loop: Header=BB448_9 Depth=1
	s_andn2_saveexec_b64 s[14:15], s[14:15]
; %bb.72:                               ;   in Loop: Header=BB448_9 Depth=1
	v_mul_f32_e32 v60, v59, v59
	v_fmamk_f32 v61, v60, 0xba1345e1, v98
	v_fmaak_f32 v61, v60, v61, 0xbcdac9b8
	v_fmaak_f32 v61, v60, v61, 0x3de703be
	;; [unrolled: 1-line block ×4, first 2 shown]
	v_fma_f32 v60, |v59|, v60, |v59|
; %bb.73:                               ;   in Loop: Header=BB448_9 Depth=1
	s_or_b64 exec, exec, s[14:15]
	v_bfi_b32 v56, s41, v57, v56
	v_cvt_f32_f16_sdwa v57, v51 dst_sel:DWORD dst_unused:UNUSED_PAD src0_sel:WORD_1
	v_cvt_f32_f16_e32 v51, v51
	v_mul_f32_e32 v50, 0.5, v50
	v_add_f32_e32 v56, 1.0, v56
	v_add_f32_e32 v55, v55, v57
	v_cvt_f32_f16_e32 v57, v32
	v_mul_f32_e32 v50, v50, v56
	v_bfi_b32 v56, s41, v60, v59
	v_add_f32_e32 v54, v54, v51
	v_mul_f32_e32 v51, 0.5, v58
	v_add_f32_e32 v56, 1.0, v56
	v_mul_f32_e32 v51, v51, v56
	v_add_f32_e32 v44, v44, v57
	;;#ASMSTART
	v_pk_mul_f32 v[50:51], v[50:51], v[54:55]
	;;#ASMEND
	v_mul_f32_e32 v54, 0x3f3504f3, v44
	v_cmp_nlt_f32_e64 s[14:15], |v54|, 1.0
                                        ; implicit-def: $vgpr55
	s_and_saveexec_b64 s[42:43], s[14:15]
	s_xor_b64 s[14:15], exec, s[42:43]
	s_cbranch_execz .LBB448_75
; %bb.74:                               ;   in Loop: Header=BB448_9 Depth=1
	v_fma_f32 v55, |v54|, s31, v99
	v_fma_f32 v55, |v54|, v55, s33
	;; [unrolled: 1-line block ×6, first 2 shown]
	v_fma_f32 v55, |v54|, v55, |v54|
	v_mul_f32_e32 v56, 0xbfb8aa3b, v55
	v_fma_f32 v57, v55, s38, -v56
	v_rndne_f32_e32 v58, v56
	v_fmac_f32_e32 v57, 0xb2a5705f, v55
	v_sub_f32_e32 v56, v56, v58
	v_add_f32_e32 v56, v56, v57
	v_cvt_i32_f32_e32 v57, v58
	v_exp_f32_e32 v56, v56
	v_cmp_nlt_f32_e32 vcc, s39, v55
	v_ldexp_f32 v56, v56, v57
	s_nop 0
	v_cndmask_b32_e32 v56, 0, v56, vcc
	v_cmp_ngt_f32_e32 vcc, s40, v55
	s_nop 1
	v_cndmask_b32_e32 v55, v100, v56, vcc
	v_sub_f32_e32 v55, 1.0, v55
.LBB448_75:                             ;   in Loop: Header=BB448_9 Depth=1
	s_andn2_saveexec_b64 s[14:15], s[14:15]
; %bb.76:                               ;   in Loop: Header=BB448_9 Depth=1
	v_mul_f32_e32 v55, v54, v54
	v_fmamk_f32 v56, v55, 0xba1345e1, v98
	v_fmaak_f32 v56, v55, v56, 0xbcdac9b8
	v_fmaak_f32 v56, v55, v56, 0x3de703be
	;; [unrolled: 1-line block ×4, first 2 shown]
	v_fma_f32 v55, |v54|, v55, |v54|
; %bb.77:                               ;   in Loop: Header=BB448_9 Depth=1
	s_or_b64 exec, exec, s[14:15]
	v_cvt_f32_f16_sdwa v32, v32 dst_sel:DWORD dst_unused:UNUSED_PAD src0_sel:WORD_1
                                        ; implicit-def: $vgpr56
	v_add_f32_e32 v32, v45, v32
	v_mul_f32_e32 v45, 0x3f3504f3, v32
	v_cmp_nlt_f32_e64 s[14:15], |v45|, 1.0
	s_and_saveexec_b64 s[42:43], s[14:15]
	s_xor_b64 s[14:15], exec, s[42:43]
	s_cbranch_execz .LBB448_79
; %bb.78:                               ;   in Loop: Header=BB448_9 Depth=1
	v_fma_f32 v56, |v45|, s31, v99
	v_fma_f32 v56, |v45|, v56, s33
	;; [unrolled: 1-line block ×6, first 2 shown]
	v_fma_f32 v56, |v45|, v56, |v45|
	v_mul_f32_e32 v57, 0xbfb8aa3b, v56
	v_fma_f32 v58, v56, s38, -v57
	v_rndne_f32_e32 v59, v57
	v_fmac_f32_e32 v58, 0xb2a5705f, v56
	v_sub_f32_e32 v57, v57, v59
	v_add_f32_e32 v57, v57, v58
	v_cvt_i32_f32_e32 v58, v59
	v_exp_f32_e32 v57, v57
	v_cmp_nlt_f32_e32 vcc, s39, v56
	v_ldexp_f32 v57, v57, v58
	s_nop 0
	v_cndmask_b32_e32 v57, 0, v57, vcc
	v_cmp_ngt_f32_e32 vcc, s40, v56
	s_nop 1
	v_cndmask_b32_e32 v56, v100, v57, vcc
	v_sub_f32_e32 v56, 1.0, v56
.LBB448_79:                             ;   in Loop: Header=BB448_9 Depth=1
	s_andn2_saveexec_b64 s[14:15], s[14:15]
; %bb.80:                               ;   in Loop: Header=BB448_9 Depth=1
	v_mul_f32_e32 v56, v45, v45
	v_fmamk_f32 v57, v56, 0xba1345e1, v98
	v_fmaak_f32 v57, v56, v57, 0xbcdac9b8
	v_fmaak_f32 v57, v56, v57, 0x3de703be
	;; [unrolled: 1-line block ×4, first 2 shown]
	v_fma_f32 v56, |v45|, v56, |v45|
; %bb.81:                               ;   in Loop: Header=BB448_9 Depth=1
	s_or_b64 exec, exec, s[14:15]
	v_bfi_b32 v54, s41, v55, v54
	v_cvt_f32_f16_sdwa v55, v24 dst_sel:DWORD dst_unused:UNUSED_PAD src0_sel:WORD_1
	v_cvt_f32_f16_e32 v24, v24
	v_mul_f32_e32 v44, 0.5, v44
	v_add_f32_e32 v54, 1.0, v54
	v_mul_f32_e32 v44, v44, v54
	v_cvt_f32_f16_e32 v54, v33
	s_waitcnt vmcnt(3)
	v_add_f32_e32 v40, v40, v24
	v_mul_f32_e32 v24, 0.5, v32
	v_bfi_b32 v32, s41, v56, v45
	v_add_f32_e32 v32, 1.0, v32
	v_mul_f32_e32 v45, v24, v32
	v_add_f32_e32 v24, v46, v54
	v_mul_f32_e32 v32, 0x3f3504f3, v24
	v_add_f32_e32 v41, v41, v55
	v_cmp_nlt_f32_e64 s[14:15], |v32|, 1.0
	;;#ASMSTART
	v_pk_mul_f32 v[40:41], v[44:45], v[40:41]
	;;#ASMEND
                                        ; implicit-def: $vgpr44
	s_and_saveexec_b64 s[42:43], s[14:15]
	s_xor_b64 s[14:15], exec, s[42:43]
	s_cbranch_execz .LBB448_83
; %bb.82:                               ;   in Loop: Header=BB448_9 Depth=1
	v_fma_f32 v44, |v32|, s31, v99
	v_fma_f32 v44, |v32|, v44, s33
	;; [unrolled: 1-line block ×6, first 2 shown]
	v_fma_f32 v44, |v32|, v44, |v32|
	v_mul_f32_e32 v45, 0xbfb8aa3b, v44
	v_fma_f32 v46, v44, s38, -v45
	v_rndne_f32_e32 v54, v45
	v_fmac_f32_e32 v46, 0xb2a5705f, v44
	v_sub_f32_e32 v45, v45, v54
	v_add_f32_e32 v45, v45, v46
	v_cvt_i32_f32_e32 v46, v54
	v_exp_f32_e32 v45, v45
	v_cmp_nlt_f32_e32 vcc, s39, v44
	v_ldexp_f32 v45, v45, v46
	s_nop 0
	v_cndmask_b32_e32 v45, 0, v45, vcc
	v_cmp_ngt_f32_e32 vcc, s40, v44
	s_nop 1
	v_cndmask_b32_e32 v44, v100, v45, vcc
	v_sub_f32_e32 v44, 1.0, v44
.LBB448_83:                             ;   in Loop: Header=BB448_9 Depth=1
	s_andn2_saveexec_b64 s[14:15], s[14:15]
; %bb.84:                               ;   in Loop: Header=BB448_9 Depth=1
	v_mul_f32_e32 v44, v32, v32
	v_fmamk_f32 v45, v44, 0xba1345e1, v98
	v_fmaak_f32 v45, v44, v45, 0xbcdac9b8
	v_fmaak_f32 v45, v44, v45, 0x3de703be
	;; [unrolled: 1-line block ×4, first 2 shown]
	v_fma_f32 v44, |v32|, v44, |v32|
; %bb.85:                               ;   in Loop: Header=BB448_9 Depth=1
	s_or_b64 exec, exec, s[14:15]
	v_cvt_f32_f16_sdwa v33, v33 dst_sel:DWORD dst_unused:UNUSED_PAD src0_sel:WORD_1
                                        ; implicit-def: $vgpr46
	v_add_f32_e32 v33, v47, v33
	v_mul_f32_e32 v45, 0x3f3504f3, v33
	v_cmp_nlt_f32_e64 s[14:15], |v45|, 1.0
	s_and_saveexec_b64 s[42:43], s[14:15]
	s_xor_b64 s[14:15], exec, s[42:43]
	s_cbranch_execz .LBB448_87
; %bb.86:                               ;   in Loop: Header=BB448_9 Depth=1
	v_fma_f32 v46, |v45|, s31, v99
	v_fma_f32 v46, |v45|, v46, s33
	;; [unrolled: 1-line block ×6, first 2 shown]
	v_fma_f32 v46, |v45|, v46, |v45|
	v_mul_f32_e32 v47, 0xbfb8aa3b, v46
	v_fma_f32 v54, v46, s38, -v47
	v_rndne_f32_e32 v55, v47
	v_fmac_f32_e32 v54, 0xb2a5705f, v46
	v_sub_f32_e32 v47, v47, v55
	v_add_f32_e32 v47, v47, v54
	v_cvt_i32_f32_e32 v54, v55
	v_exp_f32_e32 v47, v47
	v_cmp_nlt_f32_e32 vcc, s39, v46
	v_ldexp_f32 v47, v47, v54
	s_nop 0
	v_cndmask_b32_e32 v47, 0, v47, vcc
	v_cmp_ngt_f32_e32 vcc, s40, v46
	s_nop 1
	v_cndmask_b32_e32 v46, v100, v47, vcc
	v_sub_f32_e32 v46, 1.0, v46
.LBB448_87:                             ;   in Loop: Header=BB448_9 Depth=1
	s_andn2_saveexec_b64 s[14:15], s[14:15]
; %bb.88:                               ;   in Loop: Header=BB448_9 Depth=1
	v_mul_f32_e32 v46, v45, v45
	v_fmamk_f32 v47, v46, 0xba1345e1, v98
	v_fmaak_f32 v47, v46, v47, 0xbcdac9b8
	v_fmaak_f32 v47, v46, v47, 0x3de703be
	;; [unrolled: 1-line block ×4, first 2 shown]
	v_fma_f32 v46, |v45|, v46, |v45|
; %bb.89:                               ;   in Loop: Header=BB448_9 Depth=1
	s_or_b64 exec, exec, s[14:15]
	v_bfi_b32 v32, s41, v44, v32
	v_cvt_f32_f16_sdwa v44, v25 dst_sel:DWORD dst_unused:UNUSED_PAD src0_sel:WORD_1
	v_cvt_f32_f16_e32 v25, v25
	v_mul_f32_e32 v24, 0.5, v24
	v_add_f32_e32 v32, 1.0, v32
	v_mul_f32_e32 v24, v24, v32
	v_add_f32_e32 v42, v42, v25
	v_mul_f32_e32 v25, 0.5, v33
	v_cvt_f32_f16_e32 v33, v34
	v_bfi_b32 v32, s41, v46, v45
	v_add_f32_e32 v32, 1.0, v32
	v_mul_f32_e32 v25, v25, v32
	v_add_f32_e32 v32, v36, v33
	v_mul_f32_e32 v33, 0x3f3504f3, v32
	v_cmp_nlt_f32_e64 s[14:15], |v33|, 1.0
	v_add_f32_e32 v43, v43, v44
	;;#ASMSTART
	v_pk_mul_f32 v[24:25], v[24:25], v[42:43]
	;;#ASMEND
                                        ; implicit-def: $vgpr36
	s_and_saveexec_b64 s[42:43], s[14:15]
	s_xor_b64 s[14:15], exec, s[42:43]
	s_cbranch_execz .LBB448_91
; %bb.90:                               ;   in Loop: Header=BB448_9 Depth=1
	v_fma_f32 v36, |v33|, s31, v99
	v_fma_f32 v36, |v33|, v36, s33
	;; [unrolled: 1-line block ×6, first 2 shown]
	v_fma_f32 v36, |v33|, v36, |v33|
	v_mul_f32_e32 v42, 0xbfb8aa3b, v36
	v_fma_f32 v43, v36, s38, -v42
	v_rndne_f32_e32 v44, v42
	v_fmac_f32_e32 v43, 0xb2a5705f, v36
	v_sub_f32_e32 v42, v42, v44
	v_add_f32_e32 v42, v42, v43
	v_cvt_i32_f32_e32 v43, v44
	v_exp_f32_e32 v42, v42
	v_cmp_nlt_f32_e32 vcc, s39, v36
	v_ldexp_f32 v42, v42, v43
	s_nop 0
	v_cndmask_b32_e32 v42, 0, v42, vcc
	v_cmp_ngt_f32_e32 vcc, s40, v36
	s_nop 1
	v_cndmask_b32_e32 v36, v100, v42, vcc
	v_sub_f32_e32 v36, 1.0, v36
.LBB448_91:                             ;   in Loop: Header=BB448_9 Depth=1
	s_andn2_saveexec_b64 s[14:15], s[14:15]
; %bb.92:                               ;   in Loop: Header=BB448_9 Depth=1
	v_mul_f32_e32 v36, v33, v33
	v_fmamk_f32 v42, v36, 0xba1345e1, v98
	v_fmaak_f32 v42, v36, v42, 0xbcdac9b8
	v_fmaak_f32 v42, v36, v42, 0x3de703be
	;; [unrolled: 1-line block ×4, first 2 shown]
	v_fma_f32 v36, |v33|, v36, |v33|
; %bb.93:                               ;   in Loop: Header=BB448_9 Depth=1
	s_or_b64 exec, exec, s[14:15]
	v_cvt_f32_f16_sdwa v34, v34 dst_sel:DWORD dst_unused:UNUSED_PAD src0_sel:WORD_1
                                        ; implicit-def: $vgpr42
	v_add_f32_e32 v34, v37, v34
	v_mul_f32_e32 v37, 0x3f3504f3, v34
	v_cmp_nlt_f32_e64 s[14:15], |v37|, 1.0
	s_and_saveexec_b64 s[42:43], s[14:15]
	s_xor_b64 s[14:15], exec, s[42:43]
	s_cbranch_execz .LBB448_95
; %bb.94:                               ;   in Loop: Header=BB448_9 Depth=1
	v_fma_f32 v42, |v37|, s31, v99
	v_fma_f32 v42, |v37|, v42, s33
	;; [unrolled: 1-line block ×6, first 2 shown]
	v_fma_f32 v42, |v37|, v42, |v37|
	v_mul_f32_e32 v43, 0xbfb8aa3b, v42
	v_fma_f32 v44, v42, s38, -v43
	v_rndne_f32_e32 v45, v43
	v_fmac_f32_e32 v44, 0xb2a5705f, v42
	v_sub_f32_e32 v43, v43, v45
	v_add_f32_e32 v43, v43, v44
	v_cvt_i32_f32_e32 v44, v45
	v_exp_f32_e32 v43, v43
	v_cmp_nlt_f32_e32 vcc, s39, v42
	v_ldexp_f32 v43, v43, v44
	s_nop 0
	v_cndmask_b32_e32 v43, 0, v43, vcc
	v_cmp_ngt_f32_e32 vcc, s40, v42
	s_nop 1
	v_cndmask_b32_e32 v42, v100, v43, vcc
	v_sub_f32_e32 v42, 1.0, v42
.LBB448_95:                             ;   in Loop: Header=BB448_9 Depth=1
	s_andn2_saveexec_b64 s[14:15], s[14:15]
; %bb.96:                               ;   in Loop: Header=BB448_9 Depth=1
	v_mul_f32_e32 v42, v37, v37
	v_fmamk_f32 v43, v42, 0xba1345e1, v98
	v_fmaak_f32 v43, v42, v43, 0xbcdac9b8
	v_fmaak_f32 v43, v42, v43, 0x3de703be
	;; [unrolled: 1-line block ×4, first 2 shown]
	v_fma_f32 v42, |v37|, v42, |v37|
; %bb.97:                               ;   in Loop: Header=BB448_9 Depth=1
	s_or_b64 exec, exec, s[14:15]
	v_bfi_b32 v33, s41, v36, v33
	v_cvt_f32_f16_sdwa v36, v26 dst_sel:DWORD dst_unused:UNUSED_PAD src0_sel:WORD_1
	v_cvt_f32_f16_e32 v26, v26
	v_mul_f32_e32 v32, 0.5, v32
	v_add_f32_e32 v33, 1.0, v33
	v_mul_f32_e32 v32, v32, v33
	s_waitcnt vmcnt(2)
	v_add_f32_e32 v28, v28, v26
	v_mul_f32_e32 v26, 0.5, v34
	v_cvt_f32_f16_e32 v34, v35
	v_bfi_b32 v33, s41, v42, v37
	v_add_f32_e32 v33, 1.0, v33
	v_add_f32_e32 v29, v29, v36
	v_mul_f32_e32 v33, v26, v33
	v_add_f32_e32 v26, v38, v34
	;;#ASMSTART
	v_pk_mul_f32 v[28:29], v[32:33], v[28:29]
	;;#ASMEND
	v_mul_f32_e32 v32, 0x3f3504f3, v26
	v_cmp_nlt_f32_e64 s[14:15], |v32|, 1.0
                                        ; implicit-def: $vgpr33
	s_and_saveexec_b64 s[42:43], s[14:15]
	s_xor_b64 s[14:15], exec, s[42:43]
	s_cbranch_execz .LBB448_99
; %bb.98:                               ;   in Loop: Header=BB448_9 Depth=1
	v_fma_f32 v33, |v32|, s31, v99
	v_fma_f32 v33, |v32|, v33, s33
	;; [unrolled: 1-line block ×6, first 2 shown]
	v_fma_f32 v33, |v32|, v33, |v32|
	v_mul_f32_e32 v34, 0xbfb8aa3b, v33
	v_fma_f32 v36, v33, s38, -v34
	v_rndne_f32_e32 v37, v34
	v_fmac_f32_e32 v36, 0xb2a5705f, v33
	v_sub_f32_e32 v34, v34, v37
	v_add_f32_e32 v34, v34, v36
	v_cvt_i32_f32_e32 v36, v37
	v_exp_f32_e32 v34, v34
	v_cmp_nlt_f32_e32 vcc, s39, v33
	v_ldexp_f32 v34, v34, v36
	s_nop 0
	v_cndmask_b32_e32 v34, 0, v34, vcc
	v_cmp_ngt_f32_e32 vcc, s40, v33
	s_nop 1
	v_cndmask_b32_e32 v33, v100, v34, vcc
	v_sub_f32_e32 v33, 1.0, v33
.LBB448_99:                             ;   in Loop: Header=BB448_9 Depth=1
	s_andn2_saveexec_b64 s[14:15], s[14:15]
; %bb.100:                              ;   in Loop: Header=BB448_9 Depth=1
	v_mul_f32_e32 v33, v32, v32
	v_fmamk_f32 v34, v33, 0xba1345e1, v98
	v_fmaak_f32 v34, v33, v34, 0xbcdac9b8
	v_fmaak_f32 v34, v33, v34, 0x3de703be
	;; [unrolled: 1-line block ×4, first 2 shown]
	v_fma_f32 v33, |v32|, v33, |v32|
; %bb.101:                              ;   in Loop: Header=BB448_9 Depth=1
	s_or_b64 exec, exec, s[14:15]
	v_cvt_f32_f16_sdwa v34, v35 dst_sel:DWORD dst_unused:UNUSED_PAD src0_sel:WORD_1
                                        ; implicit-def: $vgpr36
	v_add_f32_e32 v34, v39, v34
	v_mul_f32_e32 v35, 0x3f3504f3, v34
	v_cmp_nlt_f32_e64 s[14:15], |v35|, 1.0
	s_and_saveexec_b64 s[42:43], s[14:15]
	s_xor_b64 s[14:15], exec, s[42:43]
	s_cbranch_execz .LBB448_103
; %bb.102:                              ;   in Loop: Header=BB448_9 Depth=1
	v_fma_f32 v36, |v35|, s31, v99
	v_fma_f32 v36, |v35|, v36, s33
	;; [unrolled: 1-line block ×6, first 2 shown]
	v_fma_f32 v36, |v35|, v36, |v35|
	v_mul_f32_e32 v37, 0xbfb8aa3b, v36
	v_fma_f32 v38, v36, s38, -v37
	v_rndne_f32_e32 v39, v37
	v_fmac_f32_e32 v38, 0xb2a5705f, v36
	v_sub_f32_e32 v37, v37, v39
	v_add_f32_e32 v37, v37, v38
	v_cvt_i32_f32_e32 v38, v39
	v_exp_f32_e32 v37, v37
	v_cmp_nlt_f32_e32 vcc, s39, v36
	v_ldexp_f32 v37, v37, v38
	s_nop 0
	v_cndmask_b32_e32 v37, 0, v37, vcc
	v_cmp_ngt_f32_e32 vcc, s40, v36
	s_nop 1
	v_cndmask_b32_e32 v36, v100, v37, vcc
	v_sub_f32_e32 v36, 1.0, v36
.LBB448_103:                            ;   in Loop: Header=BB448_9 Depth=1
	s_andn2_saveexec_b64 s[14:15], s[14:15]
; %bb.104:                              ;   in Loop: Header=BB448_9 Depth=1
	v_mul_f32_e32 v36, v35, v35
	v_fmamk_f32 v37, v36, 0xba1345e1, v98
	v_fmaak_f32 v37, v36, v37, 0xbcdac9b8
	v_fmaak_f32 v37, v36, v37, 0x3de703be
	;; [unrolled: 1-line block ×4, first 2 shown]
	v_fma_f32 v36, |v35|, v36, |v35|
; %bb.105:                              ;   in Loop: Header=BB448_9 Depth=1
	s_or_b64 exec, exec, s[14:15]
	v_bfi_b32 v32, s41, v33, v32
	v_cvt_f32_f16_sdwa v33, v27 dst_sel:DWORD dst_unused:UNUSED_PAD src0_sel:WORD_1
	v_cvt_f32_f16_e32 v27, v27
	v_mul_f32_e32 v26, 0.5, v26
	v_add_f32_e32 v32, 1.0, v32
	v_add_f32_e32 v31, v31, v33
	v_cvt_f32_f16_e32 v33, v8
	v_mul_f32_e32 v26, v26, v32
	v_bfi_b32 v32, s41, v36, v35
	v_add_f32_e32 v30, v30, v27
	v_mul_f32_e32 v27, 0.5, v34
	v_add_f32_e32 v32, 1.0, v32
	v_mul_f32_e32 v27, v27, v32
	v_add_f32_e32 v20, v20, v33
	;;#ASMSTART
	v_pk_mul_f32 v[26:27], v[26:27], v[30:31]
	;;#ASMEND
	v_mul_f32_e32 v30, 0x3f3504f3, v20
	v_cmp_nlt_f32_e64 s[14:15], |v30|, 1.0
                                        ; implicit-def: $vgpr31
	s_and_saveexec_b64 s[42:43], s[14:15]
	s_xor_b64 s[14:15], exec, s[42:43]
	s_cbranch_execz .LBB448_107
; %bb.106:                              ;   in Loop: Header=BB448_9 Depth=1
	v_fma_f32 v31, |v30|, s31, v99
	v_fma_f32 v31, |v30|, v31, s33
	;; [unrolled: 1-line block ×6, first 2 shown]
	v_fma_f32 v31, |v30|, v31, |v30|
	v_mul_f32_e32 v32, 0xbfb8aa3b, v31
	v_fma_f32 v33, v31, s38, -v32
	v_rndne_f32_e32 v34, v32
	v_fmac_f32_e32 v33, 0xb2a5705f, v31
	v_sub_f32_e32 v32, v32, v34
	v_add_f32_e32 v32, v32, v33
	v_cvt_i32_f32_e32 v33, v34
	v_exp_f32_e32 v32, v32
	v_cmp_nlt_f32_e32 vcc, s39, v31
	v_ldexp_f32 v32, v32, v33
	s_nop 0
	v_cndmask_b32_e32 v32, 0, v32, vcc
	v_cmp_ngt_f32_e32 vcc, s40, v31
	s_nop 1
	v_cndmask_b32_e32 v31, v100, v32, vcc
	v_sub_f32_e32 v31, 1.0, v31
.LBB448_107:                            ;   in Loop: Header=BB448_9 Depth=1
	s_andn2_saveexec_b64 s[14:15], s[14:15]
; %bb.108:                              ;   in Loop: Header=BB448_9 Depth=1
	v_mul_f32_e32 v31, v30, v30
	v_fmamk_f32 v32, v31, 0xba1345e1, v98
	v_fmaak_f32 v32, v31, v32, 0xbcdac9b8
	v_fmaak_f32 v32, v31, v32, 0x3de703be
	;; [unrolled: 1-line block ×4, first 2 shown]
	v_fma_f32 v31, |v30|, v31, |v30|
; %bb.109:                              ;   in Loop: Header=BB448_9 Depth=1
	s_or_b64 exec, exec, s[14:15]
	v_cvt_f32_f16_sdwa v8, v8 dst_sel:DWORD dst_unused:UNUSED_PAD src0_sel:WORD_1
                                        ; implicit-def: $vgpr32
	v_add_f32_e32 v8, v21, v8
	v_mul_f32_e32 v21, 0x3f3504f3, v8
	v_cmp_nlt_f32_e64 s[14:15], |v21|, 1.0
	s_and_saveexec_b64 s[42:43], s[14:15]
	s_xor_b64 s[14:15], exec, s[42:43]
	s_cbranch_execz .LBB448_111
; %bb.110:                              ;   in Loop: Header=BB448_9 Depth=1
	v_fma_f32 v32, |v21|, s31, v99
	v_fma_f32 v32, |v21|, v32, s33
	;; [unrolled: 1-line block ×6, first 2 shown]
	v_fma_f32 v32, |v21|, v32, |v21|
	v_mul_f32_e32 v33, 0xbfb8aa3b, v32
	v_fma_f32 v34, v32, s38, -v33
	v_rndne_f32_e32 v35, v33
	v_fmac_f32_e32 v34, 0xb2a5705f, v32
	v_sub_f32_e32 v33, v33, v35
	v_add_f32_e32 v33, v33, v34
	v_cvt_i32_f32_e32 v34, v35
	v_exp_f32_e32 v33, v33
	v_cmp_nlt_f32_e32 vcc, s39, v32
	v_ldexp_f32 v33, v33, v34
	s_nop 0
	v_cndmask_b32_e32 v33, 0, v33, vcc
	v_cmp_ngt_f32_e32 vcc, s40, v32
	s_nop 1
	v_cndmask_b32_e32 v32, v100, v33, vcc
	v_sub_f32_e32 v32, 1.0, v32
.LBB448_111:                            ;   in Loop: Header=BB448_9 Depth=1
	s_andn2_saveexec_b64 s[14:15], s[14:15]
; %bb.112:                              ;   in Loop: Header=BB448_9 Depth=1
	v_mul_f32_e32 v32, v21, v21
	v_fmamk_f32 v33, v32, 0xba1345e1, v98
	v_fmaak_f32 v33, v32, v33, 0xbcdac9b8
	v_fmaak_f32 v33, v32, v33, 0x3de703be
	;; [unrolled: 1-line block ×4, first 2 shown]
	v_fma_f32 v32, |v21|, v32, |v21|
; %bb.113:                              ;   in Loop: Header=BB448_9 Depth=1
	s_or_b64 exec, exec, s[14:15]
	v_bfi_b32 v30, s41, v31, v30
	v_cvt_f32_f16_sdwa v31, v0 dst_sel:DWORD dst_unused:UNUSED_PAD src0_sel:WORD_1
	v_cvt_f32_f16_e32 v0, v0
	v_mul_f32_e32 v20, 0.5, v20
	v_add_f32_e32 v30, 1.0, v30
	v_mul_f32_e32 v20, v20, v30
	v_cvt_f32_f16_e32 v30, v9
	s_waitcnt vmcnt(1)
	v_add_f32_e32 v16, v16, v0
	v_mul_f32_e32 v0, 0.5, v8
	v_bfi_b32 v8, s41, v32, v21
	v_add_f32_e32 v8, 1.0, v8
	v_mul_f32_e32 v21, v0, v8
	v_add_f32_e32 v0, v22, v30
	v_mul_f32_e32 v8, 0x3f3504f3, v0
	v_add_f32_e32 v17, v17, v31
	v_cmp_nlt_f32_e64 s[14:15], |v8|, 1.0
	;;#ASMSTART
	v_pk_mul_f32 v[16:17], v[20:21], v[16:17]
	;;#ASMEND
                                        ; implicit-def: $vgpr20
	s_and_saveexec_b64 s[42:43], s[14:15]
	s_xor_b64 s[14:15], exec, s[42:43]
	s_cbranch_execz .LBB448_115
; %bb.114:                              ;   in Loop: Header=BB448_9 Depth=1
	v_fma_f32 v20, |v8|, s31, v99
	v_fma_f32 v20, |v8|, v20, s33
	;; [unrolled: 1-line block ×6, first 2 shown]
	v_fma_f32 v20, |v8|, v20, |v8|
	v_mul_f32_e32 v21, 0xbfb8aa3b, v20
	v_fma_f32 v22, v20, s38, -v21
	v_rndne_f32_e32 v30, v21
	v_fmac_f32_e32 v22, 0xb2a5705f, v20
	v_sub_f32_e32 v21, v21, v30
	v_add_f32_e32 v21, v21, v22
	v_cvt_i32_f32_e32 v22, v30
	v_exp_f32_e32 v21, v21
	v_cmp_nlt_f32_e32 vcc, s39, v20
	v_ldexp_f32 v21, v21, v22
	s_nop 0
	v_cndmask_b32_e32 v21, 0, v21, vcc
	v_cmp_ngt_f32_e32 vcc, s40, v20
	s_nop 1
	v_cndmask_b32_e32 v20, v100, v21, vcc
	v_sub_f32_e32 v20, 1.0, v20
.LBB448_115:                            ;   in Loop: Header=BB448_9 Depth=1
	s_andn2_saveexec_b64 s[14:15], s[14:15]
; %bb.116:                              ;   in Loop: Header=BB448_9 Depth=1
	v_mul_f32_e32 v20, v8, v8
	v_fmamk_f32 v21, v20, 0xba1345e1, v98
	v_fmaak_f32 v21, v20, v21, 0xbcdac9b8
	v_fmaak_f32 v21, v20, v21, 0x3de703be
	;; [unrolled: 1-line block ×4, first 2 shown]
	v_fma_f32 v20, |v8|, v20, |v8|
; %bb.117:                              ;   in Loop: Header=BB448_9 Depth=1
	s_or_b64 exec, exec, s[14:15]
	v_cvt_f32_f16_sdwa v9, v9 dst_sel:DWORD dst_unused:UNUSED_PAD src0_sel:WORD_1
                                        ; implicit-def: $vgpr22
	v_add_f32_e32 v9, v23, v9
	v_mul_f32_e32 v21, 0x3f3504f3, v9
	v_cmp_nlt_f32_e64 s[14:15], |v21|, 1.0
	s_and_saveexec_b64 s[42:43], s[14:15]
	s_xor_b64 s[14:15], exec, s[42:43]
	s_cbranch_execz .LBB448_119
; %bb.118:                              ;   in Loop: Header=BB448_9 Depth=1
	v_fma_f32 v22, |v21|, s31, v99
	v_fma_f32 v22, |v21|, v22, s33
	;; [unrolled: 1-line block ×6, first 2 shown]
	v_fma_f32 v22, |v21|, v22, |v21|
	v_mul_f32_e32 v23, 0xbfb8aa3b, v22
	v_fma_f32 v30, v22, s38, -v23
	v_rndne_f32_e32 v31, v23
	v_fmac_f32_e32 v30, 0xb2a5705f, v22
	v_sub_f32_e32 v23, v23, v31
	v_add_f32_e32 v23, v23, v30
	v_cvt_i32_f32_e32 v30, v31
	v_exp_f32_e32 v23, v23
	v_cmp_nlt_f32_e32 vcc, s39, v22
	v_ldexp_f32 v23, v23, v30
	s_nop 0
	v_cndmask_b32_e32 v23, 0, v23, vcc
	v_cmp_ngt_f32_e32 vcc, s40, v22
	s_nop 1
	v_cndmask_b32_e32 v22, v100, v23, vcc
	v_sub_f32_e32 v22, 1.0, v22
.LBB448_119:                            ;   in Loop: Header=BB448_9 Depth=1
	s_andn2_saveexec_b64 s[14:15], s[14:15]
; %bb.120:                              ;   in Loop: Header=BB448_9 Depth=1
	v_mul_f32_e32 v22, v21, v21
	v_fmamk_f32 v23, v22, 0xba1345e1, v98
	v_fmaak_f32 v23, v22, v23, 0xbcdac9b8
	v_fmaak_f32 v23, v22, v23, 0x3de703be
	;; [unrolled: 1-line block ×4, first 2 shown]
	v_fma_f32 v22, |v21|, v22, |v21|
; %bb.121:                              ;   in Loop: Header=BB448_9 Depth=1
	s_or_b64 exec, exec, s[14:15]
	v_bfi_b32 v8, s41, v20, v8
	v_cvt_f32_f16_sdwa v20, v1 dst_sel:DWORD dst_unused:UNUSED_PAD src0_sel:WORD_1
	v_cvt_f32_f16_e32 v1, v1
	v_mul_f32_e32 v0, 0.5, v0
	v_add_f32_e32 v8, 1.0, v8
	v_mul_f32_e32 v0, v0, v8
	v_add_f32_e32 v18, v18, v1
	v_mul_f32_e32 v1, 0.5, v9
	v_cvt_f32_f16_e32 v9, v10
	v_bfi_b32 v8, s41, v22, v21
	v_add_f32_e32 v8, 1.0, v8
	v_mul_f32_e32 v1, v1, v8
	v_add_f32_e32 v8, v12, v9
	v_mul_f32_e32 v9, 0x3f3504f3, v8
	v_cmp_nlt_f32_e64 s[14:15], |v9|, 1.0
	v_add_f32_e32 v19, v19, v20
	;;#ASMSTART
	v_pk_mul_f32 v[0:1], v[0:1], v[18:19]
	;;#ASMEND
                                        ; implicit-def: $vgpr12
	s_and_saveexec_b64 s[42:43], s[14:15]
	s_xor_b64 s[14:15], exec, s[42:43]
	s_cbranch_execz .LBB448_123
; %bb.122:                              ;   in Loop: Header=BB448_9 Depth=1
	v_fma_f32 v12, |v9|, s31, v99
	v_fma_f32 v12, |v9|, v12, s33
	;; [unrolled: 1-line block ×6, first 2 shown]
	v_fma_f32 v12, |v9|, v12, |v9|
	v_mul_f32_e32 v18, 0xbfb8aa3b, v12
	v_fma_f32 v19, v12, s38, -v18
	v_rndne_f32_e32 v20, v18
	v_fmac_f32_e32 v19, 0xb2a5705f, v12
	v_sub_f32_e32 v18, v18, v20
	v_add_f32_e32 v18, v18, v19
	v_cvt_i32_f32_e32 v19, v20
	v_exp_f32_e32 v18, v18
	v_cmp_nlt_f32_e32 vcc, s39, v12
	v_ldexp_f32 v18, v18, v19
	s_nop 0
	v_cndmask_b32_e32 v18, 0, v18, vcc
	v_cmp_ngt_f32_e32 vcc, s40, v12
	s_nop 1
	v_cndmask_b32_e32 v12, v100, v18, vcc
	v_sub_f32_e32 v12, 1.0, v12
.LBB448_123:                            ;   in Loop: Header=BB448_9 Depth=1
	s_andn2_saveexec_b64 s[14:15], s[14:15]
; %bb.124:                              ;   in Loop: Header=BB448_9 Depth=1
	v_mul_f32_e32 v12, v9, v9
	v_fmamk_f32 v18, v12, 0xba1345e1, v98
	v_fmaak_f32 v18, v12, v18, 0xbcdac9b8
	v_fmaak_f32 v18, v12, v18, 0x3de703be
	;; [unrolled: 1-line block ×4, first 2 shown]
	v_fma_f32 v12, |v9|, v12, |v9|
; %bb.125:                              ;   in Loop: Header=BB448_9 Depth=1
	s_or_b64 exec, exec, s[14:15]
	v_cvt_f32_f16_sdwa v10, v10 dst_sel:DWORD dst_unused:UNUSED_PAD src0_sel:WORD_1
                                        ; implicit-def: $vgpr18
	v_add_f32_e32 v10, v13, v10
	v_mul_f32_e32 v13, 0x3f3504f3, v10
	v_cmp_nlt_f32_e64 s[14:15], |v13|, 1.0
	s_and_saveexec_b64 s[42:43], s[14:15]
	s_xor_b64 s[14:15], exec, s[42:43]
	s_cbranch_execz .LBB448_127
; %bb.126:                              ;   in Loop: Header=BB448_9 Depth=1
	v_fma_f32 v18, |v13|, s31, v99
	v_fma_f32 v18, |v13|, v18, s33
	;; [unrolled: 1-line block ×6, first 2 shown]
	v_fma_f32 v18, |v13|, v18, |v13|
	v_mul_f32_e32 v19, 0xbfb8aa3b, v18
	v_fma_f32 v20, v18, s38, -v19
	v_rndne_f32_e32 v21, v19
	v_fmac_f32_e32 v20, 0xb2a5705f, v18
	v_sub_f32_e32 v19, v19, v21
	v_add_f32_e32 v19, v19, v20
	v_cvt_i32_f32_e32 v20, v21
	v_exp_f32_e32 v19, v19
	v_cmp_nlt_f32_e32 vcc, s39, v18
	v_ldexp_f32 v19, v19, v20
	s_nop 0
	v_cndmask_b32_e32 v19, 0, v19, vcc
	v_cmp_ngt_f32_e32 vcc, s40, v18
	s_nop 1
	v_cndmask_b32_e32 v18, v100, v19, vcc
	v_sub_f32_e32 v18, 1.0, v18
.LBB448_127:                            ;   in Loop: Header=BB448_9 Depth=1
	s_andn2_saveexec_b64 s[14:15], s[14:15]
; %bb.128:                              ;   in Loop: Header=BB448_9 Depth=1
	v_mul_f32_e32 v18, v13, v13
	v_fmamk_f32 v19, v18, 0xba1345e1, v98
	v_fmaak_f32 v19, v18, v19, 0xbcdac9b8
	v_fmaak_f32 v19, v18, v19, 0x3de703be
	v_fmaak_f32 v19, v18, v19, 0xbec09330
	v_fmaak_f32 v18, v18, v19, 0x3e0375d0
	v_fma_f32 v18, |v13|, v18, |v13|
; %bb.129:                              ;   in Loop: Header=BB448_9 Depth=1
	s_or_b64 exec, exec, s[14:15]
	v_bfi_b32 v9, s41, v12, v9
	v_cvt_f32_f16_sdwa v12, v2 dst_sel:DWORD dst_unused:UNUSED_PAD src0_sel:WORD_1
	v_cvt_f32_f16_e32 v2, v2
	v_mul_f32_e32 v8, 0.5, v8
	v_add_f32_e32 v9, 1.0, v9
	v_mul_f32_e32 v8, v8, v9
	s_waitcnt vmcnt(0)
	v_add_f32_e32 v4, v4, v2
	v_mul_f32_e32 v2, 0.5, v10
	v_cvt_f32_f16_e32 v10, v11
	v_bfi_b32 v9, s41, v18, v13
	v_add_f32_e32 v5, v5, v12
	v_add_f32_e32 v9, 1.0, v9
	v_mul_f32_e32 v9, v2, v9
	;;#ASMSTART
	v_pk_mul_f32 v[4:5], v[8:9], v[4:5]
	;;#ASMEND
	v_add_f32_e32 v8, v14, v10
	v_mul_f32_e32 v2, 0x3f3504f3, v8
	v_cmp_nlt_f32_e64 s[14:15], |v2|, 1.0
                                        ; implicit-def: $vgpr12
	s_and_saveexec_b64 s[42:43], s[14:15]
	s_xor_b64 s[14:15], exec, s[42:43]
	s_cbranch_execz .LBB448_131
; %bb.130:                              ;   in Loop: Header=BB448_9 Depth=1
	v_fma_f32 v9, |v2|, s31, v99
	v_fma_f32 v9, |v2|, v9, s33
	;; [unrolled: 1-line block ×6, first 2 shown]
	v_fma_f32 v9, |v2|, v9, |v2|
	v_mul_f32_e32 v10, 0xbfb8aa3b, v9
	v_fma_f32 v12, v9, s38, -v10
	v_rndne_f32_e32 v13, v10
	v_fmac_f32_e32 v12, 0xb2a5705f, v9
	v_sub_f32_e32 v10, v10, v13
	v_add_f32_e32 v10, v10, v12
	v_cvt_i32_f32_e32 v12, v13
	v_exp_f32_e32 v10, v10
	v_cmp_nlt_f32_e32 vcc, s39, v9
	v_ldexp_f32 v10, v10, v12
	s_nop 0
	v_cndmask_b32_e32 v10, 0, v10, vcc
	v_cmp_ngt_f32_e32 vcc, s40, v9
	s_nop 1
	v_cndmask_b32_e32 v9, v100, v10, vcc
	v_sub_f32_e32 v12, 1.0, v9
.LBB448_131:                            ;   in Loop: Header=BB448_9 Depth=1
	s_andn2_saveexec_b64 s[14:15], s[14:15]
; %bb.132:                              ;   in Loop: Header=BB448_9 Depth=1
	v_mul_f32_e32 v9, v2, v2
	v_fmamk_f32 v10, v9, 0xba1345e1, v98
	v_fmaak_f32 v10, v9, v10, 0xbcdac9b8
	v_fmaak_f32 v10, v9, v10, 0x3de703be
	;; [unrolled: 1-line block ×4, first 2 shown]
	v_fma_f32 v12, |v2|, v9, |v2|
; %bb.133:                              ;   in Loop: Header=BB448_9 Depth=1
	s_or_b64 exec, exec, s[14:15]
	v_cvt_f32_f16_sdwa v9, v11 dst_sel:DWORD dst_unused:UNUSED_PAD src0_sel:WORD_1
                                        ; implicit-def: $vgpr11
	v_add_f32_e32 v9, v15, v9
	v_mul_f32_e32 v10, 0x3f3504f3, v9
	v_cmp_nlt_f32_e64 s[14:15], |v10|, 1.0
	s_and_saveexec_b64 s[42:43], s[14:15]
	s_xor_b64 s[14:15], exec, s[42:43]
	s_cbranch_execz .LBB448_135
; %bb.134:                              ;   in Loop: Header=BB448_9 Depth=1
	v_fma_f32 v11, |v10|, s31, v99
	v_fma_f32 v11, |v10|, v11, s33
	;; [unrolled: 1-line block ×6, first 2 shown]
	v_fma_f32 v11, |v10|, v11, |v10|
	v_mul_f32_e32 v13, 0xbfb8aa3b, v11
	v_fma_f32 v14, v11, s38, -v13
	v_rndne_f32_e32 v15, v13
	v_fmac_f32_e32 v14, 0xb2a5705f, v11
	v_sub_f32_e32 v13, v13, v15
	v_add_f32_e32 v13, v13, v14
	v_cvt_i32_f32_e32 v14, v15
	v_exp_f32_e32 v13, v13
	v_cmp_nlt_f32_e32 vcc, s39, v11
	v_ldexp_f32 v13, v13, v14
	s_nop 0
	v_cndmask_b32_e32 v13, 0, v13, vcc
	v_cmp_ngt_f32_e32 vcc, s40, v11
	s_nop 1
	v_cndmask_b32_e32 v11, v100, v13, vcc
	v_sub_f32_e32 v11, 1.0, v11
.LBB448_135:                            ;   in Loop: Header=BB448_9 Depth=1
	s_andn2_saveexec_b64 s[14:15], s[14:15]
	s_cbranch_execz .LBB448_8
; %bb.136:                              ;   in Loop: Header=BB448_9 Depth=1
	v_mul_f32_e32 v11, v10, v10
	v_fmamk_f32 v13, v11, 0xba1345e1, v98
	v_fmaak_f32 v13, v11, v13, 0xbcdac9b8
	v_fmaak_f32 v13, v11, v13, 0x3de703be
	v_fmaak_f32 v13, v11, v13, 0xbec09330
	v_fmaak_f32 v11, v11, v13, 0x3e0375d0
	v_fma_f32 v11, |v10|, v11, |v10|
	s_branch .LBB448_8
.LBB448_137:
	s_endpgm
	.section	.rodata,"a",@progbits
	.p2align	6, 0x0
	.amdhsa_kernel _ZN5aiter23act_and_mul_bias_kernelIDF16_DF16_ifTnPFfRKT2_EXadL_ZNS_11gelu_kernelIfEEfRKT_EELi32EEEvPT0_PS8_PKT1_PS2_il
		.amdhsa_group_segment_fixed_size 0
		.amdhsa_private_segment_fixed_size 0
		.amdhsa_kernarg_size 304
		.amdhsa_user_sgpr_count 2
		.amdhsa_user_sgpr_dispatch_ptr 0
		.amdhsa_user_sgpr_queue_ptr 0
		.amdhsa_user_sgpr_kernarg_segment_ptr 1
		.amdhsa_user_sgpr_dispatch_id 0
		.amdhsa_user_sgpr_kernarg_preload_length 0
		.amdhsa_user_sgpr_kernarg_preload_offset 0
		.amdhsa_user_sgpr_private_segment_size 0
		.amdhsa_uses_dynamic_stack 0
		.amdhsa_enable_private_segment 0
		.amdhsa_system_sgpr_workgroup_id_x 1
		.amdhsa_system_sgpr_workgroup_id_y 0
		.amdhsa_system_sgpr_workgroup_id_z 0
		.amdhsa_system_sgpr_workgroup_info 0
		.amdhsa_system_vgpr_workitem_id 0
		.amdhsa_next_free_vgpr 108
		.amdhsa_next_free_sgpr 44
		.amdhsa_accum_offset 108
		.amdhsa_reserve_vcc 1
		.amdhsa_float_round_mode_32 0
		.amdhsa_float_round_mode_16_64 0
		.amdhsa_float_denorm_mode_32 3
		.amdhsa_float_denorm_mode_16_64 3
		.amdhsa_dx10_clamp 1
		.amdhsa_ieee_mode 1
		.amdhsa_fp16_overflow 0
		.amdhsa_tg_split 0
		.amdhsa_exception_fp_ieee_invalid_op 0
		.amdhsa_exception_fp_denorm_src 0
		.amdhsa_exception_fp_ieee_div_zero 0
		.amdhsa_exception_fp_ieee_overflow 0
		.amdhsa_exception_fp_ieee_underflow 0
		.amdhsa_exception_fp_ieee_inexact 0
		.amdhsa_exception_int_div_zero 0
	.end_amdhsa_kernel
	.section	.text._ZN5aiter23act_and_mul_bias_kernelIDF16_DF16_ifTnPFfRKT2_EXadL_ZNS_11gelu_kernelIfEEfRKT_EELi32EEEvPT0_PS8_PKT1_PS2_il,"axG",@progbits,_ZN5aiter23act_and_mul_bias_kernelIDF16_DF16_ifTnPFfRKT2_EXadL_ZNS_11gelu_kernelIfEEfRKT_EELi32EEEvPT0_PS8_PKT1_PS2_il,comdat
.Lfunc_end448:
	.size	_ZN5aiter23act_and_mul_bias_kernelIDF16_DF16_ifTnPFfRKT2_EXadL_ZNS_11gelu_kernelIfEEfRKT_EELi32EEEvPT0_PS8_PKT1_PS2_il, .Lfunc_end448-_ZN5aiter23act_and_mul_bias_kernelIDF16_DF16_ifTnPFfRKT2_EXadL_ZNS_11gelu_kernelIfEEfRKT_EELi32EEEvPT0_PS8_PKT1_PS2_il
                                        ; -- End function
	.section	.AMDGPU.csdata,"",@progbits
; Kernel info:
; codeLenInByte = 9816
; NumSgprs: 50
; NumVgprs: 108
; NumAgprs: 0
; TotalNumVgprs: 108
; ScratchSize: 0
; MemoryBound: 0
; FloatMode: 240
; IeeeMode: 1
; LDSByteSize: 0 bytes/workgroup (compile time only)
; SGPRBlocks: 6
; VGPRBlocks: 13
; NumSGPRsForWavesPerEU: 50
; NumVGPRsForWavesPerEU: 108
; AccumOffset: 108
; Occupancy: 4
; WaveLimiterHint : 0
; COMPUTE_PGM_RSRC2:SCRATCH_EN: 0
; COMPUTE_PGM_RSRC2:USER_SGPR: 2
; COMPUTE_PGM_RSRC2:TRAP_HANDLER: 0
; COMPUTE_PGM_RSRC2:TGID_X_EN: 1
; COMPUTE_PGM_RSRC2:TGID_Y_EN: 0
; COMPUTE_PGM_RSRC2:TGID_Z_EN: 0
; COMPUTE_PGM_RSRC2:TIDIG_COMP_CNT: 0
; COMPUTE_PGM_RSRC3_GFX90A:ACCUM_OFFSET: 26
; COMPUTE_PGM_RSRC3_GFX90A:TG_SPLIT: 0
	.section	.text._ZN5aiter23act_and_mul_bias_kernelIDF16_DF16_ifTnPFfRKT2_EXadL_ZNS_11gelu_kernelIfEEfRKT_EELi16EEEvPT0_PS8_PKT1_PS2_il,"axG",@progbits,_ZN5aiter23act_and_mul_bias_kernelIDF16_DF16_ifTnPFfRKT2_EXadL_ZNS_11gelu_kernelIfEEfRKT_EELi16EEEvPT0_PS8_PKT1_PS2_il,comdat
	.protected	_ZN5aiter23act_and_mul_bias_kernelIDF16_DF16_ifTnPFfRKT2_EXadL_ZNS_11gelu_kernelIfEEfRKT_EELi16EEEvPT0_PS8_PKT1_PS2_il ; -- Begin function _ZN5aiter23act_and_mul_bias_kernelIDF16_DF16_ifTnPFfRKT2_EXadL_ZNS_11gelu_kernelIfEEfRKT_EELi16EEEvPT0_PS8_PKT1_PS2_il
	.globl	_ZN5aiter23act_and_mul_bias_kernelIDF16_DF16_ifTnPFfRKT2_EXadL_ZNS_11gelu_kernelIfEEfRKT_EELi16EEEvPT0_PS8_PKT1_PS2_il
	.p2align	8
	.type	_ZN5aiter23act_and_mul_bias_kernelIDF16_DF16_ifTnPFfRKT2_EXadL_ZNS_11gelu_kernelIfEEfRKT_EELi16EEEvPT0_PS8_PKT1_PS2_il,@function
_ZN5aiter23act_and_mul_bias_kernelIDF16_DF16_ifTnPFfRKT2_EXadL_ZNS_11gelu_kernelIfEEfRKT_EELi16EEEvPT0_PS8_PKT1_PS2_il: ; @_ZN5aiter23act_and_mul_bias_kernelIDF16_DF16_ifTnPFfRKT2_EXadL_ZNS_11gelu_kernelIfEEfRKT_EELi16EEEvPT0_PS8_PKT1_PS2_il
; %bb.0:
	s_load_dword s24, s[0:1], 0x20
	s_load_dwordx2 s[4:5], s[0:1], 0x10
	s_load_dwordx2 s[12:13], s[0:1], 0x28
	s_mov_b32 s3, 0
	s_lshl_b64 s[6:7], s[2:3], 2
	s_waitcnt lgkmcnt(0)
	s_ashr_i32 s25, s24, 31
	s_add_u32 s4, s4, s6
	s_addc_u32 s5, s5, s7
	s_add_i32 s3, s24, 1
	s_load_dword s8, s[4:5], 0x0
	s_load_dwordx2 s[14:15], s[0:1], 0x0
	s_lshr_b32 s4, s3, 31
	s_add_i32 s3, s3, s4
	s_lshl_b32 s3, s3, 1
	s_and_b32 s6, s3, -4
	s_mul_hi_u32 s3, s24, s2
	s_mul_i32 s4, s25, s2
	s_add_i32 s5, s3, s4
	s_mul_i32 s4, s24, s2
	s_waitcnt lgkmcnt(0)
	s_ashr_i32 s9, s8, 31
	s_lshl_b64 s[4:5], s[4:5], 1
	v_mov_b64_e32 v[2:3], s[12:13]
	v_cmp_gt_i64_e64 s[16:17], s[8:9], -1
	s_add_u32 s4, s14, s4
	v_cmp_lt_i64_e32 vcc, s[8:9], v[2:3]
	s_addc_u32 s3, s15, s5
	s_and_b64 s[12:13], s[16:17], vcc
	s_mov_b64 s[10:11], -1
	s_and_b32 s5, s3, 0xffff
	s_and_b64 vcc, exec, s[12:13]
	v_lshlrev_b32_e32 v48, 4, v0
	s_cbranch_vccnz .LBB449_5
; %bb.1:
	v_cmp_gt_i32_e32 vcc, s24, v48
	s_and_saveexec_b64 s[10:11], vcc
	s_cbranch_execz .LBB449_4
; %bb.2:
	s_load_dword s3, s[0:1], 0x3c
	s_mov_b32 s13, 0
	s_mov_b32 s16, s13
	;; [unrolled: 1-line block ×3, first 2 shown]
	v_mov_b32_e32 v49, 0
	v_lshlrev_b32_e32 v6, 5, v0
	s_waitcnt lgkmcnt(0)
	s_and_b32 s3, s3, 0xffff
	s_mov_b32 s18, s13
	s_mov_b32 s19, s13
	v_mov_b64_e32 v[0:1], s[16:17]
	s_lshl_b32 s12, s3, 4
	s_lshl_b32 s3, s3, 5
	s_mov_b64 s[14:15], 0
	s_mov_b32 s7, 0x20000
	v_mov_b64_e32 v[2:3], s[18:19]
	v_mov_b64_e32 v[4:5], v[48:49]
.LBB449_3:                              ; =>This Inner Loop Header: Depth=1
	v_lshl_add_u64 v[4:5], s[12:13], 0, v[4:5]
	v_cmp_le_i64_e32 vcc, s[24:25], v[4:5]
	buffer_store_dwordx4 v[0:3], v6, s[4:7], 0 offen
	buffer_store_dwordx4 v[0:3], v6, s[4:7], 16 offen
	s_or_b64 s[14:15], vcc, s[14:15]
	v_add_u32_e32 v6, s3, v6
	s_andn2_b64 exec, exec, s[14:15]
	s_cbranch_execnz .LBB449_3
.LBB449_4:
	s_or_b64 exec, exec, s[10:11]
	s_mov_b64 s[10:11], 0
.LBB449_5:
	s_andn2_b64 vcc, exec, s[10:11]
	s_cbranch_vccnz .LBB449_73
; %bb.6:
	v_cmp_gt_i32_e32 vcc, s24, v48
	s_and_saveexec_b64 s[10:11], vcc
	s_cbranch_execz .LBB449_73
; %bb.7:
	s_load_dwordx2 s[10:11], s[0:1], 0x18
	s_load_dwordx2 s[14:15], s[0:1], 0x8
	s_mul_hi_i32 s9, s24, s8
	s_mul_i32 s8, s24, s8
	s_lshl_b64 s[8:9], s[8:9], 3
	s_waitcnt lgkmcnt(0)
	s_add_u32 s8, s10, s8
	s_addc_u32 s3, s11, s9
	s_lshl_b64 s[10:11], s[24:25], 2
	s_add_u32 s12, s8, s10
	s_addc_u32 s13, s3, s11
	s_and_b32 s9, s3, 0xffff
	s_mul_i32 s3, s2, s25
	s_mul_hi_u32 s16, s2, s24
	s_add_i32 s3, s16, s3
	s_mul_i32 s2, s2, s24
	s_lshl_b32 s10, s24, 2
	s_and_b32 s13, s13, 0xffff
	s_lshl_b64 s[2:3], s[2:3], 2
	s_add_u32 s16, s14, s2
	s_addc_u32 s14, s15, s3
	s_lshl_b64 s[2:3], s[24:25], 1
	s_add_u32 s20, s16, s2
	s_addc_u32 s2, s14, s3
	s_and_b32 s17, s14, 0xffff
	s_and_b32 s21, s2, 0xffff
	s_mov_b32 s7, 0x20000
	s_add_u32 s0, s0, 48
	s_mov_b32 s11, s7
	s_mov_b64 s[22:23], s[6:7]
	v_mov_b32_e32 v49, 0
	s_addc_u32 s1, s1, 0
	s_mov_b64 s[2:3], 0
	s_mov_b32 s18, s6
	s_mov_b32 s19, s7
	;; [unrolled: 1-line block ×12, first 2 shown]
	v_mov_b32_e32 v50, 0x3ba10414
	s_brev_b32 s38, -2
	v_mov_b32_e32 v51, 0xb9c68948
	v_mov_b32_e32 v52, 0x7f800000
                                        ; implicit-def: $vgpr0
                                        ; implicit-def: $vgpr0
	;; [unrolled: 1-line block ×4, first 2 shown]
	s_branch .LBB449_9
.LBB449_8:                              ;   in Loop: Header=BB449_9 Depth=1
	s_or_b64 exec, exec, s[14:15]
	v_cvt_f32_f16_sdwa v13, v3 dst_sel:DWORD dst_unused:UNUSED_PAD src0_sel:WORD_1
	v_bfi_b32 v2, s38, v12, v2
	v_cvt_f16_f32_e32 v14, v1
	v_bfi_b32 v1, s38, v11, v10
	v_add_f32_e32 v7, v7, v13
	v_cvt_f16_f32_e32 v13, v0
	v_cvt_f32_f16_e32 v0, v3
	v_mul_f32_e32 v8, 0.5, v8
	v_add_f32_e32 v2, 1.0, v2
	v_add_f32_e32 v1, 1.0, v1
	v_add_f32_e32 v6, v6, v0
	v_mul_f32_e32 v0, 0.5, v9
	v_mul_f32_e32 v2, v8, v2
	v_mul_f32_e32 v3, v0, v1
	;;#ASMSTART
	v_pk_mul_f32 v[0:1], v[2:3], v[6:7]
	;;#ASMEND
	s_load_dword s14, s[0:1], 0xc
	v_cvt_f16_f32_e32 v8, v16
	v_cvt_f16_f32_e32 v12, v17
	;; [unrolled: 1-line block ×14, first 2 shown]
	s_waitcnt lgkmcnt(0)
	s_and_b32 s14, s14, 0xffff
	s_lshl_b32 s26, s14, 4
	v_lshl_add_u64 v[48:49], s[26:27], 0, v[48:49]
	v_pack_b32_f16 v3, v21, v22
	v_pack_b32_f16 v2, v19, v20
	;; [unrolled: 1-line block ×4, first 2 shown]
	v_cmp_le_i64_e32 vcc, s[24:25], v[48:49]
	buffer_store_dwordx4 v[0:3], v53, s[4:7], 0 offen
	s_or_b64 s[2:3], vcc, s[2:3]
	s_nop 0
	v_pack_b32_f16 v3, v6, v7
	v_pack_b32_f16 v2, v4, v5
	;; [unrolled: 1-line block ×4, first 2 shown]
	buffer_store_dwordx4 v[0:3], v53, s[4:7], 16 offen
	s_andn2_b64 exec, exec, s[2:3]
	s_cbranch_execz .LBB449_73
.LBB449_9:                              ; =>This Inner Loop Header: Depth=1
	v_lshlrev_b32_e32 v53, 1, v48
	buffer_load_dwordx4 v[32:35], v53, s[16:19], 0 offen
	buffer_load_dwordx4 v[8:11], v53, s[16:19], 16 offen
	;; [unrolled: 1-line block ×4, first 2 shown]
	v_lshlrev_b32_e32 v54, 2, v48
	s_mov_b32 s14, s10
	s_mov_b32 s15, s11
	buffer_load_dwordx4 v[44:47], v54, s[8:11], 0 offen
	buffer_load_dwordx4 v[36:39], v54, s[8:11], 16 offen
	;; [unrolled: 1-line block ×8, first 2 shown]
                                        ; implicit-def: $vgpr55
	s_waitcnt vmcnt(11)
	v_cvt_f32_f16_e32 v54, v32
	s_waitcnt vmcnt(7)
	v_add_f32_e32 v44, v44, v54
	v_mul_f32_e32 v54, 0x3f3504f3, v44
	v_cmp_nlt_f32_e64 s[14:15], |v54|, 1.0
	s_and_saveexec_b64 s[40:41], s[14:15]
	s_xor_b64 s[14:15], exec, s[40:41]
	s_cbranch_execz .LBB449_11
; %bb.10:                               ;   in Loop: Header=BB449_9 Depth=1
	v_fma_f32 v55, |v54|, s28, v51
	v_fma_f32 v55, |v54|, v55, s29
	;; [unrolled: 1-line block ×6, first 2 shown]
	v_fma_f32 v55, |v54|, v55, |v54|
	v_mul_f32_e32 v56, 0xbfb8aa3b, v55
	v_fma_f32 v57, v55, s35, -v56
	v_rndne_f32_e32 v58, v56
	v_fmac_f32_e32 v57, 0xb2a5705f, v55
	v_sub_f32_e32 v56, v56, v58
	v_add_f32_e32 v56, v56, v57
	v_cvt_i32_f32_e32 v57, v58
	v_exp_f32_e32 v56, v56
	v_cmp_nlt_f32_e32 vcc, s36, v55
	v_ldexp_f32 v56, v56, v57
	s_nop 0
	v_cndmask_b32_e32 v56, 0, v56, vcc
	v_cmp_ngt_f32_e32 vcc, s37, v55
	s_nop 1
	v_cndmask_b32_e32 v55, v52, v56, vcc
	v_sub_f32_e32 v55, 1.0, v55
.LBB449_11:                             ;   in Loop: Header=BB449_9 Depth=1
	s_andn2_saveexec_b64 s[14:15], s[14:15]
; %bb.12:                               ;   in Loop: Header=BB449_9 Depth=1
	v_mul_f32_e32 v55, v54, v54
	v_fmamk_f32 v56, v55, 0xba1345e1, v50
	v_fmaak_f32 v56, v55, v56, 0xbcdac9b8
	v_fmaak_f32 v56, v55, v56, 0x3de703be
	;; [unrolled: 1-line block ×4, first 2 shown]
	v_fma_f32 v55, |v54|, v55, |v54|
; %bb.13:                               ;   in Loop: Header=BB449_9 Depth=1
	s_or_b64 exec, exec, s[14:15]
	v_cvt_f32_f16_sdwa v32, v32 dst_sel:DWORD dst_unused:UNUSED_PAD src0_sel:WORD_1
                                        ; implicit-def: $vgpr56
	v_add_f32_e32 v32, v45, v32
	v_mul_f32_e32 v45, 0x3f3504f3, v32
	v_cmp_nlt_f32_e64 s[14:15], |v45|, 1.0
	s_and_saveexec_b64 s[40:41], s[14:15]
	s_xor_b64 s[14:15], exec, s[40:41]
	s_cbranch_execz .LBB449_15
; %bb.14:                               ;   in Loop: Header=BB449_9 Depth=1
	v_fma_f32 v56, |v45|, s28, v51
	v_fma_f32 v56, |v45|, v56, s29
	;; [unrolled: 1-line block ×6, first 2 shown]
	v_fma_f32 v56, |v45|, v56, |v45|
	v_mul_f32_e32 v57, 0xbfb8aa3b, v56
	v_fma_f32 v58, v56, s35, -v57
	v_rndne_f32_e32 v59, v57
	v_fmac_f32_e32 v58, 0xb2a5705f, v56
	v_sub_f32_e32 v57, v57, v59
	v_add_f32_e32 v57, v57, v58
	v_cvt_i32_f32_e32 v58, v59
	v_exp_f32_e32 v57, v57
	v_cmp_nlt_f32_e32 vcc, s36, v56
	v_ldexp_f32 v57, v57, v58
	s_nop 0
	v_cndmask_b32_e32 v57, 0, v57, vcc
	v_cmp_ngt_f32_e32 vcc, s37, v56
	s_nop 1
	v_cndmask_b32_e32 v56, v52, v57, vcc
	v_sub_f32_e32 v56, 1.0, v56
.LBB449_15:                             ;   in Loop: Header=BB449_9 Depth=1
	s_andn2_saveexec_b64 s[14:15], s[14:15]
; %bb.16:                               ;   in Loop: Header=BB449_9 Depth=1
	v_mul_f32_e32 v56, v45, v45
	v_fmamk_f32 v57, v56, 0xba1345e1, v50
	v_fmaak_f32 v57, v56, v57, 0xbcdac9b8
	v_fmaak_f32 v57, v56, v57, 0x3de703be
	v_fmaak_f32 v57, v56, v57, 0xbec09330
	v_fmaak_f32 v56, v56, v57, 0x3e0375d0
	v_fma_f32 v56, |v45|, v56, |v45|
; %bb.17:                               ;   in Loop: Header=BB449_9 Depth=1
	s_or_b64 exec, exec, s[14:15]
	v_bfi_b32 v54, s38, v55, v54
	v_cvt_f32_f16_sdwa v55, v24 dst_sel:DWORD dst_unused:UNUSED_PAD src0_sel:WORD_1
	v_cvt_f32_f16_e32 v24, v24
	v_mul_f32_e32 v44, 0.5, v44
	v_add_f32_e32 v54, 1.0, v54
	v_mul_f32_e32 v44, v44, v54
	v_cvt_f32_f16_e32 v54, v33
	s_waitcnt vmcnt(3)
	v_add_f32_e32 v40, v40, v24
	v_mul_f32_e32 v24, 0.5, v32
	v_bfi_b32 v32, s38, v56, v45
	v_add_f32_e32 v32, 1.0, v32
	v_mul_f32_e32 v45, v24, v32
	v_add_f32_e32 v24, v46, v54
	v_mul_f32_e32 v32, 0x3f3504f3, v24
	v_add_f32_e32 v41, v41, v55
	v_cmp_nlt_f32_e64 s[14:15], |v32|, 1.0
	;;#ASMSTART
	v_pk_mul_f32 v[40:41], v[44:45], v[40:41]
	;;#ASMEND
                                        ; implicit-def: $vgpr44
	s_and_saveexec_b64 s[40:41], s[14:15]
	s_xor_b64 s[14:15], exec, s[40:41]
	s_cbranch_execz .LBB449_19
; %bb.18:                               ;   in Loop: Header=BB449_9 Depth=1
	v_fma_f32 v44, |v32|, s28, v51
	v_fma_f32 v44, |v32|, v44, s29
	;; [unrolled: 1-line block ×6, first 2 shown]
	v_fma_f32 v44, |v32|, v44, |v32|
	v_mul_f32_e32 v45, 0xbfb8aa3b, v44
	v_fma_f32 v46, v44, s35, -v45
	v_rndne_f32_e32 v54, v45
	v_fmac_f32_e32 v46, 0xb2a5705f, v44
	v_sub_f32_e32 v45, v45, v54
	v_add_f32_e32 v45, v45, v46
	v_cvt_i32_f32_e32 v46, v54
	v_exp_f32_e32 v45, v45
	v_cmp_nlt_f32_e32 vcc, s36, v44
	v_ldexp_f32 v45, v45, v46
	s_nop 0
	v_cndmask_b32_e32 v45, 0, v45, vcc
	v_cmp_ngt_f32_e32 vcc, s37, v44
	s_nop 1
	v_cndmask_b32_e32 v44, v52, v45, vcc
	v_sub_f32_e32 v44, 1.0, v44
.LBB449_19:                             ;   in Loop: Header=BB449_9 Depth=1
	s_andn2_saveexec_b64 s[14:15], s[14:15]
; %bb.20:                               ;   in Loop: Header=BB449_9 Depth=1
	v_mul_f32_e32 v44, v32, v32
	v_fmamk_f32 v45, v44, 0xba1345e1, v50
	v_fmaak_f32 v45, v44, v45, 0xbcdac9b8
	v_fmaak_f32 v45, v44, v45, 0x3de703be
	;; [unrolled: 1-line block ×4, first 2 shown]
	v_fma_f32 v44, |v32|, v44, |v32|
; %bb.21:                               ;   in Loop: Header=BB449_9 Depth=1
	s_or_b64 exec, exec, s[14:15]
	v_cvt_f32_f16_sdwa v33, v33 dst_sel:DWORD dst_unused:UNUSED_PAD src0_sel:WORD_1
                                        ; implicit-def: $vgpr46
	v_add_f32_e32 v33, v47, v33
	v_mul_f32_e32 v45, 0x3f3504f3, v33
	v_cmp_nlt_f32_e64 s[14:15], |v45|, 1.0
	s_and_saveexec_b64 s[40:41], s[14:15]
	s_xor_b64 s[14:15], exec, s[40:41]
	s_cbranch_execz .LBB449_23
; %bb.22:                               ;   in Loop: Header=BB449_9 Depth=1
	v_fma_f32 v46, |v45|, s28, v51
	v_fma_f32 v46, |v45|, v46, s29
	;; [unrolled: 1-line block ×6, first 2 shown]
	v_fma_f32 v46, |v45|, v46, |v45|
	v_mul_f32_e32 v47, 0xbfb8aa3b, v46
	v_fma_f32 v54, v46, s35, -v47
	v_rndne_f32_e32 v55, v47
	v_fmac_f32_e32 v54, 0xb2a5705f, v46
	v_sub_f32_e32 v47, v47, v55
	v_add_f32_e32 v47, v47, v54
	v_cvt_i32_f32_e32 v54, v55
	v_exp_f32_e32 v47, v47
	v_cmp_nlt_f32_e32 vcc, s36, v46
	v_ldexp_f32 v47, v47, v54
	s_nop 0
	v_cndmask_b32_e32 v47, 0, v47, vcc
	v_cmp_ngt_f32_e32 vcc, s37, v46
	s_nop 1
	v_cndmask_b32_e32 v46, v52, v47, vcc
	v_sub_f32_e32 v46, 1.0, v46
.LBB449_23:                             ;   in Loop: Header=BB449_9 Depth=1
	s_andn2_saveexec_b64 s[14:15], s[14:15]
; %bb.24:                               ;   in Loop: Header=BB449_9 Depth=1
	v_mul_f32_e32 v46, v45, v45
	v_fmamk_f32 v47, v46, 0xba1345e1, v50
	v_fmaak_f32 v47, v46, v47, 0xbcdac9b8
	v_fmaak_f32 v47, v46, v47, 0x3de703be
	;; [unrolled: 1-line block ×4, first 2 shown]
	v_fma_f32 v46, |v45|, v46, |v45|
; %bb.25:                               ;   in Loop: Header=BB449_9 Depth=1
	s_or_b64 exec, exec, s[14:15]
	v_bfi_b32 v32, s38, v44, v32
	v_cvt_f32_f16_sdwa v44, v25 dst_sel:DWORD dst_unused:UNUSED_PAD src0_sel:WORD_1
	v_cvt_f32_f16_e32 v25, v25
	v_mul_f32_e32 v24, 0.5, v24
	v_add_f32_e32 v32, 1.0, v32
	v_mul_f32_e32 v24, v24, v32
	v_add_f32_e32 v42, v42, v25
	v_mul_f32_e32 v25, 0.5, v33
	v_cvt_f32_f16_e32 v33, v34
	v_bfi_b32 v32, s38, v46, v45
	v_add_f32_e32 v32, 1.0, v32
	v_mul_f32_e32 v25, v25, v32
	v_add_f32_e32 v32, v36, v33
	v_mul_f32_e32 v33, 0x3f3504f3, v32
	v_cmp_nlt_f32_e64 s[14:15], |v33|, 1.0
	v_add_f32_e32 v43, v43, v44
	;;#ASMSTART
	v_pk_mul_f32 v[24:25], v[24:25], v[42:43]
	;;#ASMEND
                                        ; implicit-def: $vgpr36
	s_and_saveexec_b64 s[40:41], s[14:15]
	s_xor_b64 s[14:15], exec, s[40:41]
	s_cbranch_execz .LBB449_27
; %bb.26:                               ;   in Loop: Header=BB449_9 Depth=1
	v_fma_f32 v36, |v33|, s28, v51
	v_fma_f32 v36, |v33|, v36, s29
	;; [unrolled: 1-line block ×6, first 2 shown]
	v_fma_f32 v36, |v33|, v36, |v33|
	v_mul_f32_e32 v42, 0xbfb8aa3b, v36
	v_fma_f32 v43, v36, s35, -v42
	v_rndne_f32_e32 v44, v42
	v_fmac_f32_e32 v43, 0xb2a5705f, v36
	v_sub_f32_e32 v42, v42, v44
	v_add_f32_e32 v42, v42, v43
	v_cvt_i32_f32_e32 v43, v44
	v_exp_f32_e32 v42, v42
	v_cmp_nlt_f32_e32 vcc, s36, v36
	v_ldexp_f32 v42, v42, v43
	s_nop 0
	v_cndmask_b32_e32 v42, 0, v42, vcc
	v_cmp_ngt_f32_e32 vcc, s37, v36
	s_nop 1
	v_cndmask_b32_e32 v36, v52, v42, vcc
	v_sub_f32_e32 v36, 1.0, v36
.LBB449_27:                             ;   in Loop: Header=BB449_9 Depth=1
	s_andn2_saveexec_b64 s[14:15], s[14:15]
; %bb.28:                               ;   in Loop: Header=BB449_9 Depth=1
	v_mul_f32_e32 v36, v33, v33
	v_fmamk_f32 v42, v36, 0xba1345e1, v50
	v_fmaak_f32 v42, v36, v42, 0xbcdac9b8
	v_fmaak_f32 v42, v36, v42, 0x3de703be
	;; [unrolled: 1-line block ×4, first 2 shown]
	v_fma_f32 v36, |v33|, v36, |v33|
; %bb.29:                               ;   in Loop: Header=BB449_9 Depth=1
	s_or_b64 exec, exec, s[14:15]
	v_cvt_f32_f16_sdwa v34, v34 dst_sel:DWORD dst_unused:UNUSED_PAD src0_sel:WORD_1
                                        ; implicit-def: $vgpr42
	v_add_f32_e32 v34, v37, v34
	v_mul_f32_e32 v37, 0x3f3504f3, v34
	v_cmp_nlt_f32_e64 s[14:15], |v37|, 1.0
	s_and_saveexec_b64 s[40:41], s[14:15]
	s_xor_b64 s[14:15], exec, s[40:41]
	s_cbranch_execz .LBB449_31
; %bb.30:                               ;   in Loop: Header=BB449_9 Depth=1
	v_fma_f32 v42, |v37|, s28, v51
	v_fma_f32 v42, |v37|, v42, s29
	;; [unrolled: 1-line block ×6, first 2 shown]
	v_fma_f32 v42, |v37|, v42, |v37|
	v_mul_f32_e32 v43, 0xbfb8aa3b, v42
	v_fma_f32 v44, v42, s35, -v43
	v_rndne_f32_e32 v45, v43
	v_fmac_f32_e32 v44, 0xb2a5705f, v42
	v_sub_f32_e32 v43, v43, v45
	v_add_f32_e32 v43, v43, v44
	v_cvt_i32_f32_e32 v44, v45
	v_exp_f32_e32 v43, v43
	v_cmp_nlt_f32_e32 vcc, s36, v42
	v_ldexp_f32 v43, v43, v44
	s_nop 0
	v_cndmask_b32_e32 v43, 0, v43, vcc
	v_cmp_ngt_f32_e32 vcc, s37, v42
	s_nop 1
	v_cndmask_b32_e32 v42, v52, v43, vcc
	v_sub_f32_e32 v42, 1.0, v42
.LBB449_31:                             ;   in Loop: Header=BB449_9 Depth=1
	s_andn2_saveexec_b64 s[14:15], s[14:15]
; %bb.32:                               ;   in Loop: Header=BB449_9 Depth=1
	v_mul_f32_e32 v42, v37, v37
	v_fmamk_f32 v43, v42, 0xba1345e1, v50
	v_fmaak_f32 v43, v42, v43, 0xbcdac9b8
	v_fmaak_f32 v43, v42, v43, 0x3de703be
	v_fmaak_f32 v43, v42, v43, 0xbec09330
	v_fmaak_f32 v42, v42, v43, 0x3e0375d0
	v_fma_f32 v42, |v37|, v42, |v37|
; %bb.33:                               ;   in Loop: Header=BB449_9 Depth=1
	s_or_b64 exec, exec, s[14:15]
	v_bfi_b32 v33, s38, v36, v33
	v_cvt_f32_f16_sdwa v36, v26 dst_sel:DWORD dst_unused:UNUSED_PAD src0_sel:WORD_1
	v_cvt_f32_f16_e32 v26, v26
	v_mul_f32_e32 v32, 0.5, v32
	v_add_f32_e32 v33, 1.0, v33
	v_mul_f32_e32 v32, v32, v33
	s_waitcnt vmcnt(2)
	v_add_f32_e32 v28, v28, v26
	v_mul_f32_e32 v26, 0.5, v34
	v_cvt_f32_f16_e32 v34, v35
	v_bfi_b32 v33, s38, v42, v37
	v_add_f32_e32 v33, 1.0, v33
	v_add_f32_e32 v29, v29, v36
	v_mul_f32_e32 v33, v26, v33
	v_add_f32_e32 v26, v38, v34
	;;#ASMSTART
	v_pk_mul_f32 v[28:29], v[32:33], v[28:29]
	;;#ASMEND
	v_mul_f32_e32 v32, 0x3f3504f3, v26
	v_cmp_nlt_f32_e64 s[14:15], |v32|, 1.0
                                        ; implicit-def: $vgpr33
	s_and_saveexec_b64 s[40:41], s[14:15]
	s_xor_b64 s[14:15], exec, s[40:41]
	s_cbranch_execz .LBB449_35
; %bb.34:                               ;   in Loop: Header=BB449_9 Depth=1
	v_fma_f32 v33, |v32|, s28, v51
	v_fma_f32 v33, |v32|, v33, s29
	;; [unrolled: 1-line block ×6, first 2 shown]
	v_fma_f32 v33, |v32|, v33, |v32|
	v_mul_f32_e32 v34, 0xbfb8aa3b, v33
	v_fma_f32 v36, v33, s35, -v34
	v_rndne_f32_e32 v37, v34
	v_fmac_f32_e32 v36, 0xb2a5705f, v33
	v_sub_f32_e32 v34, v34, v37
	v_add_f32_e32 v34, v34, v36
	v_cvt_i32_f32_e32 v36, v37
	v_exp_f32_e32 v34, v34
	v_cmp_nlt_f32_e32 vcc, s36, v33
	v_ldexp_f32 v34, v34, v36
	s_nop 0
	v_cndmask_b32_e32 v34, 0, v34, vcc
	v_cmp_ngt_f32_e32 vcc, s37, v33
	s_nop 1
	v_cndmask_b32_e32 v33, v52, v34, vcc
	v_sub_f32_e32 v33, 1.0, v33
.LBB449_35:                             ;   in Loop: Header=BB449_9 Depth=1
	s_andn2_saveexec_b64 s[14:15], s[14:15]
; %bb.36:                               ;   in Loop: Header=BB449_9 Depth=1
	v_mul_f32_e32 v33, v32, v32
	v_fmamk_f32 v34, v33, 0xba1345e1, v50
	v_fmaak_f32 v34, v33, v34, 0xbcdac9b8
	v_fmaak_f32 v34, v33, v34, 0x3de703be
	;; [unrolled: 1-line block ×4, first 2 shown]
	v_fma_f32 v33, |v32|, v33, |v32|
; %bb.37:                               ;   in Loop: Header=BB449_9 Depth=1
	s_or_b64 exec, exec, s[14:15]
	v_cvt_f32_f16_sdwa v34, v35 dst_sel:DWORD dst_unused:UNUSED_PAD src0_sel:WORD_1
                                        ; implicit-def: $vgpr36
	v_add_f32_e32 v34, v39, v34
	v_mul_f32_e32 v35, 0x3f3504f3, v34
	v_cmp_nlt_f32_e64 s[14:15], |v35|, 1.0
	s_and_saveexec_b64 s[40:41], s[14:15]
	s_xor_b64 s[14:15], exec, s[40:41]
	s_cbranch_execz .LBB449_39
; %bb.38:                               ;   in Loop: Header=BB449_9 Depth=1
	v_fma_f32 v36, |v35|, s28, v51
	v_fma_f32 v36, |v35|, v36, s29
	;; [unrolled: 1-line block ×6, first 2 shown]
	v_fma_f32 v36, |v35|, v36, |v35|
	v_mul_f32_e32 v37, 0xbfb8aa3b, v36
	v_fma_f32 v38, v36, s35, -v37
	v_rndne_f32_e32 v39, v37
	v_fmac_f32_e32 v38, 0xb2a5705f, v36
	v_sub_f32_e32 v37, v37, v39
	v_add_f32_e32 v37, v37, v38
	v_cvt_i32_f32_e32 v38, v39
	v_exp_f32_e32 v37, v37
	v_cmp_nlt_f32_e32 vcc, s36, v36
	v_ldexp_f32 v37, v37, v38
	s_nop 0
	v_cndmask_b32_e32 v37, 0, v37, vcc
	v_cmp_ngt_f32_e32 vcc, s37, v36
	s_nop 1
	v_cndmask_b32_e32 v36, v52, v37, vcc
	v_sub_f32_e32 v36, 1.0, v36
.LBB449_39:                             ;   in Loop: Header=BB449_9 Depth=1
	s_andn2_saveexec_b64 s[14:15], s[14:15]
; %bb.40:                               ;   in Loop: Header=BB449_9 Depth=1
	v_mul_f32_e32 v36, v35, v35
	v_fmamk_f32 v37, v36, 0xba1345e1, v50
	v_fmaak_f32 v37, v36, v37, 0xbcdac9b8
	v_fmaak_f32 v37, v36, v37, 0x3de703be
	;; [unrolled: 1-line block ×4, first 2 shown]
	v_fma_f32 v36, |v35|, v36, |v35|
; %bb.41:                               ;   in Loop: Header=BB449_9 Depth=1
	s_or_b64 exec, exec, s[14:15]
	v_bfi_b32 v32, s38, v33, v32
	v_cvt_f32_f16_sdwa v33, v27 dst_sel:DWORD dst_unused:UNUSED_PAD src0_sel:WORD_1
	v_cvt_f32_f16_e32 v27, v27
	v_mul_f32_e32 v26, 0.5, v26
	v_add_f32_e32 v32, 1.0, v32
	v_add_f32_e32 v31, v31, v33
	v_cvt_f32_f16_e32 v33, v8
	v_mul_f32_e32 v26, v26, v32
	v_bfi_b32 v32, s38, v36, v35
	v_add_f32_e32 v30, v30, v27
	v_mul_f32_e32 v27, 0.5, v34
	v_add_f32_e32 v32, 1.0, v32
	v_mul_f32_e32 v27, v27, v32
	v_add_f32_e32 v20, v20, v33
	;;#ASMSTART
	v_pk_mul_f32 v[26:27], v[26:27], v[30:31]
	;;#ASMEND
	v_mul_f32_e32 v30, 0x3f3504f3, v20
	v_cmp_nlt_f32_e64 s[14:15], |v30|, 1.0
                                        ; implicit-def: $vgpr31
	s_and_saveexec_b64 s[40:41], s[14:15]
	s_xor_b64 s[14:15], exec, s[40:41]
	s_cbranch_execz .LBB449_43
; %bb.42:                               ;   in Loop: Header=BB449_9 Depth=1
	v_fma_f32 v31, |v30|, s28, v51
	v_fma_f32 v31, |v30|, v31, s29
	;; [unrolled: 1-line block ×6, first 2 shown]
	v_fma_f32 v31, |v30|, v31, |v30|
	v_mul_f32_e32 v32, 0xbfb8aa3b, v31
	v_fma_f32 v33, v31, s35, -v32
	v_rndne_f32_e32 v34, v32
	v_fmac_f32_e32 v33, 0xb2a5705f, v31
	v_sub_f32_e32 v32, v32, v34
	v_add_f32_e32 v32, v32, v33
	v_cvt_i32_f32_e32 v33, v34
	v_exp_f32_e32 v32, v32
	v_cmp_nlt_f32_e32 vcc, s36, v31
	v_ldexp_f32 v32, v32, v33
	s_nop 0
	v_cndmask_b32_e32 v32, 0, v32, vcc
	v_cmp_ngt_f32_e32 vcc, s37, v31
	s_nop 1
	v_cndmask_b32_e32 v31, v52, v32, vcc
	v_sub_f32_e32 v31, 1.0, v31
.LBB449_43:                             ;   in Loop: Header=BB449_9 Depth=1
	s_andn2_saveexec_b64 s[14:15], s[14:15]
; %bb.44:                               ;   in Loop: Header=BB449_9 Depth=1
	v_mul_f32_e32 v31, v30, v30
	v_fmamk_f32 v32, v31, 0xba1345e1, v50
	v_fmaak_f32 v32, v31, v32, 0xbcdac9b8
	v_fmaak_f32 v32, v31, v32, 0x3de703be
	;; [unrolled: 1-line block ×4, first 2 shown]
	v_fma_f32 v31, |v30|, v31, |v30|
; %bb.45:                               ;   in Loop: Header=BB449_9 Depth=1
	s_or_b64 exec, exec, s[14:15]
	v_cvt_f32_f16_sdwa v8, v8 dst_sel:DWORD dst_unused:UNUSED_PAD src0_sel:WORD_1
                                        ; implicit-def: $vgpr32
	v_add_f32_e32 v8, v21, v8
	v_mul_f32_e32 v21, 0x3f3504f3, v8
	v_cmp_nlt_f32_e64 s[14:15], |v21|, 1.0
	s_and_saveexec_b64 s[40:41], s[14:15]
	s_xor_b64 s[14:15], exec, s[40:41]
	s_cbranch_execz .LBB449_47
; %bb.46:                               ;   in Loop: Header=BB449_9 Depth=1
	v_fma_f32 v32, |v21|, s28, v51
	v_fma_f32 v32, |v21|, v32, s29
	;; [unrolled: 1-line block ×6, first 2 shown]
	v_fma_f32 v32, |v21|, v32, |v21|
	v_mul_f32_e32 v33, 0xbfb8aa3b, v32
	v_fma_f32 v34, v32, s35, -v33
	v_rndne_f32_e32 v35, v33
	v_fmac_f32_e32 v34, 0xb2a5705f, v32
	v_sub_f32_e32 v33, v33, v35
	v_add_f32_e32 v33, v33, v34
	v_cvt_i32_f32_e32 v34, v35
	v_exp_f32_e32 v33, v33
	v_cmp_nlt_f32_e32 vcc, s36, v32
	v_ldexp_f32 v33, v33, v34
	s_nop 0
	v_cndmask_b32_e32 v33, 0, v33, vcc
	v_cmp_ngt_f32_e32 vcc, s37, v32
	s_nop 1
	v_cndmask_b32_e32 v32, v52, v33, vcc
	v_sub_f32_e32 v32, 1.0, v32
.LBB449_47:                             ;   in Loop: Header=BB449_9 Depth=1
	s_andn2_saveexec_b64 s[14:15], s[14:15]
; %bb.48:                               ;   in Loop: Header=BB449_9 Depth=1
	v_mul_f32_e32 v32, v21, v21
	v_fmamk_f32 v33, v32, 0xba1345e1, v50
	v_fmaak_f32 v33, v32, v33, 0xbcdac9b8
	v_fmaak_f32 v33, v32, v33, 0x3de703be
	;; [unrolled: 1-line block ×4, first 2 shown]
	v_fma_f32 v32, |v21|, v32, |v21|
; %bb.49:                               ;   in Loop: Header=BB449_9 Depth=1
	s_or_b64 exec, exec, s[14:15]
	v_bfi_b32 v30, s38, v31, v30
	v_cvt_f32_f16_sdwa v31, v0 dst_sel:DWORD dst_unused:UNUSED_PAD src0_sel:WORD_1
	v_cvt_f32_f16_e32 v0, v0
	v_mul_f32_e32 v20, 0.5, v20
	v_add_f32_e32 v30, 1.0, v30
	v_mul_f32_e32 v20, v20, v30
	v_cvt_f32_f16_e32 v30, v9
	s_waitcnt vmcnt(1)
	v_add_f32_e32 v16, v16, v0
	v_mul_f32_e32 v0, 0.5, v8
	v_bfi_b32 v8, s38, v32, v21
	v_add_f32_e32 v8, 1.0, v8
	v_mul_f32_e32 v21, v0, v8
	v_add_f32_e32 v0, v22, v30
	v_mul_f32_e32 v8, 0x3f3504f3, v0
	v_add_f32_e32 v17, v17, v31
	v_cmp_nlt_f32_e64 s[14:15], |v8|, 1.0
	;;#ASMSTART
	v_pk_mul_f32 v[16:17], v[20:21], v[16:17]
	;;#ASMEND
                                        ; implicit-def: $vgpr20
	s_and_saveexec_b64 s[40:41], s[14:15]
	s_xor_b64 s[14:15], exec, s[40:41]
	s_cbranch_execz .LBB449_51
; %bb.50:                               ;   in Loop: Header=BB449_9 Depth=1
	v_fma_f32 v20, |v8|, s28, v51
	v_fma_f32 v20, |v8|, v20, s29
	;; [unrolled: 1-line block ×6, first 2 shown]
	v_fma_f32 v20, |v8|, v20, |v8|
	v_mul_f32_e32 v21, 0xbfb8aa3b, v20
	v_fma_f32 v22, v20, s35, -v21
	v_rndne_f32_e32 v30, v21
	v_fmac_f32_e32 v22, 0xb2a5705f, v20
	v_sub_f32_e32 v21, v21, v30
	v_add_f32_e32 v21, v21, v22
	v_cvt_i32_f32_e32 v22, v30
	v_exp_f32_e32 v21, v21
	v_cmp_nlt_f32_e32 vcc, s36, v20
	v_ldexp_f32 v21, v21, v22
	s_nop 0
	v_cndmask_b32_e32 v21, 0, v21, vcc
	v_cmp_ngt_f32_e32 vcc, s37, v20
	s_nop 1
	v_cndmask_b32_e32 v20, v52, v21, vcc
	v_sub_f32_e32 v20, 1.0, v20
.LBB449_51:                             ;   in Loop: Header=BB449_9 Depth=1
	s_andn2_saveexec_b64 s[14:15], s[14:15]
; %bb.52:                               ;   in Loop: Header=BB449_9 Depth=1
	v_mul_f32_e32 v20, v8, v8
	v_fmamk_f32 v21, v20, 0xba1345e1, v50
	v_fmaak_f32 v21, v20, v21, 0xbcdac9b8
	v_fmaak_f32 v21, v20, v21, 0x3de703be
	;; [unrolled: 1-line block ×4, first 2 shown]
	v_fma_f32 v20, |v8|, v20, |v8|
; %bb.53:                               ;   in Loop: Header=BB449_9 Depth=1
	s_or_b64 exec, exec, s[14:15]
	v_cvt_f32_f16_sdwa v9, v9 dst_sel:DWORD dst_unused:UNUSED_PAD src0_sel:WORD_1
                                        ; implicit-def: $vgpr22
	v_add_f32_e32 v9, v23, v9
	v_mul_f32_e32 v21, 0x3f3504f3, v9
	v_cmp_nlt_f32_e64 s[14:15], |v21|, 1.0
	s_and_saveexec_b64 s[40:41], s[14:15]
	s_xor_b64 s[14:15], exec, s[40:41]
	s_cbranch_execz .LBB449_55
; %bb.54:                               ;   in Loop: Header=BB449_9 Depth=1
	v_fma_f32 v22, |v21|, s28, v51
	v_fma_f32 v22, |v21|, v22, s29
	;; [unrolled: 1-line block ×6, first 2 shown]
	v_fma_f32 v22, |v21|, v22, |v21|
	v_mul_f32_e32 v23, 0xbfb8aa3b, v22
	v_fma_f32 v30, v22, s35, -v23
	v_rndne_f32_e32 v31, v23
	v_fmac_f32_e32 v30, 0xb2a5705f, v22
	v_sub_f32_e32 v23, v23, v31
	v_add_f32_e32 v23, v23, v30
	v_cvt_i32_f32_e32 v30, v31
	v_exp_f32_e32 v23, v23
	v_cmp_nlt_f32_e32 vcc, s36, v22
	v_ldexp_f32 v23, v23, v30
	s_nop 0
	v_cndmask_b32_e32 v23, 0, v23, vcc
	v_cmp_ngt_f32_e32 vcc, s37, v22
	s_nop 1
	v_cndmask_b32_e32 v22, v52, v23, vcc
	v_sub_f32_e32 v22, 1.0, v22
.LBB449_55:                             ;   in Loop: Header=BB449_9 Depth=1
	s_andn2_saveexec_b64 s[14:15], s[14:15]
; %bb.56:                               ;   in Loop: Header=BB449_9 Depth=1
	v_mul_f32_e32 v22, v21, v21
	v_fmamk_f32 v23, v22, 0xba1345e1, v50
	v_fmaak_f32 v23, v22, v23, 0xbcdac9b8
	v_fmaak_f32 v23, v22, v23, 0x3de703be
	;; [unrolled: 1-line block ×4, first 2 shown]
	v_fma_f32 v22, |v21|, v22, |v21|
; %bb.57:                               ;   in Loop: Header=BB449_9 Depth=1
	s_or_b64 exec, exec, s[14:15]
	v_bfi_b32 v8, s38, v20, v8
	v_cvt_f32_f16_sdwa v20, v1 dst_sel:DWORD dst_unused:UNUSED_PAD src0_sel:WORD_1
	v_cvt_f32_f16_e32 v1, v1
	v_mul_f32_e32 v0, 0.5, v0
	v_add_f32_e32 v8, 1.0, v8
	v_mul_f32_e32 v0, v0, v8
	v_add_f32_e32 v18, v18, v1
	v_mul_f32_e32 v1, 0.5, v9
	v_cvt_f32_f16_e32 v9, v10
	v_bfi_b32 v8, s38, v22, v21
	v_add_f32_e32 v8, 1.0, v8
	v_mul_f32_e32 v1, v1, v8
	v_add_f32_e32 v8, v12, v9
	v_mul_f32_e32 v9, 0x3f3504f3, v8
	v_cmp_nlt_f32_e64 s[14:15], |v9|, 1.0
	v_add_f32_e32 v19, v19, v20
	;;#ASMSTART
	v_pk_mul_f32 v[0:1], v[0:1], v[18:19]
	;;#ASMEND
                                        ; implicit-def: $vgpr12
	s_and_saveexec_b64 s[40:41], s[14:15]
	s_xor_b64 s[14:15], exec, s[40:41]
	s_cbranch_execz .LBB449_59
; %bb.58:                               ;   in Loop: Header=BB449_9 Depth=1
	v_fma_f32 v12, |v9|, s28, v51
	v_fma_f32 v12, |v9|, v12, s29
	;; [unrolled: 1-line block ×6, first 2 shown]
	v_fma_f32 v12, |v9|, v12, |v9|
	v_mul_f32_e32 v18, 0xbfb8aa3b, v12
	v_fma_f32 v19, v12, s35, -v18
	v_rndne_f32_e32 v20, v18
	v_fmac_f32_e32 v19, 0xb2a5705f, v12
	v_sub_f32_e32 v18, v18, v20
	v_add_f32_e32 v18, v18, v19
	v_cvt_i32_f32_e32 v19, v20
	v_exp_f32_e32 v18, v18
	v_cmp_nlt_f32_e32 vcc, s36, v12
	v_ldexp_f32 v18, v18, v19
	s_nop 0
	v_cndmask_b32_e32 v18, 0, v18, vcc
	v_cmp_ngt_f32_e32 vcc, s37, v12
	s_nop 1
	v_cndmask_b32_e32 v12, v52, v18, vcc
	v_sub_f32_e32 v12, 1.0, v12
.LBB449_59:                             ;   in Loop: Header=BB449_9 Depth=1
	s_andn2_saveexec_b64 s[14:15], s[14:15]
; %bb.60:                               ;   in Loop: Header=BB449_9 Depth=1
	v_mul_f32_e32 v12, v9, v9
	v_fmamk_f32 v18, v12, 0xba1345e1, v50
	v_fmaak_f32 v18, v12, v18, 0xbcdac9b8
	v_fmaak_f32 v18, v12, v18, 0x3de703be
	;; [unrolled: 1-line block ×4, first 2 shown]
	v_fma_f32 v12, |v9|, v12, |v9|
; %bb.61:                               ;   in Loop: Header=BB449_9 Depth=1
	s_or_b64 exec, exec, s[14:15]
	v_cvt_f32_f16_sdwa v10, v10 dst_sel:DWORD dst_unused:UNUSED_PAD src0_sel:WORD_1
                                        ; implicit-def: $vgpr18
	v_add_f32_e32 v10, v13, v10
	v_mul_f32_e32 v13, 0x3f3504f3, v10
	v_cmp_nlt_f32_e64 s[14:15], |v13|, 1.0
	s_and_saveexec_b64 s[40:41], s[14:15]
	s_xor_b64 s[14:15], exec, s[40:41]
	s_cbranch_execz .LBB449_63
; %bb.62:                               ;   in Loop: Header=BB449_9 Depth=1
	v_fma_f32 v18, |v13|, s28, v51
	v_fma_f32 v18, |v13|, v18, s29
	;; [unrolled: 1-line block ×6, first 2 shown]
	v_fma_f32 v18, |v13|, v18, |v13|
	v_mul_f32_e32 v19, 0xbfb8aa3b, v18
	v_fma_f32 v20, v18, s35, -v19
	v_rndne_f32_e32 v21, v19
	v_fmac_f32_e32 v20, 0xb2a5705f, v18
	v_sub_f32_e32 v19, v19, v21
	v_add_f32_e32 v19, v19, v20
	v_cvt_i32_f32_e32 v20, v21
	v_exp_f32_e32 v19, v19
	v_cmp_nlt_f32_e32 vcc, s36, v18
	v_ldexp_f32 v19, v19, v20
	s_nop 0
	v_cndmask_b32_e32 v19, 0, v19, vcc
	v_cmp_ngt_f32_e32 vcc, s37, v18
	s_nop 1
	v_cndmask_b32_e32 v18, v52, v19, vcc
	v_sub_f32_e32 v18, 1.0, v18
.LBB449_63:                             ;   in Loop: Header=BB449_9 Depth=1
	s_andn2_saveexec_b64 s[14:15], s[14:15]
; %bb.64:                               ;   in Loop: Header=BB449_9 Depth=1
	v_mul_f32_e32 v18, v13, v13
	v_fmamk_f32 v19, v18, 0xba1345e1, v50
	v_fmaak_f32 v19, v18, v19, 0xbcdac9b8
	v_fmaak_f32 v19, v18, v19, 0x3de703be
	;; [unrolled: 1-line block ×4, first 2 shown]
	v_fma_f32 v18, |v13|, v18, |v13|
; %bb.65:                               ;   in Loop: Header=BB449_9 Depth=1
	s_or_b64 exec, exec, s[14:15]
	v_bfi_b32 v9, s38, v12, v9
	v_cvt_f32_f16_sdwa v12, v2 dst_sel:DWORD dst_unused:UNUSED_PAD src0_sel:WORD_1
	v_cvt_f32_f16_e32 v2, v2
	v_mul_f32_e32 v8, 0.5, v8
	v_add_f32_e32 v9, 1.0, v9
	v_mul_f32_e32 v8, v8, v9
	s_waitcnt vmcnt(0)
	v_add_f32_e32 v4, v4, v2
	v_mul_f32_e32 v2, 0.5, v10
	v_cvt_f32_f16_e32 v10, v11
	v_bfi_b32 v9, s38, v18, v13
	v_add_f32_e32 v5, v5, v12
	v_add_f32_e32 v9, 1.0, v9
	v_mul_f32_e32 v9, v2, v9
	;;#ASMSTART
	v_pk_mul_f32 v[4:5], v[8:9], v[4:5]
	;;#ASMEND
	v_add_f32_e32 v8, v14, v10
	v_mul_f32_e32 v2, 0x3f3504f3, v8
	v_cmp_nlt_f32_e64 s[14:15], |v2|, 1.0
                                        ; implicit-def: $vgpr12
	s_and_saveexec_b64 s[40:41], s[14:15]
	s_xor_b64 s[14:15], exec, s[40:41]
	s_cbranch_execz .LBB449_67
; %bb.66:                               ;   in Loop: Header=BB449_9 Depth=1
	v_fma_f32 v9, |v2|, s28, v51
	v_fma_f32 v9, |v2|, v9, s29
	;; [unrolled: 1-line block ×6, first 2 shown]
	v_fma_f32 v9, |v2|, v9, |v2|
	v_mul_f32_e32 v10, 0xbfb8aa3b, v9
	v_fma_f32 v12, v9, s35, -v10
	v_rndne_f32_e32 v13, v10
	v_fmac_f32_e32 v12, 0xb2a5705f, v9
	v_sub_f32_e32 v10, v10, v13
	v_add_f32_e32 v10, v10, v12
	v_cvt_i32_f32_e32 v12, v13
	v_exp_f32_e32 v10, v10
	v_cmp_nlt_f32_e32 vcc, s36, v9
	v_ldexp_f32 v10, v10, v12
	s_nop 0
	v_cndmask_b32_e32 v10, 0, v10, vcc
	v_cmp_ngt_f32_e32 vcc, s37, v9
	s_nop 1
	v_cndmask_b32_e32 v9, v52, v10, vcc
	v_sub_f32_e32 v12, 1.0, v9
.LBB449_67:                             ;   in Loop: Header=BB449_9 Depth=1
	s_andn2_saveexec_b64 s[14:15], s[14:15]
; %bb.68:                               ;   in Loop: Header=BB449_9 Depth=1
	v_mul_f32_e32 v9, v2, v2
	v_fmamk_f32 v10, v9, 0xba1345e1, v50
	v_fmaak_f32 v10, v9, v10, 0xbcdac9b8
	v_fmaak_f32 v10, v9, v10, 0x3de703be
	;; [unrolled: 1-line block ×4, first 2 shown]
	v_fma_f32 v12, |v2|, v9, |v2|
; %bb.69:                               ;   in Loop: Header=BB449_9 Depth=1
	s_or_b64 exec, exec, s[14:15]
	v_cvt_f32_f16_sdwa v9, v11 dst_sel:DWORD dst_unused:UNUSED_PAD src0_sel:WORD_1
                                        ; implicit-def: $vgpr11
	v_add_f32_e32 v9, v15, v9
	v_mul_f32_e32 v10, 0x3f3504f3, v9
	v_cmp_nlt_f32_e64 s[14:15], |v10|, 1.0
	s_and_saveexec_b64 s[40:41], s[14:15]
	s_xor_b64 s[14:15], exec, s[40:41]
	s_cbranch_execz .LBB449_71
; %bb.70:                               ;   in Loop: Header=BB449_9 Depth=1
	v_fma_f32 v11, |v10|, s28, v51
	v_fma_f32 v11, |v10|, v11, s29
	;; [unrolled: 1-line block ×6, first 2 shown]
	v_fma_f32 v11, |v10|, v11, |v10|
	v_mul_f32_e32 v13, 0xbfb8aa3b, v11
	v_fma_f32 v14, v11, s35, -v13
	v_rndne_f32_e32 v15, v13
	v_fmac_f32_e32 v14, 0xb2a5705f, v11
	v_sub_f32_e32 v13, v13, v15
	v_add_f32_e32 v13, v13, v14
	v_cvt_i32_f32_e32 v14, v15
	v_exp_f32_e32 v13, v13
	v_cmp_nlt_f32_e32 vcc, s36, v11
	v_ldexp_f32 v13, v13, v14
	s_nop 0
	v_cndmask_b32_e32 v13, 0, v13, vcc
	v_cmp_ngt_f32_e32 vcc, s37, v11
	s_nop 1
	v_cndmask_b32_e32 v11, v52, v13, vcc
	v_sub_f32_e32 v11, 1.0, v11
.LBB449_71:                             ;   in Loop: Header=BB449_9 Depth=1
	s_andn2_saveexec_b64 s[14:15], s[14:15]
	s_cbranch_execz .LBB449_8
; %bb.72:                               ;   in Loop: Header=BB449_9 Depth=1
	v_mul_f32_e32 v11, v10, v10
	v_fmamk_f32 v13, v11, 0xba1345e1, v50
	v_fmaak_f32 v13, v11, v13, 0xbcdac9b8
	v_fmaak_f32 v13, v11, v13, 0x3de703be
	;; [unrolled: 1-line block ×4, first 2 shown]
	v_fma_f32 v11, |v10|, v11, |v10|
	s_branch .LBB449_8
.LBB449_73:
	s_endpgm
	.section	.rodata,"a",@progbits
	.p2align	6, 0x0
	.amdhsa_kernel _ZN5aiter23act_and_mul_bias_kernelIDF16_DF16_ifTnPFfRKT2_EXadL_ZNS_11gelu_kernelIfEEfRKT_EELi16EEEvPT0_PS8_PKT1_PS2_il
		.amdhsa_group_segment_fixed_size 0
		.amdhsa_private_segment_fixed_size 0
		.amdhsa_kernarg_size 304
		.amdhsa_user_sgpr_count 2
		.amdhsa_user_sgpr_dispatch_ptr 0
		.amdhsa_user_sgpr_queue_ptr 0
		.amdhsa_user_sgpr_kernarg_segment_ptr 1
		.amdhsa_user_sgpr_dispatch_id 0
		.amdhsa_user_sgpr_kernarg_preload_length 0
		.amdhsa_user_sgpr_kernarg_preload_offset 0
		.amdhsa_user_sgpr_private_segment_size 0
		.amdhsa_uses_dynamic_stack 0
		.amdhsa_enable_private_segment 0
		.amdhsa_system_sgpr_workgroup_id_x 1
		.amdhsa_system_sgpr_workgroup_id_y 0
		.amdhsa_system_sgpr_workgroup_id_z 0
		.amdhsa_system_sgpr_workgroup_info 0
		.amdhsa_system_vgpr_workitem_id 0
		.amdhsa_next_free_vgpr 60
		.amdhsa_next_free_sgpr 42
		.amdhsa_accum_offset 60
		.amdhsa_reserve_vcc 1
		.amdhsa_float_round_mode_32 0
		.amdhsa_float_round_mode_16_64 0
		.amdhsa_float_denorm_mode_32 3
		.amdhsa_float_denorm_mode_16_64 3
		.amdhsa_dx10_clamp 1
		.amdhsa_ieee_mode 1
		.amdhsa_fp16_overflow 0
		.amdhsa_tg_split 0
		.amdhsa_exception_fp_ieee_invalid_op 0
		.amdhsa_exception_fp_denorm_src 0
		.amdhsa_exception_fp_ieee_div_zero 0
		.amdhsa_exception_fp_ieee_overflow 0
		.amdhsa_exception_fp_ieee_underflow 0
		.amdhsa_exception_fp_ieee_inexact 0
		.amdhsa_exception_int_div_zero 0
	.end_amdhsa_kernel
	.section	.text._ZN5aiter23act_and_mul_bias_kernelIDF16_DF16_ifTnPFfRKT2_EXadL_ZNS_11gelu_kernelIfEEfRKT_EELi16EEEvPT0_PS8_PKT1_PS2_il,"axG",@progbits,_ZN5aiter23act_and_mul_bias_kernelIDF16_DF16_ifTnPFfRKT2_EXadL_ZNS_11gelu_kernelIfEEfRKT_EELi16EEEvPT0_PS8_PKT1_PS2_il,comdat
.Lfunc_end449:
	.size	_ZN5aiter23act_and_mul_bias_kernelIDF16_DF16_ifTnPFfRKT2_EXadL_ZNS_11gelu_kernelIfEEfRKT_EELi16EEEvPT0_PS8_PKT1_PS2_il, .Lfunc_end449-_ZN5aiter23act_and_mul_bias_kernelIDF16_DF16_ifTnPFfRKT2_EXadL_ZNS_11gelu_kernelIfEEfRKT_EELi16EEEvPT0_PS8_PKT1_PS2_il
                                        ; -- End function
	.section	.AMDGPU.csdata,"",@progbits
; Kernel info:
; codeLenInByte = 5236
; NumSgprs: 48
; NumVgprs: 60
; NumAgprs: 0
; TotalNumVgprs: 60
; ScratchSize: 0
; MemoryBound: 0
; FloatMode: 240
; IeeeMode: 1
; LDSByteSize: 0 bytes/workgroup (compile time only)
; SGPRBlocks: 5
; VGPRBlocks: 7
; NumSGPRsForWavesPerEU: 48
; NumVGPRsForWavesPerEU: 60
; AccumOffset: 60
; Occupancy: 8
; WaveLimiterHint : 0
; COMPUTE_PGM_RSRC2:SCRATCH_EN: 0
; COMPUTE_PGM_RSRC2:USER_SGPR: 2
; COMPUTE_PGM_RSRC2:TRAP_HANDLER: 0
; COMPUTE_PGM_RSRC2:TGID_X_EN: 1
; COMPUTE_PGM_RSRC2:TGID_Y_EN: 0
; COMPUTE_PGM_RSRC2:TGID_Z_EN: 0
; COMPUTE_PGM_RSRC2:TIDIG_COMP_CNT: 0
; COMPUTE_PGM_RSRC3_GFX90A:ACCUM_OFFSET: 14
; COMPUTE_PGM_RSRC3_GFX90A:TG_SPLIT: 0
	.section	.text._ZN5aiter23act_and_mul_bias_kernelIDF16_DF16_ifTnPFfRKT2_EXadL_ZNS_11gelu_kernelIfEEfRKT_EELi8EEEvPT0_PS8_PKT1_PS2_il,"axG",@progbits,_ZN5aiter23act_and_mul_bias_kernelIDF16_DF16_ifTnPFfRKT2_EXadL_ZNS_11gelu_kernelIfEEfRKT_EELi8EEEvPT0_PS8_PKT1_PS2_il,comdat
	.protected	_ZN5aiter23act_and_mul_bias_kernelIDF16_DF16_ifTnPFfRKT2_EXadL_ZNS_11gelu_kernelIfEEfRKT_EELi8EEEvPT0_PS8_PKT1_PS2_il ; -- Begin function _ZN5aiter23act_and_mul_bias_kernelIDF16_DF16_ifTnPFfRKT2_EXadL_ZNS_11gelu_kernelIfEEfRKT_EELi8EEEvPT0_PS8_PKT1_PS2_il
	.globl	_ZN5aiter23act_and_mul_bias_kernelIDF16_DF16_ifTnPFfRKT2_EXadL_ZNS_11gelu_kernelIfEEfRKT_EELi8EEEvPT0_PS8_PKT1_PS2_il
	.p2align	8
	.type	_ZN5aiter23act_and_mul_bias_kernelIDF16_DF16_ifTnPFfRKT2_EXadL_ZNS_11gelu_kernelIfEEfRKT_EELi8EEEvPT0_PS8_PKT1_PS2_il,@function
_ZN5aiter23act_and_mul_bias_kernelIDF16_DF16_ifTnPFfRKT2_EXadL_ZNS_11gelu_kernelIfEEfRKT_EELi8EEEvPT0_PS8_PKT1_PS2_il: ; @_ZN5aiter23act_and_mul_bias_kernelIDF16_DF16_ifTnPFfRKT2_EXadL_ZNS_11gelu_kernelIfEEfRKT_EELi8EEEvPT0_PS8_PKT1_PS2_il
; %bb.0:
	s_load_dword s24, s[0:1], 0x20
	s_load_dwordx2 s[4:5], s[0:1], 0x10
	s_load_dwordx2 s[12:13], s[0:1], 0x28
	s_mov_b32 s3, 0
	s_lshl_b64 s[6:7], s[2:3], 2
	s_waitcnt lgkmcnt(0)
	s_ashr_i32 s25, s24, 31
	s_add_u32 s4, s4, s6
	s_addc_u32 s5, s5, s7
	s_add_i32 s3, s24, 1
	s_load_dword s8, s[4:5], 0x0
	s_load_dwordx2 s[14:15], s[0:1], 0x0
	s_lshr_b32 s4, s3, 31
	s_add_i32 s3, s3, s4
	s_lshl_b32 s3, s3, 1
	s_and_b32 s6, s3, -4
	s_mul_hi_u32 s3, s24, s2
	s_mul_i32 s4, s25, s2
	s_add_i32 s5, s3, s4
	s_mul_i32 s4, s24, s2
	s_waitcnt lgkmcnt(0)
	s_ashr_i32 s9, s8, 31
	s_lshl_b64 s[4:5], s[4:5], 1
	v_mov_b64_e32 v[2:3], s[12:13]
	v_cmp_gt_i64_e64 s[16:17], s[8:9], -1
	s_add_u32 s4, s14, s4
	v_cmp_lt_i64_e32 vcc, s[8:9], v[2:3]
	s_addc_u32 s3, s15, s5
	s_and_b64 s[12:13], s[16:17], vcc
	s_mov_b64 s[10:11], -1
	s_and_b32 s5, s3, 0xffff
	s_and_b64 vcc, exec, s[12:13]
	v_lshlrev_b32_e32 v24, 3, v0
	s_cbranch_vccnz .LBB450_5
; %bb.1:
	v_cmp_gt_i32_e32 vcc, s24, v24
	s_and_saveexec_b64 s[10:11], vcc
	s_cbranch_execz .LBB450_4
; %bb.2:
	s_load_dword s3, s[0:1], 0x3c
	v_mov_b32_e32 v25, 0
	s_mov_b32 s13, 0
	v_lshlrev_b32_e32 v6, 4, v0
	s_mov_b64 s[14:15], 0
	s_waitcnt lgkmcnt(0)
	s_and_b32 s3, s3, 0xffff
	s_lshl_b32 s12, s3, 3
	s_lshl_b32 s3, s3, 4
	s_mov_b32 s7, 0x20000
	v_mov_b32_e32 v0, v25
	v_mov_b32_e32 v1, v25
	;; [unrolled: 1-line block ×4, first 2 shown]
	v_mov_b64_e32 v[4:5], v[24:25]
.LBB450_3:                              ; =>This Inner Loop Header: Depth=1
	v_lshl_add_u64 v[4:5], s[12:13], 0, v[4:5]
	v_cmp_le_i64_e32 vcc, s[24:25], v[4:5]
	buffer_store_dwordx4 v[0:3], v6, s[4:7], 0 offen
	s_or_b64 s[14:15], vcc, s[14:15]
	v_add_u32_e32 v6, s3, v6
	s_andn2_b64 exec, exec, s[14:15]
	s_cbranch_execnz .LBB450_3
.LBB450_4:
	s_or_b64 exec, exec, s[10:11]
	s_mov_b64 s[10:11], 0
.LBB450_5:
	s_andn2_b64 vcc, exec, s[10:11]
	s_cbranch_vccnz .LBB450_41
; %bb.6:
	v_cmp_gt_i32_e32 vcc, s24, v24
	s_and_saveexec_b64 s[10:11], vcc
	s_cbranch_execz .LBB450_41
; %bb.7:
	s_load_dwordx2 s[10:11], s[0:1], 0x18
	s_load_dwordx2 s[14:15], s[0:1], 0x8
	s_mul_hi_i32 s9, s24, s8
	s_mul_i32 s8, s24, s8
	s_lshl_b64 s[8:9], s[8:9], 3
	s_waitcnt lgkmcnt(0)
	s_add_u32 s8, s10, s8
	s_addc_u32 s3, s11, s9
	s_lshl_b64 s[10:11], s[24:25], 2
	s_add_u32 s12, s8, s10
	s_addc_u32 s13, s3, s11
	s_and_b32 s9, s3, 0xffff
	s_mul_i32 s3, s2, s25
	s_mul_hi_u32 s16, s2, s24
	s_add_i32 s3, s16, s3
	s_mul_i32 s2, s2, s24
	s_lshl_b32 s10, s24, 2
	s_and_b32 s13, s13, 0xffff
	s_lshl_b64 s[2:3], s[2:3], 2
	s_add_u32 s16, s14, s2
	s_addc_u32 s14, s15, s3
	s_lshl_b64 s[2:3], s[24:25], 1
	s_add_u32 s20, s16, s2
	s_addc_u32 s2, s14, s3
	s_and_b32 s17, s14, 0xffff
	s_and_b32 s21, s2, 0xffff
	s_mov_b32 s7, 0x20000
	s_add_u32 s0, s0, 48
	s_mov_b32 s11, s7
	s_mov_b64 s[22:23], s[6:7]
	v_mov_b32_e32 v25, 0
	s_addc_u32 s1, s1, 0
	s_mov_b64 s[2:3], 0
	s_mov_b32 s18, s6
	s_mov_b32 s19, s7
	;; [unrolled: 1-line block ×12, first 2 shown]
	v_mov_b32_e32 v26, 0x3ba10414
	s_brev_b32 s38, -2
	v_mov_b32_e32 v27, 0xb9c68948
	v_mov_b32_e32 v28, 0x7f800000
                                        ; implicit-def: $vgpr0
                                        ; implicit-def: $vgpr0
	;; [unrolled: 1-line block ×4, first 2 shown]
	s_branch .LBB450_9
.LBB450_8:                              ;   in Loop: Header=BB450_9 Depth=1
	s_or_b64 exec, exec, s[14:15]
	v_cvt_f32_f16_sdwa v13, v3 dst_sel:DWORD dst_unused:UNUSED_PAD src0_sel:WORD_1
	v_cvt_f32_f16_e32 v3, v3
	v_bfi_b32 v2, s38, v9, v2
	v_mul_f32_e32 v8, 0.5, v8
	v_add_f32_e32 v2, 1.0, v2
	v_add_f32_e32 v6, v6, v3
	v_mul_f32_e32 v3, 0.5, v10
	v_bfi_b32 v10, s38, v12, v11
	v_add_f32_e32 v10, 1.0, v10
	v_mul_f32_e32 v2, v8, v2
	v_mul_f32_e32 v3, v3, v10
	v_add_f32_e32 v7, v7, v13
	;;#ASMSTART
	v_pk_mul_f32 v[2:3], v[2:3], v[6:7]
	;;#ASMEND
	s_load_dword s14, s[0:1], 0xc
	v_cvt_f16_f32_e32 v8, v16
	v_cvt_f16_f32_e32 v9, v17
	;; [unrolled: 1-line block ×8, first 2 shown]
	s_waitcnt lgkmcnt(0)
	s_and_b32 s14, s14, 0xffff
	s_lshl_b32 s26, s14, 3
	v_lshl_add_u64 v[24:25], s[26:27], 0, v[24:25]
	v_cmp_le_i64_e32 vcc, s[24:25], v[24:25]
	v_pack_b32_f16 v3, v2, v3
	v_pack_b32_f16 v2, v4, v5
	;; [unrolled: 1-line block ×4, first 2 shown]
	s_or_b64 s[2:3], vcc, s[2:3]
	buffer_store_dwordx4 v[0:3], v29, s[4:7], 0 offen
	s_andn2_b64 exec, exec, s[2:3]
	s_cbranch_execz .LBB450_41
.LBB450_9:                              ; =>This Inner Loop Header: Depth=1
	v_lshlrev_b32_e32 v29, 1, v24
	buffer_load_dwordx4 v[8:11], v29, s[16:19], 0 offen
	buffer_load_dwordx4 v[0:3], v29, s[20:23], 0 offen
	v_lshlrev_b32_e32 v30, 2, v24
	buffer_load_dwordx4 v[20:23], v30, s[8:11], 0 offen
	buffer_load_dwordx4 v[12:15], v30, s[8:11], 16 offen
	s_mov_b32 s14, s10
	s_mov_b32 s15, s11
	buffer_load_dwordx4 v[16:19], v30, s[12:15], 0 offen
	buffer_load_dwordx4 v[4:7], v30, s[12:15], 16 offen
                                        ; implicit-def: $vgpr31
	s_waitcnt vmcnt(5)
	v_cvt_f32_f16_e32 v30, v8
	s_waitcnt vmcnt(3)
	v_add_f32_e32 v20, v20, v30
	v_mul_f32_e32 v30, 0x3f3504f3, v20
	v_cmp_nlt_f32_e64 s[14:15], |v30|, 1.0
	s_and_saveexec_b64 s[40:41], s[14:15]
	s_xor_b64 s[14:15], exec, s[40:41]
	s_cbranch_execz .LBB450_11
; %bb.10:                               ;   in Loop: Header=BB450_9 Depth=1
	v_fma_f32 v31, |v30|, s28, v27
	v_fma_f32 v31, |v30|, v31, s29
	;; [unrolled: 1-line block ×6, first 2 shown]
	v_fma_f32 v31, |v30|, v31, |v30|
	v_mul_f32_e32 v32, 0xbfb8aa3b, v31
	v_fma_f32 v33, v31, s35, -v32
	v_rndne_f32_e32 v34, v32
	v_fmac_f32_e32 v33, 0xb2a5705f, v31
	v_sub_f32_e32 v32, v32, v34
	v_add_f32_e32 v32, v32, v33
	v_cvt_i32_f32_e32 v33, v34
	v_exp_f32_e32 v32, v32
	v_cmp_nlt_f32_e32 vcc, s36, v31
	v_ldexp_f32 v32, v32, v33
	s_nop 0
	v_cndmask_b32_e32 v32, 0, v32, vcc
	v_cmp_ngt_f32_e32 vcc, s37, v31
	s_nop 1
	v_cndmask_b32_e32 v31, v28, v32, vcc
	v_sub_f32_e32 v31, 1.0, v31
.LBB450_11:                             ;   in Loop: Header=BB450_9 Depth=1
	s_andn2_saveexec_b64 s[14:15], s[14:15]
; %bb.12:                               ;   in Loop: Header=BB450_9 Depth=1
	v_mul_f32_e32 v31, v30, v30
	v_fmamk_f32 v32, v31, 0xba1345e1, v26
	v_fmaak_f32 v32, v31, v32, 0xbcdac9b8
	v_fmaak_f32 v32, v31, v32, 0x3de703be
	;; [unrolled: 1-line block ×4, first 2 shown]
	v_fma_f32 v31, |v30|, v31, |v30|
; %bb.13:                               ;   in Loop: Header=BB450_9 Depth=1
	s_or_b64 exec, exec, s[14:15]
	v_cvt_f32_f16_sdwa v8, v8 dst_sel:DWORD dst_unused:UNUSED_PAD src0_sel:WORD_1
                                        ; implicit-def: $vgpr32
	v_add_f32_e32 v8, v21, v8
	v_mul_f32_e32 v21, 0x3f3504f3, v8
	v_cmp_nlt_f32_e64 s[14:15], |v21|, 1.0
	s_and_saveexec_b64 s[40:41], s[14:15]
	s_xor_b64 s[14:15], exec, s[40:41]
	s_cbranch_execz .LBB450_15
; %bb.14:                               ;   in Loop: Header=BB450_9 Depth=1
	v_fma_f32 v32, |v21|, s28, v27
	v_fma_f32 v32, |v21|, v32, s29
	;; [unrolled: 1-line block ×6, first 2 shown]
	v_fma_f32 v32, |v21|, v32, |v21|
	v_mul_f32_e32 v33, 0xbfb8aa3b, v32
	v_fma_f32 v34, v32, s35, -v33
	v_rndne_f32_e32 v35, v33
	v_fmac_f32_e32 v34, 0xb2a5705f, v32
	v_sub_f32_e32 v33, v33, v35
	v_add_f32_e32 v33, v33, v34
	v_cvt_i32_f32_e32 v34, v35
	v_exp_f32_e32 v33, v33
	v_cmp_nlt_f32_e32 vcc, s36, v32
	v_ldexp_f32 v33, v33, v34
	s_nop 0
	v_cndmask_b32_e32 v33, 0, v33, vcc
	v_cmp_ngt_f32_e32 vcc, s37, v32
	s_nop 1
	v_cndmask_b32_e32 v32, v28, v33, vcc
	v_sub_f32_e32 v32, 1.0, v32
.LBB450_15:                             ;   in Loop: Header=BB450_9 Depth=1
	s_andn2_saveexec_b64 s[14:15], s[14:15]
; %bb.16:                               ;   in Loop: Header=BB450_9 Depth=1
	v_mul_f32_e32 v32, v21, v21
	v_fmamk_f32 v33, v32, 0xba1345e1, v26
	v_fmaak_f32 v33, v32, v33, 0xbcdac9b8
	v_fmaak_f32 v33, v32, v33, 0x3de703be
	;; [unrolled: 1-line block ×4, first 2 shown]
	v_fma_f32 v32, |v21|, v32, |v21|
; %bb.17:                               ;   in Loop: Header=BB450_9 Depth=1
	s_or_b64 exec, exec, s[14:15]
	v_bfi_b32 v30, s38, v31, v30
	v_cvt_f32_f16_sdwa v31, v0 dst_sel:DWORD dst_unused:UNUSED_PAD src0_sel:WORD_1
	v_cvt_f32_f16_e32 v0, v0
	v_mul_f32_e32 v20, 0.5, v20
	v_add_f32_e32 v30, 1.0, v30
	v_mul_f32_e32 v20, v20, v30
	v_cvt_f32_f16_e32 v30, v9
	s_waitcnt vmcnt(1)
	v_add_f32_e32 v16, v16, v0
	v_mul_f32_e32 v0, 0.5, v8
	v_bfi_b32 v8, s38, v32, v21
	v_add_f32_e32 v8, 1.0, v8
	v_mul_f32_e32 v21, v0, v8
	v_add_f32_e32 v0, v22, v30
	v_mul_f32_e32 v8, 0x3f3504f3, v0
	v_add_f32_e32 v17, v17, v31
	v_cmp_nlt_f32_e64 s[14:15], |v8|, 1.0
	;;#ASMSTART
	v_pk_mul_f32 v[16:17], v[20:21], v[16:17]
	;;#ASMEND
                                        ; implicit-def: $vgpr20
	s_and_saveexec_b64 s[40:41], s[14:15]
	s_xor_b64 s[14:15], exec, s[40:41]
	s_cbranch_execz .LBB450_19
; %bb.18:                               ;   in Loop: Header=BB450_9 Depth=1
	v_fma_f32 v20, |v8|, s28, v27
	v_fma_f32 v20, |v8|, v20, s29
	;; [unrolled: 1-line block ×6, first 2 shown]
	v_fma_f32 v20, |v8|, v20, |v8|
	v_mul_f32_e32 v21, 0xbfb8aa3b, v20
	v_fma_f32 v22, v20, s35, -v21
	v_rndne_f32_e32 v30, v21
	v_fmac_f32_e32 v22, 0xb2a5705f, v20
	v_sub_f32_e32 v21, v21, v30
	v_add_f32_e32 v21, v21, v22
	v_cvt_i32_f32_e32 v22, v30
	v_exp_f32_e32 v21, v21
	v_cmp_nlt_f32_e32 vcc, s36, v20
	v_ldexp_f32 v21, v21, v22
	s_nop 0
	v_cndmask_b32_e32 v21, 0, v21, vcc
	v_cmp_ngt_f32_e32 vcc, s37, v20
	s_nop 1
	v_cndmask_b32_e32 v20, v28, v21, vcc
	v_sub_f32_e32 v20, 1.0, v20
.LBB450_19:                             ;   in Loop: Header=BB450_9 Depth=1
	s_andn2_saveexec_b64 s[14:15], s[14:15]
; %bb.20:                               ;   in Loop: Header=BB450_9 Depth=1
	v_mul_f32_e32 v20, v8, v8
	v_fmamk_f32 v21, v20, 0xba1345e1, v26
	v_fmaak_f32 v21, v20, v21, 0xbcdac9b8
	v_fmaak_f32 v21, v20, v21, 0x3de703be
	v_fmaak_f32 v21, v20, v21, 0xbec09330
	v_fmaak_f32 v20, v20, v21, 0x3e0375d0
	v_fma_f32 v20, |v8|, v20, |v8|
; %bb.21:                               ;   in Loop: Header=BB450_9 Depth=1
	s_or_b64 exec, exec, s[14:15]
	v_cvt_f32_f16_sdwa v9, v9 dst_sel:DWORD dst_unused:UNUSED_PAD src0_sel:WORD_1
                                        ; implicit-def: $vgpr22
	v_add_f32_e32 v9, v23, v9
	v_mul_f32_e32 v21, 0x3f3504f3, v9
	v_cmp_nlt_f32_e64 s[14:15], |v21|, 1.0
	s_and_saveexec_b64 s[40:41], s[14:15]
	s_xor_b64 s[14:15], exec, s[40:41]
	s_cbranch_execz .LBB450_23
; %bb.22:                               ;   in Loop: Header=BB450_9 Depth=1
	v_fma_f32 v22, |v21|, s28, v27
	v_fma_f32 v22, |v21|, v22, s29
	;; [unrolled: 1-line block ×6, first 2 shown]
	v_fma_f32 v22, |v21|, v22, |v21|
	v_mul_f32_e32 v23, 0xbfb8aa3b, v22
	v_fma_f32 v30, v22, s35, -v23
	v_rndne_f32_e32 v31, v23
	v_fmac_f32_e32 v30, 0xb2a5705f, v22
	v_sub_f32_e32 v23, v23, v31
	v_add_f32_e32 v23, v23, v30
	v_cvt_i32_f32_e32 v30, v31
	v_exp_f32_e32 v23, v23
	v_cmp_nlt_f32_e32 vcc, s36, v22
	v_ldexp_f32 v23, v23, v30
	s_nop 0
	v_cndmask_b32_e32 v23, 0, v23, vcc
	v_cmp_ngt_f32_e32 vcc, s37, v22
	s_nop 1
	v_cndmask_b32_e32 v22, v28, v23, vcc
	v_sub_f32_e32 v22, 1.0, v22
.LBB450_23:                             ;   in Loop: Header=BB450_9 Depth=1
	s_andn2_saveexec_b64 s[14:15], s[14:15]
; %bb.24:                               ;   in Loop: Header=BB450_9 Depth=1
	v_mul_f32_e32 v22, v21, v21
	v_fmamk_f32 v23, v22, 0xba1345e1, v26
	v_fmaak_f32 v23, v22, v23, 0xbcdac9b8
	v_fmaak_f32 v23, v22, v23, 0x3de703be
	;; [unrolled: 1-line block ×4, first 2 shown]
	v_fma_f32 v22, |v21|, v22, |v21|
; %bb.25:                               ;   in Loop: Header=BB450_9 Depth=1
	s_or_b64 exec, exec, s[14:15]
	v_bfi_b32 v8, s38, v20, v8
	v_cvt_f32_f16_sdwa v20, v1 dst_sel:DWORD dst_unused:UNUSED_PAD src0_sel:WORD_1
	v_cvt_f32_f16_e32 v1, v1
	v_mul_f32_e32 v0, 0.5, v0
	v_add_f32_e32 v8, 1.0, v8
	v_mul_f32_e32 v0, v0, v8
	v_add_f32_e32 v18, v18, v1
	v_mul_f32_e32 v1, 0.5, v9
	v_cvt_f32_f16_e32 v9, v10
	v_bfi_b32 v8, s38, v22, v21
	v_add_f32_e32 v8, 1.0, v8
	v_mul_f32_e32 v1, v1, v8
	v_add_f32_e32 v8, v12, v9
	v_mul_f32_e32 v9, 0x3f3504f3, v8
	v_cmp_nlt_f32_e64 s[14:15], |v9|, 1.0
	v_add_f32_e32 v19, v19, v20
	;;#ASMSTART
	v_pk_mul_f32 v[0:1], v[0:1], v[18:19]
	;;#ASMEND
                                        ; implicit-def: $vgpr12
	s_and_saveexec_b64 s[40:41], s[14:15]
	s_xor_b64 s[14:15], exec, s[40:41]
	s_cbranch_execz .LBB450_27
; %bb.26:                               ;   in Loop: Header=BB450_9 Depth=1
	v_fma_f32 v12, |v9|, s28, v27
	v_fma_f32 v12, |v9|, v12, s29
	;; [unrolled: 1-line block ×6, first 2 shown]
	v_fma_f32 v12, |v9|, v12, |v9|
	v_mul_f32_e32 v18, 0xbfb8aa3b, v12
	v_fma_f32 v19, v12, s35, -v18
	v_rndne_f32_e32 v20, v18
	v_fmac_f32_e32 v19, 0xb2a5705f, v12
	v_sub_f32_e32 v18, v18, v20
	v_add_f32_e32 v18, v18, v19
	v_cvt_i32_f32_e32 v19, v20
	v_exp_f32_e32 v18, v18
	v_cmp_nlt_f32_e32 vcc, s36, v12
	v_ldexp_f32 v18, v18, v19
	s_nop 0
	v_cndmask_b32_e32 v18, 0, v18, vcc
	v_cmp_ngt_f32_e32 vcc, s37, v12
	s_nop 1
	v_cndmask_b32_e32 v12, v28, v18, vcc
	v_sub_f32_e32 v12, 1.0, v12
.LBB450_27:                             ;   in Loop: Header=BB450_9 Depth=1
	s_andn2_saveexec_b64 s[14:15], s[14:15]
; %bb.28:                               ;   in Loop: Header=BB450_9 Depth=1
	v_mul_f32_e32 v12, v9, v9
	v_fmamk_f32 v18, v12, 0xba1345e1, v26
	v_fmaak_f32 v18, v12, v18, 0xbcdac9b8
	v_fmaak_f32 v18, v12, v18, 0x3de703be
	;; [unrolled: 1-line block ×4, first 2 shown]
	v_fma_f32 v12, |v9|, v12, |v9|
; %bb.29:                               ;   in Loop: Header=BB450_9 Depth=1
	s_or_b64 exec, exec, s[14:15]
	v_cvt_f32_f16_sdwa v10, v10 dst_sel:DWORD dst_unused:UNUSED_PAD src0_sel:WORD_1
                                        ; implicit-def: $vgpr18
	v_add_f32_e32 v10, v13, v10
	v_mul_f32_e32 v13, 0x3f3504f3, v10
	v_cmp_nlt_f32_e64 s[14:15], |v13|, 1.0
	s_and_saveexec_b64 s[40:41], s[14:15]
	s_xor_b64 s[14:15], exec, s[40:41]
	s_cbranch_execz .LBB450_31
; %bb.30:                               ;   in Loop: Header=BB450_9 Depth=1
	v_fma_f32 v18, |v13|, s28, v27
	v_fma_f32 v18, |v13|, v18, s29
	v_fma_f32 v18, |v13|, v18, s30
	v_fma_f32 v18, |v13|, v18, s31
	v_fma_f32 v18, |v13|, v18, s33
	v_fma_f32 v18, |v13|, v18, s34
	v_fma_f32 v18, |v13|, v18, |v13|
	v_mul_f32_e32 v19, 0xbfb8aa3b, v18
	v_fma_f32 v20, v18, s35, -v19
	v_rndne_f32_e32 v21, v19
	v_fmac_f32_e32 v20, 0xb2a5705f, v18
	v_sub_f32_e32 v19, v19, v21
	v_add_f32_e32 v19, v19, v20
	v_cvt_i32_f32_e32 v20, v21
	v_exp_f32_e32 v19, v19
	v_cmp_nlt_f32_e32 vcc, s36, v18
	v_ldexp_f32 v19, v19, v20
	s_nop 0
	v_cndmask_b32_e32 v19, 0, v19, vcc
	v_cmp_ngt_f32_e32 vcc, s37, v18
	s_nop 1
	v_cndmask_b32_e32 v18, v28, v19, vcc
	v_sub_f32_e32 v18, 1.0, v18
.LBB450_31:                             ;   in Loop: Header=BB450_9 Depth=1
	s_andn2_saveexec_b64 s[14:15], s[14:15]
; %bb.32:                               ;   in Loop: Header=BB450_9 Depth=1
	v_mul_f32_e32 v18, v13, v13
	v_fmamk_f32 v19, v18, 0xba1345e1, v26
	v_fmaak_f32 v19, v18, v19, 0xbcdac9b8
	v_fmaak_f32 v19, v18, v19, 0x3de703be
	;; [unrolled: 1-line block ×4, first 2 shown]
	v_fma_f32 v18, |v13|, v18, |v13|
; %bb.33:                               ;   in Loop: Header=BB450_9 Depth=1
	s_or_b64 exec, exec, s[14:15]
	v_bfi_b32 v9, s38, v12, v9
	v_cvt_f32_f16_sdwa v12, v2 dst_sel:DWORD dst_unused:UNUSED_PAD src0_sel:WORD_1
	v_cvt_f32_f16_e32 v2, v2
	v_mul_f32_e32 v8, 0.5, v8
	v_add_f32_e32 v9, 1.0, v9
	v_mul_f32_e32 v8, v8, v9
	s_waitcnt vmcnt(0)
	v_add_f32_e32 v4, v4, v2
	v_mul_f32_e32 v2, 0.5, v10
	v_cvt_f32_f16_e32 v10, v11
	v_bfi_b32 v9, s38, v18, v13
	v_add_f32_e32 v5, v5, v12
	v_add_f32_e32 v9, 1.0, v9
	v_mul_f32_e32 v9, v2, v9
	;;#ASMSTART
	v_pk_mul_f32 v[4:5], v[8:9], v[4:5]
	;;#ASMEND
	v_add_f32_e32 v8, v14, v10
	v_mul_f32_e32 v2, 0x3f3504f3, v8
	v_cmp_nlt_f32_e64 s[14:15], |v2|, 1.0
                                        ; implicit-def: $vgpr9
	s_and_saveexec_b64 s[40:41], s[14:15]
	s_xor_b64 s[14:15], exec, s[40:41]
	s_cbranch_execz .LBB450_35
; %bb.34:                               ;   in Loop: Header=BB450_9 Depth=1
	v_fma_f32 v9, |v2|, s28, v27
	v_fma_f32 v9, |v2|, v9, s29
	;; [unrolled: 1-line block ×6, first 2 shown]
	v_fma_f32 v9, |v2|, v9, |v2|
	v_mul_f32_e32 v10, 0xbfb8aa3b, v9
	v_fma_f32 v12, v9, s35, -v10
	v_rndne_f32_e32 v13, v10
	v_fmac_f32_e32 v12, 0xb2a5705f, v9
	v_sub_f32_e32 v10, v10, v13
	v_add_f32_e32 v10, v10, v12
	v_cvt_i32_f32_e32 v12, v13
	v_exp_f32_e32 v10, v10
	v_cmp_nlt_f32_e32 vcc, s36, v9
	v_ldexp_f32 v10, v10, v12
	s_nop 0
	v_cndmask_b32_e32 v10, 0, v10, vcc
	v_cmp_ngt_f32_e32 vcc, s37, v9
	s_nop 1
	v_cndmask_b32_e32 v9, v28, v10, vcc
	v_sub_f32_e32 v9, 1.0, v9
.LBB450_35:                             ;   in Loop: Header=BB450_9 Depth=1
	s_andn2_saveexec_b64 s[14:15], s[14:15]
; %bb.36:                               ;   in Loop: Header=BB450_9 Depth=1
	v_mul_f32_e32 v9, v2, v2
	v_fmamk_f32 v10, v9, 0xba1345e1, v26
	v_fmaak_f32 v10, v9, v10, 0xbcdac9b8
	v_fmaak_f32 v10, v9, v10, 0x3de703be
	v_fmaak_f32 v10, v9, v10, 0xbec09330
	v_fmaak_f32 v9, v9, v10, 0x3e0375d0
	v_fma_f32 v9, |v2|, v9, |v2|
; %bb.37:                               ;   in Loop: Header=BB450_9 Depth=1
	s_or_b64 exec, exec, s[14:15]
	v_cvt_f32_f16_sdwa v10, v11 dst_sel:DWORD dst_unused:UNUSED_PAD src0_sel:WORD_1
                                        ; implicit-def: $vgpr12
	v_add_f32_e32 v10, v15, v10
	v_mul_f32_e32 v11, 0x3f3504f3, v10
	v_cmp_nlt_f32_e64 s[14:15], |v11|, 1.0
	s_and_saveexec_b64 s[40:41], s[14:15]
	s_xor_b64 s[14:15], exec, s[40:41]
	s_cbranch_execz .LBB450_39
; %bb.38:                               ;   in Loop: Header=BB450_9 Depth=1
	v_fma_f32 v12, |v11|, s28, v27
	v_fma_f32 v12, |v11|, v12, s29
	;; [unrolled: 1-line block ×6, first 2 shown]
	v_fma_f32 v12, |v11|, v12, |v11|
	v_mul_f32_e32 v13, 0xbfb8aa3b, v12
	v_fma_f32 v14, v12, s35, -v13
	v_rndne_f32_e32 v15, v13
	v_fmac_f32_e32 v14, 0xb2a5705f, v12
	v_sub_f32_e32 v13, v13, v15
	v_add_f32_e32 v13, v13, v14
	v_cvt_i32_f32_e32 v14, v15
	v_exp_f32_e32 v13, v13
	v_cmp_nlt_f32_e32 vcc, s36, v12
	v_ldexp_f32 v13, v13, v14
	s_nop 0
	v_cndmask_b32_e32 v13, 0, v13, vcc
	v_cmp_ngt_f32_e32 vcc, s37, v12
	s_nop 1
	v_cndmask_b32_e32 v12, v28, v13, vcc
	v_sub_f32_e32 v12, 1.0, v12
.LBB450_39:                             ;   in Loop: Header=BB450_9 Depth=1
	s_andn2_saveexec_b64 s[14:15], s[14:15]
	s_cbranch_execz .LBB450_8
; %bb.40:                               ;   in Loop: Header=BB450_9 Depth=1
	v_mul_f32_e32 v12, v11, v11
	v_fmamk_f32 v13, v12, 0xba1345e1, v26
	v_fmaak_f32 v13, v12, v13, 0xbcdac9b8
	v_fmaak_f32 v13, v12, v13, 0x3de703be
	;; [unrolled: 1-line block ×4, first 2 shown]
	v_fma_f32 v12, |v11|, v12, |v11|
	s_branch .LBB450_8
.LBB450_41:
	s_endpgm
	.section	.rodata,"a",@progbits
	.p2align	6, 0x0
	.amdhsa_kernel _ZN5aiter23act_and_mul_bias_kernelIDF16_DF16_ifTnPFfRKT2_EXadL_ZNS_11gelu_kernelIfEEfRKT_EELi8EEEvPT0_PS8_PKT1_PS2_il
		.amdhsa_group_segment_fixed_size 0
		.amdhsa_private_segment_fixed_size 0
		.amdhsa_kernarg_size 304
		.amdhsa_user_sgpr_count 2
		.amdhsa_user_sgpr_dispatch_ptr 0
		.amdhsa_user_sgpr_queue_ptr 0
		.amdhsa_user_sgpr_kernarg_segment_ptr 1
		.amdhsa_user_sgpr_dispatch_id 0
		.amdhsa_user_sgpr_kernarg_preload_length 0
		.amdhsa_user_sgpr_kernarg_preload_offset 0
		.amdhsa_user_sgpr_private_segment_size 0
		.amdhsa_uses_dynamic_stack 0
		.amdhsa_enable_private_segment 0
		.amdhsa_system_sgpr_workgroup_id_x 1
		.amdhsa_system_sgpr_workgroup_id_y 0
		.amdhsa_system_sgpr_workgroup_id_z 0
		.amdhsa_system_sgpr_workgroup_info 0
		.amdhsa_system_vgpr_workitem_id 0
		.amdhsa_next_free_vgpr 36
		.amdhsa_next_free_sgpr 42
		.amdhsa_accum_offset 36
		.amdhsa_reserve_vcc 1
		.amdhsa_float_round_mode_32 0
		.amdhsa_float_round_mode_16_64 0
		.amdhsa_float_denorm_mode_32 3
		.amdhsa_float_denorm_mode_16_64 3
		.amdhsa_dx10_clamp 1
		.amdhsa_ieee_mode 1
		.amdhsa_fp16_overflow 0
		.amdhsa_tg_split 0
		.amdhsa_exception_fp_ieee_invalid_op 0
		.amdhsa_exception_fp_denorm_src 0
		.amdhsa_exception_fp_ieee_div_zero 0
		.amdhsa_exception_fp_ieee_overflow 0
		.amdhsa_exception_fp_ieee_underflow 0
		.amdhsa_exception_fp_ieee_inexact 0
		.amdhsa_exception_int_div_zero 0
	.end_amdhsa_kernel
	.section	.text._ZN5aiter23act_and_mul_bias_kernelIDF16_DF16_ifTnPFfRKT2_EXadL_ZNS_11gelu_kernelIfEEfRKT_EELi8EEEvPT0_PS8_PKT1_PS2_il,"axG",@progbits,_ZN5aiter23act_and_mul_bias_kernelIDF16_DF16_ifTnPFfRKT2_EXadL_ZNS_11gelu_kernelIfEEfRKT_EELi8EEEvPT0_PS8_PKT1_PS2_il,comdat
.Lfunc_end450:
	.size	_ZN5aiter23act_and_mul_bias_kernelIDF16_DF16_ifTnPFfRKT2_EXadL_ZNS_11gelu_kernelIfEEfRKT_EELi8EEEvPT0_PS8_PKT1_PS2_il, .Lfunc_end450-_ZN5aiter23act_and_mul_bias_kernelIDF16_DF16_ifTnPFfRKT2_EXadL_ZNS_11gelu_kernelIfEEfRKT_EELi8EEEvPT0_PS8_PKT1_PS2_il
                                        ; -- End function
	.section	.AMDGPU.csdata,"",@progbits
; Kernel info:
; codeLenInByte = 2944
; NumSgprs: 48
; NumVgprs: 36
; NumAgprs: 0
; TotalNumVgprs: 36
; ScratchSize: 0
; MemoryBound: 0
; FloatMode: 240
; IeeeMode: 1
; LDSByteSize: 0 bytes/workgroup (compile time only)
; SGPRBlocks: 5
; VGPRBlocks: 4
; NumSGPRsForWavesPerEU: 48
; NumVGPRsForWavesPerEU: 36
; AccumOffset: 36
; Occupancy: 8
; WaveLimiterHint : 0
; COMPUTE_PGM_RSRC2:SCRATCH_EN: 0
; COMPUTE_PGM_RSRC2:USER_SGPR: 2
; COMPUTE_PGM_RSRC2:TRAP_HANDLER: 0
; COMPUTE_PGM_RSRC2:TGID_X_EN: 1
; COMPUTE_PGM_RSRC2:TGID_Y_EN: 0
; COMPUTE_PGM_RSRC2:TGID_Z_EN: 0
; COMPUTE_PGM_RSRC2:TIDIG_COMP_CNT: 0
; COMPUTE_PGM_RSRC3_GFX90A:ACCUM_OFFSET: 8
; COMPUTE_PGM_RSRC3_GFX90A:TG_SPLIT: 0
	.section	.text._ZN5aiter23act_and_mul_bias_kernelIDF16_DF16_ifTnPFfRKT2_EXadL_ZNS_11gelu_kernelIfEEfRKT_EELi4EEEvPT0_PS8_PKT1_PS2_il,"axG",@progbits,_ZN5aiter23act_and_mul_bias_kernelIDF16_DF16_ifTnPFfRKT2_EXadL_ZNS_11gelu_kernelIfEEfRKT_EELi4EEEvPT0_PS8_PKT1_PS2_il,comdat
	.protected	_ZN5aiter23act_and_mul_bias_kernelIDF16_DF16_ifTnPFfRKT2_EXadL_ZNS_11gelu_kernelIfEEfRKT_EELi4EEEvPT0_PS8_PKT1_PS2_il ; -- Begin function _ZN5aiter23act_and_mul_bias_kernelIDF16_DF16_ifTnPFfRKT2_EXadL_ZNS_11gelu_kernelIfEEfRKT_EELi4EEEvPT0_PS8_PKT1_PS2_il
	.globl	_ZN5aiter23act_and_mul_bias_kernelIDF16_DF16_ifTnPFfRKT2_EXadL_ZNS_11gelu_kernelIfEEfRKT_EELi4EEEvPT0_PS8_PKT1_PS2_il
	.p2align	8
	.type	_ZN5aiter23act_and_mul_bias_kernelIDF16_DF16_ifTnPFfRKT2_EXadL_ZNS_11gelu_kernelIfEEfRKT_EELi4EEEvPT0_PS8_PKT1_PS2_il,@function
_ZN5aiter23act_and_mul_bias_kernelIDF16_DF16_ifTnPFfRKT2_EXadL_ZNS_11gelu_kernelIfEEfRKT_EELi4EEEvPT0_PS8_PKT1_PS2_il: ; @_ZN5aiter23act_and_mul_bias_kernelIDF16_DF16_ifTnPFfRKT2_EXadL_ZNS_11gelu_kernelIfEEfRKT_EELi4EEEvPT0_PS8_PKT1_PS2_il
; %bb.0:
	s_load_dword s24, s[0:1], 0x20
	s_load_dwordx2 s[4:5], s[0:1], 0x10
	s_load_dwordx2 s[12:13], s[0:1], 0x28
	s_mov_b32 s3, 0
	s_lshl_b64 s[6:7], s[2:3], 2
	s_waitcnt lgkmcnt(0)
	s_ashr_i32 s25, s24, 31
	s_add_u32 s4, s4, s6
	s_addc_u32 s5, s5, s7
	s_add_i32 s3, s24, 1
	s_load_dword s8, s[4:5], 0x0
	s_load_dwordx2 s[14:15], s[0:1], 0x0
	s_lshr_b32 s4, s3, 31
	s_add_i32 s3, s3, s4
	s_lshl_b32 s3, s3, 1
	s_and_b32 s6, s3, -4
	s_mul_hi_u32 s3, s24, s2
	s_mul_i32 s4, s25, s2
	s_add_i32 s5, s3, s4
	s_mul_i32 s4, s24, s2
	s_waitcnt lgkmcnt(0)
	s_ashr_i32 s9, s8, 31
	s_lshl_b64 s[4:5], s[4:5], 1
	v_mov_b64_e32 v[2:3], s[12:13]
	v_cmp_gt_i64_e64 s[16:17], s[8:9], -1
	s_add_u32 s4, s14, s4
	v_cmp_lt_i64_e32 vcc, s[8:9], v[2:3]
	s_addc_u32 s3, s15, s5
	s_and_b64 s[12:13], s[16:17], vcc
	s_mov_b64 s[10:11], -1
	s_and_b32 s5, s3, 0xffff
	s_and_b64 vcc, exec, s[12:13]
	v_lshlrev_b32_e32 v8, 2, v0
	s_cbranch_vccnz .LBB451_5
; %bb.1:
	v_cmp_gt_i32_e32 vcc, s24, v8
	s_and_saveexec_b64 s[10:11], vcc
	s_cbranch_execz .LBB451_4
; %bb.2:
	s_load_dword s3, s[0:1], 0x3c
	v_mov_b32_e32 v9, 0
	s_mov_b32 s13, 0
	v_lshlrev_b32_e32 v4, 3, v0
	s_mov_b64 s[14:15], 0
	s_waitcnt lgkmcnt(0)
	s_and_b32 s3, s3, 0xffff
	s_lshl_b32 s12, s3, 2
	s_lshl_b32 s3, s3, 3
	s_mov_b32 s7, 0x20000
	v_mov_b32_e32 v0, v9
	v_mov_b32_e32 v1, v9
	v_mov_b64_e32 v[2:3], v[8:9]
.LBB451_3:                              ; =>This Inner Loop Header: Depth=1
	v_lshl_add_u64 v[2:3], s[12:13], 0, v[2:3]
	v_cmp_le_i64_e32 vcc, s[24:25], v[2:3]
	buffer_store_dwordx2 v[0:1], v4, s[4:7], 0 offen
	s_or_b64 s[14:15], vcc, s[14:15]
	v_add_u32_e32 v4, s3, v4
	s_andn2_b64 exec, exec, s[14:15]
	s_cbranch_execnz .LBB451_3
.LBB451_4:
	s_or_b64 exec, exec, s[10:11]
	s_mov_b64 s[10:11], 0
.LBB451_5:
	s_andn2_b64 vcc, exec, s[10:11]
	s_cbranch_vccnz .LBB451_25
; %bb.6:
	v_cmp_gt_i32_e32 vcc, s24, v8
	s_and_saveexec_b64 s[10:11], vcc
	s_cbranch_execz .LBB451_25
; %bb.7:
	s_load_dwordx2 s[10:11], s[0:1], 0x18
	s_load_dwordx2 s[14:15], s[0:1], 0x8
	s_mul_hi_i32 s9, s24, s8
	s_mul_i32 s8, s24, s8
	s_lshl_b64 s[8:9], s[8:9], 3
	s_waitcnt lgkmcnt(0)
	s_add_u32 s8, s10, s8
	s_addc_u32 s3, s11, s9
	s_lshl_b64 s[10:11], s[24:25], 2
	s_add_u32 s12, s8, s10
	s_addc_u32 s13, s3, s11
	s_and_b32 s9, s3, 0xffff
	s_mul_i32 s3, s2, s25
	s_mul_hi_u32 s16, s2, s24
	s_add_i32 s3, s16, s3
	s_mul_i32 s2, s2, s24
	s_lshl_b32 s10, s24, 2
	s_and_b32 s13, s13, 0xffff
	s_lshl_b64 s[2:3], s[2:3], 2
	s_add_u32 s16, s14, s2
	s_addc_u32 s14, s15, s3
	s_lshl_b64 s[2:3], s[24:25], 1
	s_add_u32 s20, s16, s2
	s_addc_u32 s2, s14, s3
	s_and_b32 s17, s14, 0xffff
	s_and_b32 s21, s2, 0xffff
	s_mov_b32 s7, 0x20000
	s_add_u32 s0, s0, 48
	s_mov_b32 s11, s7
	s_mov_b64 s[22:23], s[6:7]
	v_mov_b32_e32 v9, 0
	s_addc_u32 s1, s1, 0
	s_mov_b64 s[2:3], 0
	s_mov_b32 s18, s6
	s_mov_b32 s19, s7
	s_mov_b32 s27, 0
	s_mov_b32 s28, 0x378e98ab
	s_mov_b32 s29, 0x3b7cd369
	s_mov_b32 s30, 0xbcc618b2
	s_mov_b32 s31, 0x3dda74e4
	s_mov_b32 s33, 0x3f228afd
	s_mov_b32 s34, 0x3e03c728
	s_mov_b32 s35, 0xbfb8aa3b
	s_mov_b32 s36, 0x42ce8ed0
	s_mov_b32 s37, 0xc2b17218
	v_mov_b32_e32 v14, 0x3ba10414
	s_brev_b32 s38, -2
	v_mov_b32_e32 v15, 0xb9c68948
	v_mov_b32_e32 v16, 0x7f800000
                                        ; implicit-def: $vgpr0
                                        ; implicit-def: $vgpr0
	;; [unrolled: 1-line block ×4, first 2 shown]
	s_branch .LBB451_9
.LBB451_8:                              ;   in Loop: Header=BB451_9 Depth=1
	s_or_b64 exec, exec, s[14:15]
	v_bfi_b32 v5, s38, v6, v5
	v_mul_f32_e32 v4, 0.5, v4
	v_cvt_f32_f16_sdwa v6, v11 dst_sel:DWORD dst_unused:UNUSED_PAD src0_sel:WORD_1
	v_add_f32_e32 v5, 1.0, v5
	v_mul_f32_e32 v4, v4, v5
	v_cvt_f32_f16_e32 v5, v11
	v_cvt_f16_f32_e32 v11, v1
	v_bfi_b32 v1, s38, v12, v10
	v_add_f32_e32 v3, v3, v6
	v_cvt_f16_f32_e32 v6, v0
	v_mul_f32_e32 v0, 0.5, v7
	v_add_f32_e32 v1, 1.0, v1
	v_add_f32_e32 v2, v2, v5
	v_mul_f32_e32 v5, v0, v1
	;;#ASMSTART
	v_pk_mul_f32 v[0:1], v[4:5], v[2:3]
	;;#ASMEND
	s_load_dword s14, s[0:1], 0xc
	v_cvt_f16_f32_e32 v0, v0
	v_cvt_f16_f32_e32 v1, v1
	s_waitcnt lgkmcnt(0)
	s_and_b32 s14, s14, 0xffff
	s_lshl_b32 s26, s14, 2
	v_lshl_add_u64 v[8:9], s[26:27], 0, v[8:9]
	v_cmp_le_i64_e32 vcc, s[24:25], v[8:9]
	v_pack_b32_f16 v1, v0, v1
	v_pack_b32_f16 v0, v6, v11
	s_or_b64 s[2:3], vcc, s[2:3]
	buffer_store_dwordx2 v[0:1], v17, s[4:7], 0 offen
	s_andn2_b64 exec, exec, s[2:3]
	s_cbranch_execz .LBB451_25
.LBB451_9:                              ; =>This Inner Loop Header: Depth=1
	v_lshlrev_b32_e32 v17, 1, v8
	buffer_load_dwordx2 v[12:13], v17, s[16:19], 0 offen
	buffer_load_dwordx2 v[10:11], v17, s[20:23], 0 offen
	v_lshlrev_b32_e32 v0, 2, v8
	buffer_load_dwordx4 v[4:7], v0, s[8:11], 0 offen
	s_mov_b32 s14, s10
	s_mov_b32 s15, s11
	buffer_load_dwordx4 v[0:3], v0, s[12:15], 0 offen
                                        ; implicit-def: $vgpr19
	s_waitcnt vmcnt(3)
	v_cvt_f32_f16_e32 v18, v12
	s_waitcnt vmcnt(1)
	v_add_f32_e32 v4, v4, v18
	v_mul_f32_e32 v18, 0x3f3504f3, v4
	v_cmp_nlt_f32_e64 s[14:15], |v18|, 1.0
	s_and_saveexec_b64 s[40:41], s[14:15]
	s_xor_b64 s[14:15], exec, s[40:41]
	s_cbranch_execz .LBB451_11
; %bb.10:                               ;   in Loop: Header=BB451_9 Depth=1
	v_fma_f32 v19, |v18|, s28, v15
	v_fma_f32 v19, |v18|, v19, s29
	;; [unrolled: 1-line block ×6, first 2 shown]
	v_fma_f32 v19, |v18|, v19, |v18|
	v_mul_f32_e32 v20, 0xbfb8aa3b, v19
	v_fma_f32 v21, v19, s35, -v20
	v_rndne_f32_e32 v22, v20
	v_fmac_f32_e32 v21, 0xb2a5705f, v19
	v_sub_f32_e32 v20, v20, v22
	v_add_f32_e32 v20, v20, v21
	v_cvt_i32_f32_e32 v21, v22
	v_exp_f32_e32 v20, v20
	v_cmp_nlt_f32_e32 vcc, s36, v19
	v_ldexp_f32 v20, v20, v21
	s_nop 0
	v_cndmask_b32_e32 v20, 0, v20, vcc
	v_cmp_ngt_f32_e32 vcc, s37, v19
	s_nop 1
	v_cndmask_b32_e32 v19, v16, v20, vcc
	v_sub_f32_e32 v19, 1.0, v19
.LBB451_11:                             ;   in Loop: Header=BB451_9 Depth=1
	s_andn2_saveexec_b64 s[14:15], s[14:15]
; %bb.12:                               ;   in Loop: Header=BB451_9 Depth=1
	v_mul_f32_e32 v19, v18, v18
	v_fmamk_f32 v20, v19, 0xba1345e1, v14
	v_fmaak_f32 v20, v19, v20, 0xbcdac9b8
	v_fmaak_f32 v20, v19, v20, 0x3de703be
	v_fmaak_f32 v20, v19, v20, 0xbec09330
	v_fmaak_f32 v19, v19, v20, 0x3e0375d0
	v_fma_f32 v19, |v18|, v19, |v18|
; %bb.13:                               ;   in Loop: Header=BB451_9 Depth=1
	s_or_b64 exec, exec, s[14:15]
	v_cvt_f32_f16_sdwa v12, v12 dst_sel:DWORD dst_unused:UNUSED_PAD src0_sel:WORD_1
                                        ; implicit-def: $vgpr20
	v_add_f32_e32 v5, v5, v12
	v_mul_f32_e32 v12, 0x3f3504f3, v5
	v_cmp_nlt_f32_e64 s[14:15], |v12|, 1.0
	s_and_saveexec_b64 s[40:41], s[14:15]
	s_xor_b64 s[14:15], exec, s[40:41]
	s_cbranch_execz .LBB451_15
; %bb.14:                               ;   in Loop: Header=BB451_9 Depth=1
	v_fma_f32 v20, |v12|, s28, v15
	v_fma_f32 v20, |v12|, v20, s29
	;; [unrolled: 1-line block ×6, first 2 shown]
	v_fma_f32 v20, |v12|, v20, |v12|
	v_mul_f32_e32 v21, 0xbfb8aa3b, v20
	v_fma_f32 v22, v20, s35, -v21
	v_rndne_f32_e32 v23, v21
	v_fmac_f32_e32 v22, 0xb2a5705f, v20
	v_sub_f32_e32 v21, v21, v23
	v_add_f32_e32 v21, v21, v22
	v_cvt_i32_f32_e32 v22, v23
	v_exp_f32_e32 v21, v21
	v_cmp_nlt_f32_e32 vcc, s36, v20
	v_ldexp_f32 v21, v21, v22
	s_nop 0
	v_cndmask_b32_e32 v21, 0, v21, vcc
	v_cmp_ngt_f32_e32 vcc, s37, v20
	s_nop 1
	v_cndmask_b32_e32 v20, v16, v21, vcc
	v_sub_f32_e32 v20, 1.0, v20
.LBB451_15:                             ;   in Loop: Header=BB451_9 Depth=1
	s_andn2_saveexec_b64 s[14:15], s[14:15]
; %bb.16:                               ;   in Loop: Header=BB451_9 Depth=1
	v_mul_f32_e32 v20, v12, v12
	v_fmamk_f32 v21, v20, 0xba1345e1, v14
	v_fmaak_f32 v21, v20, v21, 0xbcdac9b8
	v_fmaak_f32 v21, v20, v21, 0x3de703be
	;; [unrolled: 1-line block ×4, first 2 shown]
	v_fma_f32 v20, |v12|, v20, |v12|
; %bb.17:                               ;   in Loop: Header=BB451_9 Depth=1
	s_or_b64 exec, exec, s[14:15]
	v_bfi_b32 v18, s38, v19, v18
	v_cvt_f32_f16_sdwa v19, v10 dst_sel:DWORD dst_unused:UNUSED_PAD src0_sel:WORD_1
	v_cvt_f32_f16_e32 v10, v10
	v_mul_f32_e32 v4, 0.5, v4
	v_add_f32_e32 v18, 1.0, v18
	v_mul_f32_e32 v4, v4, v18
	s_waitcnt vmcnt(0)
	v_add_f32_e32 v0, v0, v10
	v_bfi_b32 v10, s38, v20, v12
	v_cvt_f32_f16_e32 v12, v13
	v_add_f32_e32 v1, v1, v19
	v_mul_f32_e32 v5, 0.5, v5
	v_add_f32_e32 v10, 1.0, v10
	v_mul_f32_e32 v5, v5, v10
	;;#ASMSTART
	v_pk_mul_f32 v[0:1], v[4:5], v[0:1]
	;;#ASMEND
	v_add_f32_e32 v4, v6, v12
	v_mul_f32_e32 v5, 0x3f3504f3, v4
	v_cmp_nlt_f32_e64 s[14:15], |v5|, 1.0
                                        ; implicit-def: $vgpr6
	s_and_saveexec_b64 s[40:41], s[14:15]
	s_xor_b64 s[14:15], exec, s[40:41]
	s_cbranch_execz .LBB451_19
; %bb.18:                               ;   in Loop: Header=BB451_9 Depth=1
	v_fma_f32 v6, |v5|, s28, v15
	v_fma_f32 v6, |v5|, v6, s29
	;; [unrolled: 1-line block ×6, first 2 shown]
	v_fma_f32 v6, |v5|, v6, |v5|
	v_mul_f32_e32 v10, 0xbfb8aa3b, v6
	v_fma_f32 v12, v6, s35, -v10
	v_rndne_f32_e32 v18, v10
	v_fmac_f32_e32 v12, 0xb2a5705f, v6
	v_sub_f32_e32 v10, v10, v18
	v_add_f32_e32 v10, v10, v12
	v_cvt_i32_f32_e32 v12, v18
	v_exp_f32_e32 v10, v10
	v_cmp_nlt_f32_e32 vcc, s36, v6
	v_ldexp_f32 v10, v10, v12
	s_nop 0
	v_cndmask_b32_e32 v10, 0, v10, vcc
	v_cmp_ngt_f32_e32 vcc, s37, v6
	s_nop 1
	v_cndmask_b32_e32 v6, v16, v10, vcc
	v_sub_f32_e32 v6, 1.0, v6
.LBB451_19:                             ;   in Loop: Header=BB451_9 Depth=1
	s_andn2_saveexec_b64 s[14:15], s[14:15]
; %bb.20:                               ;   in Loop: Header=BB451_9 Depth=1
	v_mul_f32_e32 v6, v5, v5
	v_fmamk_f32 v10, v6, 0xba1345e1, v14
	v_fmaak_f32 v10, v6, v10, 0xbcdac9b8
	v_fmaak_f32 v10, v6, v10, 0x3de703be
	;; [unrolled: 1-line block ×4, first 2 shown]
	v_fma_f32 v6, |v5|, v6, |v5|
; %bb.21:                               ;   in Loop: Header=BB451_9 Depth=1
	s_or_b64 exec, exec, s[14:15]
	v_cvt_f32_f16_sdwa v10, v13 dst_sel:DWORD dst_unused:UNUSED_PAD src0_sel:WORD_1
                                        ; implicit-def: $vgpr12
	v_add_f32_e32 v7, v7, v10
	v_mul_f32_e32 v10, 0x3f3504f3, v7
	v_cmp_nlt_f32_e64 s[14:15], |v10|, 1.0
	s_and_saveexec_b64 s[40:41], s[14:15]
	s_xor_b64 s[14:15], exec, s[40:41]
	s_cbranch_execz .LBB451_23
; %bb.22:                               ;   in Loop: Header=BB451_9 Depth=1
	v_fma_f32 v12, |v10|, s28, v15
	v_fma_f32 v12, |v10|, v12, s29
	;; [unrolled: 1-line block ×6, first 2 shown]
	v_fma_f32 v12, |v10|, v12, |v10|
	v_mul_f32_e32 v13, 0xbfb8aa3b, v12
	v_fma_f32 v18, v12, s35, -v13
	v_rndne_f32_e32 v19, v13
	v_fmac_f32_e32 v18, 0xb2a5705f, v12
	v_sub_f32_e32 v13, v13, v19
	v_add_f32_e32 v13, v13, v18
	v_cvt_i32_f32_e32 v18, v19
	v_exp_f32_e32 v13, v13
	v_cmp_nlt_f32_e32 vcc, s36, v12
	v_ldexp_f32 v13, v13, v18
	s_nop 0
	v_cndmask_b32_e32 v13, 0, v13, vcc
	v_cmp_ngt_f32_e32 vcc, s37, v12
	s_nop 1
	v_cndmask_b32_e32 v12, v16, v13, vcc
	v_sub_f32_e32 v12, 1.0, v12
.LBB451_23:                             ;   in Loop: Header=BB451_9 Depth=1
	s_andn2_saveexec_b64 s[14:15], s[14:15]
	s_cbranch_execz .LBB451_8
; %bb.24:                               ;   in Loop: Header=BB451_9 Depth=1
	v_mul_f32_e32 v12, v10, v10
	v_fmamk_f32 v13, v12, 0xba1345e1, v14
	v_fmaak_f32 v13, v12, v13, 0xbcdac9b8
	v_fmaak_f32 v13, v12, v13, 0x3de703be
	;; [unrolled: 1-line block ×4, first 2 shown]
	v_fma_f32 v12, |v10|, v12, |v10|
	s_branch .LBB451_8
.LBB451_25:
	s_endpgm
	.section	.rodata,"a",@progbits
	.p2align	6, 0x0
	.amdhsa_kernel _ZN5aiter23act_and_mul_bias_kernelIDF16_DF16_ifTnPFfRKT2_EXadL_ZNS_11gelu_kernelIfEEfRKT_EELi4EEEvPT0_PS8_PKT1_PS2_il
		.amdhsa_group_segment_fixed_size 0
		.amdhsa_private_segment_fixed_size 0
		.amdhsa_kernarg_size 304
		.amdhsa_user_sgpr_count 2
		.amdhsa_user_sgpr_dispatch_ptr 0
		.amdhsa_user_sgpr_queue_ptr 0
		.amdhsa_user_sgpr_kernarg_segment_ptr 1
		.amdhsa_user_sgpr_dispatch_id 0
		.amdhsa_user_sgpr_kernarg_preload_length 0
		.amdhsa_user_sgpr_kernarg_preload_offset 0
		.amdhsa_user_sgpr_private_segment_size 0
		.amdhsa_uses_dynamic_stack 0
		.amdhsa_enable_private_segment 0
		.amdhsa_system_sgpr_workgroup_id_x 1
		.amdhsa_system_sgpr_workgroup_id_y 0
		.amdhsa_system_sgpr_workgroup_id_z 0
		.amdhsa_system_sgpr_workgroup_info 0
		.amdhsa_system_vgpr_workitem_id 0
		.amdhsa_next_free_vgpr 24
		.amdhsa_next_free_sgpr 42
		.amdhsa_accum_offset 24
		.amdhsa_reserve_vcc 1
		.amdhsa_float_round_mode_32 0
		.amdhsa_float_round_mode_16_64 0
		.amdhsa_float_denorm_mode_32 3
		.amdhsa_float_denorm_mode_16_64 3
		.amdhsa_dx10_clamp 1
		.amdhsa_ieee_mode 1
		.amdhsa_fp16_overflow 0
		.amdhsa_tg_split 0
		.amdhsa_exception_fp_ieee_invalid_op 0
		.amdhsa_exception_fp_denorm_src 0
		.amdhsa_exception_fp_ieee_div_zero 0
		.amdhsa_exception_fp_ieee_overflow 0
		.amdhsa_exception_fp_ieee_underflow 0
		.amdhsa_exception_fp_ieee_inexact 0
		.amdhsa_exception_int_div_zero 0
	.end_amdhsa_kernel
	.section	.text._ZN5aiter23act_and_mul_bias_kernelIDF16_DF16_ifTnPFfRKT2_EXadL_ZNS_11gelu_kernelIfEEfRKT_EELi4EEEvPT0_PS8_PKT1_PS2_il,"axG",@progbits,_ZN5aiter23act_and_mul_bias_kernelIDF16_DF16_ifTnPFfRKT2_EXadL_ZNS_11gelu_kernelIfEEfRKT_EELi4EEEvPT0_PS8_PKT1_PS2_il,comdat
.Lfunc_end451:
	.size	_ZN5aiter23act_and_mul_bias_kernelIDF16_DF16_ifTnPFfRKT2_EXadL_ZNS_11gelu_kernelIfEEfRKT_EELi4EEEvPT0_PS8_PKT1_PS2_il, .Lfunc_end451-_ZN5aiter23act_and_mul_bias_kernelIDF16_DF16_ifTnPFfRKT2_EXadL_ZNS_11gelu_kernelIfEEfRKT_EELi4EEEvPT0_PS8_PKT1_PS2_il
                                        ; -- End function
	.section	.AMDGPU.csdata,"",@progbits
; Kernel info:
; codeLenInByte = 1812
; NumSgprs: 48
; NumVgprs: 24
; NumAgprs: 0
; TotalNumVgprs: 24
; ScratchSize: 0
; MemoryBound: 0
; FloatMode: 240
; IeeeMode: 1
; LDSByteSize: 0 bytes/workgroup (compile time only)
; SGPRBlocks: 5
; VGPRBlocks: 2
; NumSGPRsForWavesPerEU: 48
; NumVGPRsForWavesPerEU: 24
; AccumOffset: 24
; Occupancy: 8
; WaveLimiterHint : 0
; COMPUTE_PGM_RSRC2:SCRATCH_EN: 0
; COMPUTE_PGM_RSRC2:USER_SGPR: 2
; COMPUTE_PGM_RSRC2:TRAP_HANDLER: 0
; COMPUTE_PGM_RSRC2:TGID_X_EN: 1
; COMPUTE_PGM_RSRC2:TGID_Y_EN: 0
; COMPUTE_PGM_RSRC2:TGID_Z_EN: 0
; COMPUTE_PGM_RSRC2:TIDIG_COMP_CNT: 0
; COMPUTE_PGM_RSRC3_GFX90A:ACCUM_OFFSET: 5
; COMPUTE_PGM_RSRC3_GFX90A:TG_SPLIT: 0
	.section	.text._ZN5aiter23act_and_mul_bias_kernelIDF16_DF16_ifTnPFfRKT2_EXadL_ZNS_11gelu_kernelIfEEfRKT_EELi2EEEvPT0_PS8_PKT1_PS2_il,"axG",@progbits,_ZN5aiter23act_and_mul_bias_kernelIDF16_DF16_ifTnPFfRKT2_EXadL_ZNS_11gelu_kernelIfEEfRKT_EELi2EEEvPT0_PS8_PKT1_PS2_il,comdat
	.protected	_ZN5aiter23act_and_mul_bias_kernelIDF16_DF16_ifTnPFfRKT2_EXadL_ZNS_11gelu_kernelIfEEfRKT_EELi2EEEvPT0_PS8_PKT1_PS2_il ; -- Begin function _ZN5aiter23act_and_mul_bias_kernelIDF16_DF16_ifTnPFfRKT2_EXadL_ZNS_11gelu_kernelIfEEfRKT_EELi2EEEvPT0_PS8_PKT1_PS2_il
	.globl	_ZN5aiter23act_and_mul_bias_kernelIDF16_DF16_ifTnPFfRKT2_EXadL_ZNS_11gelu_kernelIfEEfRKT_EELi2EEEvPT0_PS8_PKT1_PS2_il
	.p2align	8
	.type	_ZN5aiter23act_and_mul_bias_kernelIDF16_DF16_ifTnPFfRKT2_EXadL_ZNS_11gelu_kernelIfEEfRKT_EELi2EEEvPT0_PS8_PKT1_PS2_il,@function
_ZN5aiter23act_and_mul_bias_kernelIDF16_DF16_ifTnPFfRKT2_EXadL_ZNS_11gelu_kernelIfEEfRKT_EELi2EEEvPT0_PS8_PKT1_PS2_il: ; @_ZN5aiter23act_and_mul_bias_kernelIDF16_DF16_ifTnPFfRKT2_EXadL_ZNS_11gelu_kernelIfEEfRKT_EELi2EEEvPT0_PS8_PKT1_PS2_il
; %bb.0:
	s_load_dword s24, s[0:1], 0x20
	s_load_dwordx2 s[4:5], s[0:1], 0x10
	s_load_dwordx2 s[12:13], s[0:1], 0x28
	s_mov_b32 s3, 0
	s_lshl_b64 s[6:7], s[2:3], 2
	s_waitcnt lgkmcnt(0)
	s_ashr_i32 s25, s24, 31
	s_add_u32 s4, s4, s6
	s_addc_u32 s5, s5, s7
	s_add_i32 s3, s24, 1
	s_load_dword s8, s[4:5], 0x0
	s_load_dwordx2 s[14:15], s[0:1], 0x0
	s_lshr_b32 s4, s3, 31
	s_add_i32 s3, s3, s4
	s_lshl_b32 s3, s3, 1
	s_and_b32 s6, s3, -4
	s_mul_hi_u32 s3, s24, s2
	s_mul_i32 s4, s25, s2
	s_add_i32 s5, s3, s4
	s_mul_i32 s4, s24, s2
	s_waitcnt lgkmcnt(0)
	s_ashr_i32 s9, s8, 31
	s_lshl_b64 s[4:5], s[4:5], 1
	v_mov_b64_e32 v[2:3], s[12:13]
	v_cmp_gt_i64_e64 s[16:17], s[8:9], -1
	s_add_u32 s4, s14, s4
	v_cmp_lt_i64_e32 vcc, s[8:9], v[2:3]
	s_addc_u32 s3, s15, s5
	s_and_b64 s[12:13], s[16:17], vcc
	s_mov_b64 s[10:11], -1
	s_and_b32 s5, s3, 0xffff
	s_and_b64 vcc, exec, s[12:13]
	v_lshlrev_b32_e32 v2, 1, v0
	s_cbranch_vccnz .LBB452_5
; %bb.1:
	v_cmp_gt_i32_e32 vcc, s24, v2
	s_and_saveexec_b64 s[10:11], vcc
	s_cbranch_execz .LBB452_4
; %bb.2:
	s_load_dword s3, s[0:1], 0x3c
	v_mov_b32_e32 v3, 0
	s_mov_b32 s13, 0
	v_lshlrev_b32_e32 v4, 2, v0
	s_mov_b64 s[14:15], 0
	s_waitcnt lgkmcnt(0)
	s_and_b32 s3, s3, 0xffff
	s_lshl_b32 s12, s3, 1
	s_lshl_b32 s3, s3, 2
	s_mov_b32 s7, 0x20000
	v_mov_b64_e32 v[0:1], v[2:3]
.LBB452_3:                              ; =>This Inner Loop Header: Depth=1
	v_lshl_add_u64 v[0:1], s[12:13], 0, v[0:1]
	v_cmp_le_i64_e32 vcc, s[24:25], v[0:1]
	buffer_store_dword v3, v4, s[4:7], 0 offen
	s_or_b64 s[14:15], vcc, s[14:15]
	v_add_u32_e32 v4, s3, v4
	s_andn2_b64 exec, exec, s[14:15]
	s_cbranch_execnz .LBB452_3
.LBB452_4:
	s_or_b64 exec, exec, s[10:11]
	s_mov_b64 s[10:11], 0
.LBB452_5:
	s_andn2_b64 vcc, exec, s[10:11]
	s_cbranch_vccnz .LBB452_13
; %bb.6:
	v_cmp_gt_i32_e32 vcc, s24, v2
	s_and_saveexec_b64 s[10:11], vcc
	s_cbranch_execz .LBB452_13
; %bb.7:
	s_load_dwordx2 s[10:11], s[0:1], 0x18
	s_load_dwordx2 s[14:15], s[0:1], 0x8
	s_mul_hi_i32 s9, s24, s8
	s_mul_i32 s8, s24, s8
	s_lshl_b64 s[8:9], s[8:9], 3
	s_waitcnt lgkmcnt(0)
	s_add_u32 s8, s10, s8
	s_addc_u32 s3, s11, s9
	s_lshl_b64 s[10:11], s[24:25], 2
	s_add_u32 s12, s8, s10
	s_addc_u32 s13, s3, s11
	s_and_b32 s9, s3, 0xffff
	s_mul_i32 s3, s2, s25
	s_mul_hi_u32 s16, s2, s24
	s_add_i32 s3, s16, s3
	s_mul_i32 s2, s2, s24
	s_lshl_b32 s10, s24, 2
	s_and_b32 s13, s13, 0xffff
	s_lshl_b64 s[2:3], s[2:3], 2
	s_add_u32 s16, s14, s2
	s_addc_u32 s14, s15, s3
	s_lshl_b64 s[2:3], s[24:25], 1
	s_add_u32 s20, s16, s2
	s_addc_u32 s2, s14, s3
	s_and_b32 s17, s14, 0xffff
	s_and_b32 s21, s2, 0xffff
	s_mov_b32 s7, 0x20000
	s_add_u32 s0, s0, 48
	s_mov_b32 s11, s7
	s_mov_b64 s[22:23], s[6:7]
	v_mov_b32_e32 v3, 0
	s_addc_u32 s1, s1, 0
	s_mov_b64 s[2:3], 0
	s_mov_b32 s18, s6
	s_mov_b32 s19, s7
	;; [unrolled: 1-line block ×13, first 2 shown]
	v_mov_b32_e32 v10, 0x3ba10414
	v_mov_b32_e32 v11, 0xb9c68948
	;; [unrolled: 1-line block ×3, first 2 shown]
	s_brev_b32 s39, -2
                                        ; implicit-def: $vgpr0
                                        ; implicit-def: $vgpr0
                                        ; implicit-def: $vgpr0
                                        ; implicit-def: $vgpr0
	s_branch .LBB452_9
.LBB452_8:                              ;   in Loop: Header=BB452_9 Depth=1
	s_or_b64 exec, exec, s[14:15]
	v_fma_f32 v8, |v1|, s29, v11
	v_fma_f32 v8, |v1|, v8, s30
	;; [unrolled: 1-line block ×6, first 2 shown]
	v_fma_f32 v8, |v1|, v8, |v1|
	s_waitcnt vmcnt(1)
	v_cvt_f32_f16_sdwa v17, v14 dst_sel:DWORD dst_unused:UNUSED_PAD src0_sel:WORD_1
	v_cvt_f32_f16_e32 v16, v14
	v_mul_f32_e32 v14, 0xbfb8aa3b, v8
	v_fma_f32 v18, v8, s36, -v14
	v_rndne_f32_e32 v19, v14
	v_fmac_f32_e32 v18, 0xb2a5705f, v8
	v_sub_f32_e32 v14, v14, v19
	v_add_f32_e32 v14, v14, v18
	v_exp_f32_e32 v14, v14
	v_cvt_i32_f32_e32 v18, v19
	v_cmp_nlt_f32_e32 vcc, s37, v8
	v_bfi_b32 v0, s39, v15, v0
	v_mul_f32_e32 v5, 0.5, v5
	v_ldexp_f32 v14, v14, v18
	v_cndmask_b32_e32 v14, 0, v14, vcc
	v_cmp_ngt_f32_e32 vcc, s38, v8
	v_mul_f32_e32 v4, 0.5, v4
	s_waitcnt vmcnt(0)
	v_pk_add_f32 v[6:7], v[6:7], v[16:17]
	v_cndmask_b32_e32 v8, v12, v14, vcc
	v_fmamk_f32 v14, v9, 0xba1345e1, v10
	v_fmaak_f32 v14, v9, v14, 0xbcdac9b8
	v_fmaak_f32 v14, v9, v14, 0x3de703be
	;; [unrolled: 1-line block ×4, first 2 shown]
	v_sub_f32_e32 v8, 1.0, v8
	v_fma_f32 v9, |v1|, v9, |v1|
	v_cmp_lt_f32_e64 vcc, |v1|, 1.0
	s_nop 1
	v_cndmask_b32_e32 v8, v8, v9, vcc
	v_bfi_b32 v1, s39, v8, v1
	v_pk_add_f32 v[0:1], v[0:1], 1.0 op_sel_hi:[1,0]
	s_nop 0
	v_pk_mul_f32 v[0:1], v[4:5], v[0:1]
	s_nop 0
	;;#ASMSTART
	v_pk_mul_f32 v[0:1], v[0:1], v[6:7]
	;;#ASMEND
	s_load_dword s14, s[0:1], 0xc
	v_cvt_f16_f32_e32 v0, v0
	v_cvt_f16_f32_e32 v1, v1
	s_waitcnt lgkmcnt(0)
	s_and_b32 s14, s14, 0xffff
	s_lshl_b32 s26, s14, 1
	v_lshl_add_u64 v[2:3], s[26:27], 0, v[2:3]
	v_cmp_le_i64_e32 vcc, s[24:25], v[2:3]
	v_pack_b32_f16 v0, v0, v1
	s_or_b64 s[2:3], vcc, s[2:3]
	buffer_store_dword v0, v13, s[4:7], 0 offen
	s_andn2_b64 exec, exec, s[2:3]
	s_cbranch_execz .LBB452_13
.LBB452_9:                              ; =>This Inner Loop Header: Depth=1
	v_lshlrev_b32_e32 v13, 1, v2
	buffer_load_dword v5, v13, s[16:19], 0 offen
	v_lshlrev_b32_e32 v4, 2, v2
	buffer_load_dwordx2 v[0:1], v4, s[8:11], 0 offen
	s_mov_b32 s14, s10
	s_mov_b32 s15, s11
	buffer_load_dword v14, v13, s[20:23], 0 offen
	buffer_load_dwordx2 v[6:7], v4, s[12:15], 0 offen
                                        ; implicit-def: $vgpr15
	s_waitcnt vmcnt(3)
	v_cvt_f32_f16_e32 v4, v5
	v_cvt_f32_f16_sdwa v5, v5 dst_sel:DWORD dst_unused:UNUSED_PAD src0_sel:WORD_1
	s_waitcnt vmcnt(2)
	v_pk_add_f32 v[4:5], v[0:1], v[4:5]
	s_nop 0
	v_pk_mul_f32 v[0:1], v[4:5], s[28:29] op_sel_hi:[1,0]
	s_nop 0
	v_cmp_nlt_f32_e64 s[14:15], |v0|, 1.0
	s_and_saveexec_b64 s[40:41], s[14:15]
	s_xor_b64 s[14:15], exec, s[40:41]
	s_cbranch_execz .LBB452_11
; %bb.10:                               ;   in Loop: Header=BB452_9 Depth=1
	v_fma_f32 v8, |v0|, s29, v11
	v_fma_f32 v8, |v0|, v8, s30
	;; [unrolled: 1-line block ×6, first 2 shown]
	v_fma_f32 v8, |v0|, v8, |v0|
	v_mul_f32_e32 v9, 0xbfb8aa3b, v8
	v_fma_f32 v15, v8, s36, -v9
	v_rndne_f32_e32 v16, v9
	v_fmac_f32_e32 v15, 0xb2a5705f, v8
	v_sub_f32_e32 v9, v9, v16
	v_add_f32_e32 v9, v9, v15
	v_cvt_i32_f32_e32 v15, v16
	v_exp_f32_e32 v9, v9
	v_cmp_nlt_f32_e32 vcc, s37, v8
	v_ldexp_f32 v9, v9, v15
	s_nop 0
	v_cndmask_b32_e32 v9, 0, v9, vcc
	v_cmp_ngt_f32_e32 vcc, s38, v8
	s_nop 1
	v_cndmask_b32_e32 v8, v12, v9, vcc
	v_sub_f32_e32 v15, 1.0, v8
.LBB452_11:                             ;   in Loop: Header=BB452_9 Depth=1
	s_or_saveexec_b64 s[14:15], s[14:15]
	v_pk_mul_f32 v[8:9], v[0:1], v[0:1]
	s_xor_b64 exec, exec, s[14:15]
	s_cbranch_execz .LBB452_8
; %bb.12:                               ;   in Loop: Header=BB452_9 Depth=1
	v_fmamk_f32 v15, v8, 0xba1345e1, v10
	v_fmaak_f32 v15, v8, v15, 0xbcdac9b8
	v_fmaak_f32 v15, v8, v15, 0x3de703be
	;; [unrolled: 1-line block ×4, first 2 shown]
	v_fma_f32 v15, |v0|, v8, |v0|
	s_branch .LBB452_8
.LBB452_13:
	s_endpgm
	.section	.rodata,"a",@progbits
	.p2align	6, 0x0
	.amdhsa_kernel _ZN5aiter23act_and_mul_bias_kernelIDF16_DF16_ifTnPFfRKT2_EXadL_ZNS_11gelu_kernelIfEEfRKT_EELi2EEEvPT0_PS8_PKT1_PS2_il
		.amdhsa_group_segment_fixed_size 0
		.amdhsa_private_segment_fixed_size 0
		.amdhsa_kernarg_size 304
		.amdhsa_user_sgpr_count 2
		.amdhsa_user_sgpr_dispatch_ptr 0
		.amdhsa_user_sgpr_queue_ptr 0
		.amdhsa_user_sgpr_kernarg_segment_ptr 1
		.amdhsa_user_sgpr_dispatch_id 0
		.amdhsa_user_sgpr_kernarg_preload_length 0
		.amdhsa_user_sgpr_kernarg_preload_offset 0
		.amdhsa_user_sgpr_private_segment_size 0
		.amdhsa_uses_dynamic_stack 0
		.amdhsa_enable_private_segment 0
		.amdhsa_system_sgpr_workgroup_id_x 1
		.amdhsa_system_sgpr_workgroup_id_y 0
		.amdhsa_system_sgpr_workgroup_id_z 0
		.amdhsa_system_sgpr_workgroup_info 0
		.amdhsa_system_vgpr_workitem_id 0
		.amdhsa_next_free_vgpr 20
		.amdhsa_next_free_sgpr 42
		.amdhsa_accum_offset 20
		.amdhsa_reserve_vcc 1
		.amdhsa_float_round_mode_32 0
		.amdhsa_float_round_mode_16_64 0
		.amdhsa_float_denorm_mode_32 3
		.amdhsa_float_denorm_mode_16_64 3
		.amdhsa_dx10_clamp 1
		.amdhsa_ieee_mode 1
		.amdhsa_fp16_overflow 0
		.amdhsa_tg_split 0
		.amdhsa_exception_fp_ieee_invalid_op 0
		.amdhsa_exception_fp_denorm_src 0
		.amdhsa_exception_fp_ieee_div_zero 0
		.amdhsa_exception_fp_ieee_overflow 0
		.amdhsa_exception_fp_ieee_underflow 0
		.amdhsa_exception_fp_ieee_inexact 0
		.amdhsa_exception_int_div_zero 0
	.end_amdhsa_kernel
	.section	.text._ZN5aiter23act_and_mul_bias_kernelIDF16_DF16_ifTnPFfRKT2_EXadL_ZNS_11gelu_kernelIfEEfRKT_EELi2EEEvPT0_PS8_PKT1_PS2_il,"axG",@progbits,_ZN5aiter23act_and_mul_bias_kernelIDF16_DF16_ifTnPFfRKT2_EXadL_ZNS_11gelu_kernelIfEEfRKT_EELi2EEEvPT0_PS8_PKT1_PS2_il,comdat
.Lfunc_end452:
	.size	_ZN5aiter23act_and_mul_bias_kernelIDF16_DF16_ifTnPFfRKT2_EXadL_ZNS_11gelu_kernelIfEEfRKT_EELi2EEEvPT0_PS8_PKT1_PS2_il, .Lfunc_end452-_ZN5aiter23act_and_mul_bias_kernelIDF16_DF16_ifTnPFfRKT2_EXadL_ZNS_11gelu_kernelIfEEfRKT_EELi2EEEvPT0_PS8_PKT1_PS2_il
                                        ; -- End function
	.section	.AMDGPU.csdata,"",@progbits
; Kernel info:
; codeLenInByte = 1256
; NumSgprs: 48
; NumVgprs: 20
; NumAgprs: 0
; TotalNumVgprs: 20
; ScratchSize: 0
; MemoryBound: 0
; FloatMode: 240
; IeeeMode: 1
; LDSByteSize: 0 bytes/workgroup (compile time only)
; SGPRBlocks: 5
; VGPRBlocks: 2
; NumSGPRsForWavesPerEU: 48
; NumVGPRsForWavesPerEU: 20
; AccumOffset: 20
; Occupancy: 8
; WaveLimiterHint : 0
; COMPUTE_PGM_RSRC2:SCRATCH_EN: 0
; COMPUTE_PGM_RSRC2:USER_SGPR: 2
; COMPUTE_PGM_RSRC2:TRAP_HANDLER: 0
; COMPUTE_PGM_RSRC2:TGID_X_EN: 1
; COMPUTE_PGM_RSRC2:TGID_Y_EN: 0
; COMPUTE_PGM_RSRC2:TGID_Z_EN: 0
; COMPUTE_PGM_RSRC2:TIDIG_COMP_CNT: 0
; COMPUTE_PGM_RSRC3_GFX90A:ACCUM_OFFSET: 4
; COMPUTE_PGM_RSRC3_GFX90A:TG_SPLIT: 0
	.section	.text._ZN5aiter23act_and_mul_bias_kernelIDF16_DF16_ifTnPFfRKT2_EXadL_ZNS_11gelu_kernelIfEEfRKT_EELi1EEEvPT0_PS8_PKT1_PS2_il,"axG",@progbits,_ZN5aiter23act_and_mul_bias_kernelIDF16_DF16_ifTnPFfRKT2_EXadL_ZNS_11gelu_kernelIfEEfRKT_EELi1EEEvPT0_PS8_PKT1_PS2_il,comdat
	.protected	_ZN5aiter23act_and_mul_bias_kernelIDF16_DF16_ifTnPFfRKT2_EXadL_ZNS_11gelu_kernelIfEEfRKT_EELi1EEEvPT0_PS8_PKT1_PS2_il ; -- Begin function _ZN5aiter23act_and_mul_bias_kernelIDF16_DF16_ifTnPFfRKT2_EXadL_ZNS_11gelu_kernelIfEEfRKT_EELi1EEEvPT0_PS8_PKT1_PS2_il
	.globl	_ZN5aiter23act_and_mul_bias_kernelIDF16_DF16_ifTnPFfRKT2_EXadL_ZNS_11gelu_kernelIfEEfRKT_EELi1EEEvPT0_PS8_PKT1_PS2_il
	.p2align	8
	.type	_ZN5aiter23act_and_mul_bias_kernelIDF16_DF16_ifTnPFfRKT2_EXadL_ZNS_11gelu_kernelIfEEfRKT_EELi1EEEvPT0_PS8_PKT1_PS2_il,@function
_ZN5aiter23act_and_mul_bias_kernelIDF16_DF16_ifTnPFfRKT2_EXadL_ZNS_11gelu_kernelIfEEfRKT_EELi1EEEvPT0_PS8_PKT1_PS2_il: ; @_ZN5aiter23act_and_mul_bias_kernelIDF16_DF16_ifTnPFfRKT2_EXadL_ZNS_11gelu_kernelIfEEfRKT_EELi1EEEvPT0_PS8_PKT1_PS2_il
; %bb.0:
	s_load_dword s20, s[0:1], 0x20
	s_load_dwordx2 s[4:5], s[0:1], 0x10
	s_load_dwordx2 s[14:15], s[0:1], 0x28
	s_mov_b32 s3, 0
	s_lshl_b64 s[6:7], s[2:3], 2
	s_waitcnt lgkmcnt(0)
	s_ashr_i32 s21, s20, 31
	s_add_u32 s4, s4, s6
	s_addc_u32 s5, s5, s7
	s_add_i32 s3, s20, 1
	s_lshr_b32 s10, s3, 31
	s_load_dword s6, s[4:5], 0x0
	s_load_dwordx2 s[8:9], s[0:1], 0x0
	s_add_i32 s3, s3, s10
	s_lshl_b32 s3, s3, 1
	s_and_b32 s10, s3, -4
	s_mul_hi_u32 s3, s20, s2
	s_mul_i32 s11, s21, s2
	s_add_i32 s17, s3, s11
	s_mul_i32 s16, s20, s2
	s_waitcnt lgkmcnt(0)
	s_ashr_i32 s7, s6, 31
	s_lshl_b64 s[16:17], s[16:17], 1
	v_mov_b64_e32 v[2:3], s[14:15]
	v_cmp_gt_i64_e64 s[4:5], s[6:7], -1
	s_add_u32 s8, s8, s16
	v_cmp_lt_i64_e32 vcc, s[6:7], v[2:3]
	s_addc_u32 s3, s9, s17
	s_and_b64 s[4:5], s[4:5], vcc
	s_mov_b64 s[12:13], -1
	s_and_b32 s9, s3, 0xffff
	s_and_b64 vcc, exec, s[4:5]
	v_cmp_gt_i32_e64 s[4:5], s20, v0
	s_cbranch_vccnz .LBB453_5
; %bb.1:
	s_and_saveexec_b64 s[12:13], s[4:5]
	s_cbranch_execz .LBB453_4
; %bb.2:
	s_load_dword s3, s[0:1], 0x3c
	v_mov_b32_e32 v1, 0
	s_mov_b32 s5, 0
	v_lshlrev_b32_e32 v4, 1, v0
	s_mov_b64 s[14:15], 0
	s_waitcnt lgkmcnt(0)
	s_and_b32 s4, s3, 0xffff
	s_lshl_b32 s3, s4, 1
	s_mov_b32 s11, 0x20000
	v_mov_b64_e32 v[2:3], v[0:1]
.LBB453_3:                              ; =>This Inner Loop Header: Depth=1
	v_lshl_add_u64 v[2:3], v[2:3], 0, s[4:5]
	v_cmp_le_i64_e32 vcc, s[20:21], v[2:3]
	buffer_store_short v1, v4, s[8:11], 0 offen
	s_or_b64 s[14:15], vcc, s[14:15]
	v_add_u32_e32 v4, s3, v4
	s_andn2_b64 exec, exec, s[14:15]
	s_cbranch_execnz .LBB453_3
.LBB453_4:
	s_or_b64 exec, exec, s[12:13]
	s_mov_b64 s[12:13], 0
.LBB453_5:
	s_andn2_b64 vcc, exec, s[12:13]
	s_cbranch_vccnz .LBB453_13
; %bb.6:
	v_cmp_gt_i32_e32 vcc, s20, v0
	s_and_saveexec_b64 s[4:5], vcc
	s_cbranch_execz .LBB453_13
; %bb.7:
	s_load_dwordx2 s[12:13], s[0:1], 0x8
	s_load_dwordx2 s[4:5], s[0:1], 0x18
	s_mul_hi_i32 s7, s20, s6
	s_mul_i32 s6, s20, s6
	s_lshl_b64 s[6:7], s[6:7], 3
	s_load_dword s14, s[0:1], 0x3c
	s_waitcnt lgkmcnt(0)
	s_add_u32 s4, s4, s6
	s_addc_u32 s3, s5, s7
	s_lshl_b64 s[0:1], s[20:21], 2
	s_add_u32 s0, s4, s0
	s_addc_u32 s1, s3, s1
	s_and_b32 s5, s3, 0xffff
	s_mul_i32 s3, s2, s21
	s_mul_hi_u32 s15, s2, s20
	s_add_i32 s3, s15, s3
	s_mul_i32 s2, s2, s20
	s_lshl_b32 s6, s20, 2
	s_and_b32 s1, s1, 0xffff
	s_lshl_b64 s[2:3], s[2:3], 2
	s_add_u32 s12, s12, s2
	s_addc_u32 s13, s13, s3
	s_lshl_b64 s[2:3], s[20:21], 1
	s_add_u32 s16, s12, s2
	s_mov_b32 s11, 0x20000
	s_addc_u32 s2, s13, s3
	s_and_b32 s22, s14, 0xffff
                                        ; implicit-def: $vgpr5
                                        ; implicit-def: $vgpr5
	;; [unrolled: 1-line block ×4, first 2 shown]
	s_mov_b32 s7, s11
	s_and_b32 s13, s13, 0xffff
	s_mov_b64 s[18:19], s[10:11]
	s_and_b32 s17, s2, 0xffff
	s_mov_b32 s23, 0
	v_mov_b32_e32 v1, 0
	v_lshlrev_b32_e32 v2, 2, v0
	s_lshl_b32 s26, s22, 2
	v_lshlrev_b32_e32 v3, 1, v0
	s_lshl_b32 s27, s22, 1
	s_mov_b64 s[24:25], 0
	s_mov_b32 s14, s10
	s_mov_b32 s15, s11
	s_mov_b32 s28, 0x378e98ab
	s_mov_b32 s29, 0x3b7cd369
	s_mov_b32 s30, 0xbcc618b2
	s_mov_b32 s31, 0x3dda74e4
	s_mov_b32 s33, 0x3f228afd
	s_mov_b32 s34, 0x3e03c728
	s_mov_b32 s35, 0xbfb8aa3b
	s_mov_b32 s36, 0x42ce8ed0
	s_mov_b32 s37, 0xc2b17218
	v_mov_b32_e32 v4, 0x3ba10414
	s_brev_b32 s38, -2
	v_mov_b32_e32 v5, 0xb9c68948
	v_mov_b32_e32 v6, 0x7f800000
	s_branch .LBB453_9
.LBB453_8:                              ;   in Loop: Header=BB453_9 Depth=1
	s_or_b64 exec, exec, s[2:3]
	v_cvt_f32_f16_e32 v7, v7
	v_bfi_b32 v10, s38, v11, v10
	v_mul_f32_e32 v9, 0.5, v9
	v_add_f32_e32 v10, 1.0, v10
	s_waitcnt vmcnt(0)
	v_add_f32_e32 v7, v7, v8
	v_mul_f32_e32 v8, v9, v10
	v_lshl_add_u64 v[0:1], v[0:1], 0, s[22:23]
	v_fma_mixlo_f16 v7, v7, v8, 0
	v_cmp_le_i64_e32 vcc, s[20:21], v[0:1]
	buffer_store_short v7, v3, s[8:11], 0 offen
	v_add_u32_e32 v2, s26, v2
	s_or_b64 s[24:25], vcc, s[24:25]
	v_add_u32_e32 v3, s27, v3
	s_andn2_b64 exec, exec, s[24:25]
	s_cbranch_execz .LBB453_13
.LBB453_9:                              ; =>This Inner Loop Header: Depth=1
	buffer_load_ushort v9, v3, s[12:15], 0 offen
	buffer_load_ushort v7, v3, s[16:19], 0 offen
	buffer_load_dword v10, v2, s[4:7], 0 offen
	s_mov_b32 s2, s6
	s_mov_b32 s3, s7
	buffer_load_dword v8, v2, s[0:3], 0 offen
                                        ; implicit-def: $vgpr11
	s_waitcnt vmcnt(3)
	v_cvt_f32_f16_e32 v9, v9
	s_waitcnt vmcnt(1)
	v_add_f32_e32 v9, v9, v10
	v_mul_f32_e32 v10, 0x3f3504f3, v9
	v_cmp_nlt_f32_e64 s[2:3], |v10|, 1.0
	s_and_saveexec_b64 s[40:41], s[2:3]
	s_xor_b64 s[2:3], exec, s[40:41]
	s_cbranch_execz .LBB453_11
; %bb.10:                               ;   in Loop: Header=BB453_9 Depth=1
	v_fma_f32 v11, |v10|, s28, v5
	v_fma_f32 v11, |v10|, v11, s29
	;; [unrolled: 1-line block ×6, first 2 shown]
	v_fma_f32 v11, |v10|, v11, |v10|
	v_mul_f32_e32 v12, 0xbfb8aa3b, v11
	v_fma_f32 v13, v11, s35, -v12
	v_rndne_f32_e32 v14, v12
	v_fmac_f32_e32 v13, 0xb2a5705f, v11
	v_sub_f32_e32 v12, v12, v14
	v_add_f32_e32 v12, v12, v13
	v_cvt_i32_f32_e32 v13, v14
	v_exp_f32_e32 v12, v12
	v_cmp_nlt_f32_e32 vcc, s36, v11
	v_ldexp_f32 v12, v12, v13
	s_nop 0
	v_cndmask_b32_e32 v12, 0, v12, vcc
	v_cmp_ngt_f32_e32 vcc, s37, v11
	s_nop 1
	v_cndmask_b32_e32 v11, v6, v12, vcc
	v_sub_f32_e32 v11, 1.0, v11
.LBB453_11:                             ;   in Loop: Header=BB453_9 Depth=1
	s_andn2_saveexec_b64 s[2:3], s[2:3]
	s_cbranch_execz .LBB453_8
; %bb.12:                               ;   in Loop: Header=BB453_9 Depth=1
	v_mul_f32_e32 v11, v10, v10
	v_fmamk_f32 v12, v11, 0xba1345e1, v4
	v_fmaak_f32 v12, v11, v12, 0xbcdac9b8
	v_fmaak_f32 v12, v11, v12, 0x3de703be
	;; [unrolled: 1-line block ×4, first 2 shown]
	v_fma_f32 v11, |v10|, v11, |v10|
	s_branch .LBB453_8
.LBB453_13:
	s_endpgm
	.section	.rodata,"a",@progbits
	.p2align	6, 0x0
	.amdhsa_kernel _ZN5aiter23act_and_mul_bias_kernelIDF16_DF16_ifTnPFfRKT2_EXadL_ZNS_11gelu_kernelIfEEfRKT_EELi1EEEvPT0_PS8_PKT1_PS2_il
		.amdhsa_group_segment_fixed_size 0
		.amdhsa_private_segment_fixed_size 0
		.amdhsa_kernarg_size 304
		.amdhsa_user_sgpr_count 2
		.amdhsa_user_sgpr_dispatch_ptr 0
		.amdhsa_user_sgpr_queue_ptr 0
		.amdhsa_user_sgpr_kernarg_segment_ptr 1
		.amdhsa_user_sgpr_dispatch_id 0
		.amdhsa_user_sgpr_kernarg_preload_length 0
		.amdhsa_user_sgpr_kernarg_preload_offset 0
		.amdhsa_user_sgpr_private_segment_size 0
		.amdhsa_uses_dynamic_stack 0
		.amdhsa_enable_private_segment 0
		.amdhsa_system_sgpr_workgroup_id_x 1
		.amdhsa_system_sgpr_workgroup_id_y 0
		.amdhsa_system_sgpr_workgroup_id_z 0
		.amdhsa_system_sgpr_workgroup_info 0
		.amdhsa_system_vgpr_workitem_id 0
		.amdhsa_next_free_vgpr 15
		.amdhsa_next_free_sgpr 42
		.amdhsa_accum_offset 16
		.amdhsa_reserve_vcc 1
		.amdhsa_float_round_mode_32 0
		.amdhsa_float_round_mode_16_64 0
		.amdhsa_float_denorm_mode_32 3
		.amdhsa_float_denorm_mode_16_64 3
		.amdhsa_dx10_clamp 1
		.amdhsa_ieee_mode 1
		.amdhsa_fp16_overflow 0
		.amdhsa_tg_split 0
		.amdhsa_exception_fp_ieee_invalid_op 0
		.amdhsa_exception_fp_denorm_src 0
		.amdhsa_exception_fp_ieee_div_zero 0
		.amdhsa_exception_fp_ieee_overflow 0
		.amdhsa_exception_fp_ieee_underflow 0
		.amdhsa_exception_fp_ieee_inexact 0
		.amdhsa_exception_int_div_zero 0
	.end_amdhsa_kernel
	.section	.text._ZN5aiter23act_and_mul_bias_kernelIDF16_DF16_ifTnPFfRKT2_EXadL_ZNS_11gelu_kernelIfEEfRKT_EELi1EEEvPT0_PS8_PKT1_PS2_il,"axG",@progbits,_ZN5aiter23act_and_mul_bias_kernelIDF16_DF16_ifTnPFfRKT2_EXadL_ZNS_11gelu_kernelIfEEfRKT_EELi1EEEvPT0_PS8_PKT1_PS2_il,comdat
.Lfunc_end453:
	.size	_ZN5aiter23act_and_mul_bias_kernelIDF16_DF16_ifTnPFfRKT2_EXadL_ZNS_11gelu_kernelIfEEfRKT_EELi1EEEvPT0_PS8_PKT1_PS2_il, .Lfunc_end453-_ZN5aiter23act_and_mul_bias_kernelIDF16_DF16_ifTnPFfRKT2_EXadL_ZNS_11gelu_kernelIfEEfRKT_EELi1EEEvPT0_PS8_PKT1_PS2_il
                                        ; -- End function
	.section	.AMDGPU.csdata,"",@progbits
; Kernel info:
; codeLenInByte = 964
; NumSgprs: 48
; NumVgprs: 15
; NumAgprs: 0
; TotalNumVgprs: 15
; ScratchSize: 0
; MemoryBound: 0
; FloatMode: 240
; IeeeMode: 1
; LDSByteSize: 0 bytes/workgroup (compile time only)
; SGPRBlocks: 5
; VGPRBlocks: 1
; NumSGPRsForWavesPerEU: 48
; NumVGPRsForWavesPerEU: 15
; AccumOffset: 16
; Occupancy: 8
; WaveLimiterHint : 0
; COMPUTE_PGM_RSRC2:SCRATCH_EN: 0
; COMPUTE_PGM_RSRC2:USER_SGPR: 2
; COMPUTE_PGM_RSRC2:TRAP_HANDLER: 0
; COMPUTE_PGM_RSRC2:TGID_X_EN: 1
; COMPUTE_PGM_RSRC2:TGID_Y_EN: 0
; COMPUTE_PGM_RSRC2:TGID_Z_EN: 0
; COMPUTE_PGM_RSRC2:TIDIG_COMP_CNT: 0
; COMPUTE_PGM_RSRC3_GFX90A:ACCUM_OFFSET: 3
; COMPUTE_PGM_RSRC3_GFX90A:TG_SPLIT: 0
	.section	.text._ZN5aiter23act_and_mul_bias_kernelIttifTnPFfRKT2_EXadL_ZNS_11gelu_kernelIfEEfRKT_EELi32EEEvPT0_PS8_PKT1_PS2_il,"axG",@progbits,_ZN5aiter23act_and_mul_bias_kernelIttifTnPFfRKT2_EXadL_ZNS_11gelu_kernelIfEEfRKT_EELi32EEEvPT0_PS8_PKT1_PS2_il,comdat
	.protected	_ZN5aiter23act_and_mul_bias_kernelIttifTnPFfRKT2_EXadL_ZNS_11gelu_kernelIfEEfRKT_EELi32EEEvPT0_PS8_PKT1_PS2_il ; -- Begin function _ZN5aiter23act_and_mul_bias_kernelIttifTnPFfRKT2_EXadL_ZNS_11gelu_kernelIfEEfRKT_EELi32EEEvPT0_PS8_PKT1_PS2_il
	.globl	_ZN5aiter23act_and_mul_bias_kernelIttifTnPFfRKT2_EXadL_ZNS_11gelu_kernelIfEEfRKT_EELi32EEEvPT0_PS8_PKT1_PS2_il
	.p2align	8
	.type	_ZN5aiter23act_and_mul_bias_kernelIttifTnPFfRKT2_EXadL_ZNS_11gelu_kernelIfEEfRKT_EELi32EEEvPT0_PS8_PKT1_PS2_il,@function
_ZN5aiter23act_and_mul_bias_kernelIttifTnPFfRKT2_EXadL_ZNS_11gelu_kernelIfEEfRKT_EELi32EEEvPT0_PS8_PKT1_PS2_il: ; @_ZN5aiter23act_and_mul_bias_kernelIttifTnPFfRKT2_EXadL_ZNS_11gelu_kernelIfEEfRKT_EELi32EEEvPT0_PS8_PKT1_PS2_il
; %bb.0:
	s_load_dword s24, s[0:1], 0x20
	s_load_dwordx2 s[4:5], s[0:1], 0x10
	s_load_dwordx2 s[12:13], s[0:1], 0x28
	s_mov_b32 s3, 0
	s_lshl_b64 s[6:7], s[2:3], 2
	s_waitcnt lgkmcnt(0)
	s_ashr_i32 s25, s24, 31
	s_add_u32 s4, s4, s6
	s_addc_u32 s5, s5, s7
	s_add_i32 s3, s24, 1
	s_load_dword s8, s[4:5], 0x0
	s_load_dwordx2 s[14:15], s[0:1], 0x0
	s_lshr_b32 s4, s3, 31
	s_add_i32 s3, s3, s4
	s_lshl_b32 s3, s3, 1
	s_and_b32 s6, s3, -4
	s_mul_hi_u32 s3, s24, s2
	s_mul_i32 s4, s25, s2
	s_add_i32 s5, s3, s4
	s_mul_i32 s4, s24, s2
	s_waitcnt lgkmcnt(0)
	s_ashr_i32 s9, s8, 31
	s_lshl_b64 s[4:5], s[4:5], 1
	v_mov_b64_e32 v[2:3], s[12:13]
	v_cmp_gt_i64_e64 s[16:17], s[8:9], -1
	s_add_u32 s4, s14, s4
	v_cmp_lt_i64_e32 vcc, s[8:9], v[2:3]
	s_addc_u32 s3, s15, s5
	s_and_b64 s[12:13], s[16:17], vcc
	s_mov_b64 s[10:11], -1
	s_and_b32 s5, s3, 0xffff
	s_and_b64 vcc, exec, s[12:13]
	v_lshlrev_b32_e32 v96, 5, v0
	s_cbranch_vccnz .LBB454_5
; %bb.1:
	v_cmp_gt_i32_e32 vcc, s24, v96
	s_and_saveexec_b64 s[10:11], vcc
	s_cbranch_execz .LBB454_4
; %bb.2:
	s_load_dword s3, s[0:1], 0x3c
	s_mov_b32 s13, 0
	s_mov_b32 s16, s13
	;; [unrolled: 1-line block ×3, first 2 shown]
	v_mov_b32_e32 v97, 0
	v_lshlrev_b32_e32 v6, 6, v0
	s_waitcnt lgkmcnt(0)
	s_and_b32 s3, s3, 0xffff
	s_mov_b32 s18, s13
	s_mov_b32 s19, s13
	v_mov_b64_e32 v[0:1], s[16:17]
	s_lshl_b32 s12, s3, 5
	s_lshl_b32 s3, s3, 6
	s_mov_b64 s[14:15], 0
	s_mov_b32 s7, 0x20000
	v_mov_b64_e32 v[2:3], s[18:19]
	v_mov_b64_e32 v[4:5], v[96:97]
.LBB454_3:                              ; =>This Inner Loop Header: Depth=1
	v_lshl_add_u64 v[4:5], s[12:13], 0, v[4:5]
	v_cmp_le_i64_e32 vcc, s[24:25], v[4:5]
	buffer_store_dwordx4 v[0:3], v6, s[4:7], 0 offen
	buffer_store_dwordx4 v[0:3], v6, s[4:7], 16 offen
	;; [unrolled: 1-line block ×4, first 2 shown]
	s_or_b64 s[14:15], vcc, s[14:15]
	v_add_u32_e32 v6, s3, v6
	s_andn2_b64 exec, exec, s[14:15]
	s_cbranch_execnz .LBB454_3
.LBB454_4:
	s_or_b64 exec, exec, s[10:11]
	s_mov_b64 s[10:11], 0
.LBB454_5:
	s_andn2_b64 vcc, exec, s[10:11]
	s_cbranch_vccnz .LBB454_137
; %bb.6:
	v_cmp_gt_i32_e32 vcc, s24, v96
	s_and_saveexec_b64 s[10:11], vcc
	s_cbranch_execz .LBB454_137
; %bb.7:
	s_load_dwordx2 s[10:11], s[0:1], 0x18
	s_load_dwordx2 s[14:15], s[0:1], 0x8
	s_mul_hi_i32 s9, s24, s8
	s_mul_i32 s8, s24, s8
	s_lshl_b64 s[8:9], s[8:9], 3
	s_waitcnt lgkmcnt(0)
	s_add_u32 s8, s10, s8
	s_addc_u32 s3, s11, s9
	s_lshl_b64 s[10:11], s[24:25], 2
	s_add_u32 s12, s8, s10
	s_addc_u32 s13, s3, s11
	s_and_b32 s9, s3, 0xffff
	s_mul_i32 s3, s2, s25
	s_mul_hi_u32 s16, s2, s24
	s_add_i32 s3, s16, s3
	s_mul_i32 s2, s2, s24
	s_lshl_b32 s10, s24, 2
	s_and_b32 s13, s13, 0xffff
	s_lshl_b64 s[2:3], s[2:3], 2
	s_add_u32 s16, s14, s2
	s_addc_u32 s14, s15, s3
	s_lshl_b64 s[2:3], s[24:25], 1
	s_add_u32 s20, s16, s2
	s_addc_u32 s2, s14, s3
	s_and_b32 s17, s14, 0xffff
	s_and_b32 s21, s2, 0xffff
	s_mov_b32 s7, 0x20000
	s_add_u32 s0, s0, 48
	s_mov_b32 s11, s7
	s_mov_b64 s[22:23], s[6:7]
	v_mov_b32_e32 v97, 0
	s_addc_u32 s1, s1, 0
	s_mov_b64 s[2:3], 0
	s_mov_b32 s18, s6
	s_mov_b32 s19, s7
	;; [unrolled: 1-line block ×3, first 2 shown]
	s_movk_i32 s28, 0x50
	s_movk_i32 s29, 0x60
	;; [unrolled: 1-line block ×3, first 2 shown]
	s_mov_b32 s31, 0x378e98ab
	s_mov_b32 s33, 0x3b7cd369
	;; [unrolled: 1-line block ×9, first 2 shown]
	v_mov_b32_e32 v98, 0x3ba10414
	s_brev_b32 s41, -2
	s_mov_b32 s42, 0x7060302
	v_mov_b32_e32 v99, 0xb9c68948
	v_mov_b32_e32 v100, 0x7f800000
                                        ; implicit-def: $vgpr0
                                        ; implicit-def: $vgpr0
	;; [unrolled: 1-line block ×4, first 2 shown]
	s_branch .LBB454_9
.LBB454_8:                              ;   in Loop: Header=BB454_9 Depth=1
	s_or_b64 exec, exec, s[14:15]
	v_bfi_b32 v8, s41, v9, v8
	v_mul_f32_e32 v2, 0.5, v2
	v_add_f32_e32 v8, 1.0, v8
	v_mul_f32_e32 v2, v2, v8
	v_and_b32_e32 v8, 0xffff0000, v3
	v_add_f32_e32 v7, v7, v8
	v_lshlrev_b32_e32 v3, 16, v3
	v_bfi_b32 v8, s41, v12, v11
	v_add_f32_e32 v6, v6, v3
	v_mul_f32_e32 v3, 0.5, v10
	v_add_f32_e32 v8, 1.0, v8
	v_mul_f32_e32 v3, v3, v8
	;;#ASMSTART
	v_pk_mul_f32 v[2:3], v[2:3], v[6:7]
	;;#ASMEND
	s_load_dword s14, s[0:1], 0xc
	v_perm_b32 v9, v75, v74, s42
	v_perm_b32 v8, v77, v76, s42
	;; [unrolled: 1-line block ×4, first 2 shown]
	s_waitcnt lgkmcnt(0)
	s_and_b32 s14, s14, 0xffff
	s_lshl_b32 s26, s14, 5
	v_lshl_add_u64 v[96:97], s[26:27], 0, v[96:97]
	buffer_store_dwordx4 v[6:9], v101, s[4:7], 0 offen
	v_cmp_le_i64_e32 vcc, s[24:25], v[96:97]
	v_perm_b32 v3, v3, v2, s42
	v_perm_b32 v9, v51, v50, s42
	;; [unrolled: 1-line block ×5, first 2 shown]
	buffer_store_dwordx4 v[6:9], v101, s[4:7], 16 offen
	v_perm_b32 v2, v5, v4, s42
	v_perm_b32 v1, v1, v0, s42
	;; [unrolled: 1-line block ×7, first 2 shown]
	s_or_b64 s[2:3], vcc, s[2:3]
	buffer_store_dwordx4 v[6:9], v101, s[4:7], 32 offen
	buffer_store_dwordx4 v[0:3], v101, s[4:7], 48 offen
	s_andn2_b64 exec, exec, s[2:3]
	s_cbranch_execz .LBB454_137
.LBB454_9:                              ; =>This Inner Loop Header: Depth=1
	v_lshlrev_b32_e32 v101, 1, v96
	v_lshlrev_b32_e32 v4, 2, v96
	s_mov_b32 s14, s10
	s_mov_b32 s15, s11
	buffer_load_dwordx4 v[80:83], v101, s[16:19], 0 offen
	buffer_load_dwordx4 v[56:59], v101, s[16:19], 16 offen
	;; [unrolled: 1-line block ×23, first 2 shown]
	s_nop 0
	buffer_load_dwordx4 v[4:7], v4, s[12:15], s30 offen
                                        ; implicit-def: $vgpr103
	s_waitcnt vmcnt(23)
	v_lshlrev_b32_e32 v102, 16, v80
	s_waitcnt vmcnt(15)
	v_add_f32_e32 v92, v92, v102
	v_mul_f32_e32 v102, 0x3f3504f3, v92
	v_cmp_nlt_f32_e64 s[14:15], |v102|, 1.0
	s_and_saveexec_b64 s[44:45], s[14:15]
	s_xor_b64 s[14:15], exec, s[44:45]
	s_cbranch_execz .LBB454_11
; %bb.10:                               ;   in Loop: Header=BB454_9 Depth=1
	v_fma_f32 v103, |v102|, s31, v99
	v_fma_f32 v103, |v102|, v103, s33
	;; [unrolled: 1-line block ×6, first 2 shown]
	v_fma_f32 v103, |v102|, v103, |v102|
	v_mul_f32_e32 v104, 0xbfb8aa3b, v103
	v_fma_f32 v105, v103, s38, -v104
	v_rndne_f32_e32 v106, v104
	v_fmac_f32_e32 v105, 0xb2a5705f, v103
	v_sub_f32_e32 v104, v104, v106
	v_add_f32_e32 v104, v104, v105
	v_cvt_i32_f32_e32 v105, v106
	v_exp_f32_e32 v104, v104
	v_cmp_nlt_f32_e32 vcc, s39, v103
	v_ldexp_f32 v104, v104, v105
	s_nop 0
	v_cndmask_b32_e32 v104, 0, v104, vcc
	v_cmp_ngt_f32_e32 vcc, s40, v103
	s_nop 1
	v_cndmask_b32_e32 v103, v100, v104, vcc
	v_sub_f32_e32 v103, 1.0, v103
.LBB454_11:                             ;   in Loop: Header=BB454_9 Depth=1
	s_andn2_saveexec_b64 s[14:15], s[14:15]
; %bb.12:                               ;   in Loop: Header=BB454_9 Depth=1
	v_mul_f32_e32 v103, v102, v102
	v_fmamk_f32 v104, v103, 0xba1345e1, v98
	v_fmaak_f32 v104, v103, v104, 0xbcdac9b8
	v_fmaak_f32 v104, v103, v104, 0x3de703be
	;; [unrolled: 1-line block ×4, first 2 shown]
	v_fma_f32 v103, |v102|, v103, |v102|
; %bb.13:                               ;   in Loop: Header=BB454_9 Depth=1
	s_or_b64 exec, exec, s[14:15]
	v_and_b32_e32 v80, 0xffff0000, v80
	v_add_f32_e32 v80, v93, v80
	v_mul_f32_e32 v93, 0x3f3504f3, v80
	v_cmp_nlt_f32_e64 s[14:15], |v93|, 1.0
                                        ; implicit-def: $vgpr104
	s_and_saveexec_b64 s[44:45], s[14:15]
	s_xor_b64 s[14:15], exec, s[44:45]
	s_cbranch_execz .LBB454_15
; %bb.14:                               ;   in Loop: Header=BB454_9 Depth=1
	v_fma_f32 v104, |v93|, s31, v99
	v_fma_f32 v104, |v93|, v104, s33
	;; [unrolled: 1-line block ×6, first 2 shown]
	v_fma_f32 v104, |v93|, v104, |v93|
	v_mul_f32_e32 v105, 0xbfb8aa3b, v104
	v_fma_f32 v106, v104, s38, -v105
	v_rndne_f32_e32 v107, v105
	v_fmac_f32_e32 v106, 0xb2a5705f, v104
	v_sub_f32_e32 v105, v105, v107
	v_add_f32_e32 v105, v105, v106
	v_cvt_i32_f32_e32 v106, v107
	v_exp_f32_e32 v105, v105
	v_cmp_nlt_f32_e32 vcc, s39, v104
	v_ldexp_f32 v105, v105, v106
	s_nop 0
	v_cndmask_b32_e32 v105, 0, v105, vcc
	v_cmp_ngt_f32_e32 vcc, s40, v104
	s_nop 1
	v_cndmask_b32_e32 v104, v100, v105, vcc
	v_sub_f32_e32 v104, 1.0, v104
.LBB454_15:                             ;   in Loop: Header=BB454_9 Depth=1
	s_andn2_saveexec_b64 s[14:15], s[14:15]
; %bb.16:                               ;   in Loop: Header=BB454_9 Depth=1
	v_mul_f32_e32 v104, v93, v93
	v_fmamk_f32 v105, v104, 0xba1345e1, v98
	v_fmaak_f32 v105, v104, v105, 0xbcdac9b8
	v_fmaak_f32 v105, v104, v105, 0x3de703be
	;; [unrolled: 1-line block ×4, first 2 shown]
	v_fma_f32 v104, |v93|, v104, |v93|
; %bb.17:                               ;   in Loop: Header=BB454_9 Depth=1
	s_or_b64 exec, exec, s[14:15]
	v_bfi_b32 v102, s41, v103, v102
	v_mul_f32_e32 v92, 0.5, v92
	v_add_f32_e32 v102, 1.0, v102
	v_mul_f32_e32 v92, v92, v102
	v_and_b32_e32 v102, 0xffff0000, v72
	v_lshlrev_b32_e32 v72, 16, v72
	s_waitcnt vmcnt(7)
	v_add_f32_e32 v88, v88, v72
	v_mul_f32_e32 v72, 0.5, v80
	v_bfi_b32 v80, s41, v104, v93
	v_add_f32_e32 v80, 1.0, v80
	v_mul_f32_e32 v93, v72, v80
	v_lshlrev_b32_e32 v72, 16, v81
	v_add_f32_e32 v72, v94, v72
	v_mul_f32_e32 v80, 0x3f3504f3, v72
	v_add_f32_e32 v89, v89, v102
	v_cmp_nlt_f32_e64 s[14:15], |v80|, 1.0
	;;#ASMSTART
	v_pk_mul_f32 v[88:89], v[92:93], v[88:89]
	;;#ASMEND
                                        ; implicit-def: $vgpr92
	s_and_saveexec_b64 s[44:45], s[14:15]
	s_xor_b64 s[14:15], exec, s[44:45]
	s_cbranch_execz .LBB454_19
; %bb.18:                               ;   in Loop: Header=BB454_9 Depth=1
	v_fma_f32 v92, |v80|, s31, v99
	v_fma_f32 v92, |v80|, v92, s33
	;; [unrolled: 1-line block ×6, first 2 shown]
	v_fma_f32 v92, |v80|, v92, |v80|
	v_mul_f32_e32 v93, 0xbfb8aa3b, v92
	v_fma_f32 v94, v92, s38, -v93
	v_rndne_f32_e32 v102, v93
	v_fmac_f32_e32 v94, 0xb2a5705f, v92
	v_sub_f32_e32 v93, v93, v102
	v_add_f32_e32 v93, v93, v94
	v_cvt_i32_f32_e32 v94, v102
	v_exp_f32_e32 v93, v93
	v_cmp_nlt_f32_e32 vcc, s39, v92
	v_ldexp_f32 v93, v93, v94
	s_nop 0
	v_cndmask_b32_e32 v93, 0, v93, vcc
	v_cmp_ngt_f32_e32 vcc, s40, v92
	s_nop 1
	v_cndmask_b32_e32 v92, v100, v93, vcc
	v_sub_f32_e32 v92, 1.0, v92
.LBB454_19:                             ;   in Loop: Header=BB454_9 Depth=1
	s_andn2_saveexec_b64 s[14:15], s[14:15]
; %bb.20:                               ;   in Loop: Header=BB454_9 Depth=1
	v_mul_f32_e32 v92, v80, v80
	v_fmamk_f32 v93, v92, 0xba1345e1, v98
	v_fmaak_f32 v93, v92, v93, 0xbcdac9b8
	v_fmaak_f32 v93, v92, v93, 0x3de703be
	;; [unrolled: 1-line block ×4, first 2 shown]
	v_fma_f32 v92, |v80|, v92, |v80|
; %bb.21:                               ;   in Loop: Header=BB454_9 Depth=1
	s_or_b64 exec, exec, s[14:15]
	v_and_b32_e32 v81, 0xffff0000, v81
	v_add_f32_e32 v81, v95, v81
	v_mul_f32_e32 v93, 0x3f3504f3, v81
	v_cmp_nlt_f32_e64 s[14:15], |v93|, 1.0
                                        ; implicit-def: $vgpr94
	s_and_saveexec_b64 s[44:45], s[14:15]
	s_xor_b64 s[14:15], exec, s[44:45]
	s_cbranch_execz .LBB454_23
; %bb.22:                               ;   in Loop: Header=BB454_9 Depth=1
	v_fma_f32 v94, |v93|, s31, v99
	v_fma_f32 v94, |v93|, v94, s33
	;; [unrolled: 1-line block ×6, first 2 shown]
	v_fma_f32 v94, |v93|, v94, |v93|
	v_mul_f32_e32 v95, 0xbfb8aa3b, v94
	v_fma_f32 v102, v94, s38, -v95
	v_rndne_f32_e32 v103, v95
	v_fmac_f32_e32 v102, 0xb2a5705f, v94
	v_sub_f32_e32 v95, v95, v103
	v_add_f32_e32 v95, v95, v102
	v_cvt_i32_f32_e32 v102, v103
	v_exp_f32_e32 v95, v95
	v_cmp_nlt_f32_e32 vcc, s39, v94
	v_ldexp_f32 v95, v95, v102
	s_nop 0
	v_cndmask_b32_e32 v95, 0, v95, vcc
	v_cmp_ngt_f32_e32 vcc, s40, v94
	s_nop 1
	v_cndmask_b32_e32 v94, v100, v95, vcc
	v_sub_f32_e32 v94, 1.0, v94
.LBB454_23:                             ;   in Loop: Header=BB454_9 Depth=1
	s_andn2_saveexec_b64 s[14:15], s[14:15]
; %bb.24:                               ;   in Loop: Header=BB454_9 Depth=1
	v_mul_f32_e32 v94, v93, v93
	v_fmamk_f32 v95, v94, 0xba1345e1, v98
	v_fmaak_f32 v95, v94, v95, 0xbcdac9b8
	v_fmaak_f32 v95, v94, v95, 0x3de703be
	;; [unrolled: 1-line block ×4, first 2 shown]
	v_fma_f32 v94, |v93|, v94, |v93|
; %bb.25:                               ;   in Loop: Header=BB454_9 Depth=1
	s_or_b64 exec, exec, s[14:15]
	v_bfi_b32 v80, s41, v92, v80
	v_mul_f32_e32 v72, 0.5, v72
	v_add_f32_e32 v80, 1.0, v80
	v_mul_f32_e32 v72, v72, v80
	v_and_b32_e32 v80, 0xffff0000, v73
	v_add_f32_e32 v91, v91, v80
	v_lshlrev_b32_e32 v73, 16, v73
	v_bfi_b32 v80, s41, v94, v93
	v_add_f32_e32 v90, v90, v73
	v_mul_f32_e32 v73, 0.5, v81
	v_add_f32_e32 v80, 1.0, v80
	v_mul_f32_e32 v73, v73, v80
	v_lshlrev_b32_e32 v80, 16, v82
	v_add_f32_e32 v80, v84, v80
	v_mul_f32_e32 v81, 0x3f3504f3, v80
	v_cmp_nlt_f32_e64 s[14:15], |v81|, 1.0
	;;#ASMSTART
	v_pk_mul_f32 v[72:73], v[72:73], v[90:91]
	;;#ASMEND
                                        ; implicit-def: $vgpr84
	s_and_saveexec_b64 s[44:45], s[14:15]
	s_xor_b64 s[14:15], exec, s[44:45]
	s_cbranch_execz .LBB454_27
; %bb.26:                               ;   in Loop: Header=BB454_9 Depth=1
	v_fma_f32 v84, |v81|, s31, v99
	v_fma_f32 v84, |v81|, v84, s33
	;; [unrolled: 1-line block ×6, first 2 shown]
	v_fma_f32 v84, |v81|, v84, |v81|
	v_mul_f32_e32 v90, 0xbfb8aa3b, v84
	v_fma_f32 v91, v84, s38, -v90
	v_rndne_f32_e32 v92, v90
	v_fmac_f32_e32 v91, 0xb2a5705f, v84
	v_sub_f32_e32 v90, v90, v92
	v_add_f32_e32 v90, v90, v91
	v_cvt_i32_f32_e32 v91, v92
	v_exp_f32_e32 v90, v90
	v_cmp_nlt_f32_e32 vcc, s39, v84
	v_ldexp_f32 v90, v90, v91
	s_nop 0
	v_cndmask_b32_e32 v90, 0, v90, vcc
	v_cmp_ngt_f32_e32 vcc, s40, v84
	s_nop 1
	v_cndmask_b32_e32 v84, v100, v90, vcc
	v_sub_f32_e32 v84, 1.0, v84
.LBB454_27:                             ;   in Loop: Header=BB454_9 Depth=1
	s_andn2_saveexec_b64 s[14:15], s[14:15]
; %bb.28:                               ;   in Loop: Header=BB454_9 Depth=1
	v_mul_f32_e32 v84, v81, v81
	v_fmamk_f32 v90, v84, 0xba1345e1, v98
	v_fmaak_f32 v90, v84, v90, 0xbcdac9b8
	v_fmaak_f32 v90, v84, v90, 0x3de703be
	;; [unrolled: 1-line block ×4, first 2 shown]
	v_fma_f32 v84, |v81|, v84, |v81|
; %bb.29:                               ;   in Loop: Header=BB454_9 Depth=1
	s_or_b64 exec, exec, s[14:15]
	v_and_b32_e32 v82, 0xffff0000, v82
	v_add_f32_e32 v82, v85, v82
	v_mul_f32_e32 v85, 0x3f3504f3, v82
	v_cmp_nlt_f32_e64 s[14:15], |v85|, 1.0
                                        ; implicit-def: $vgpr90
	s_and_saveexec_b64 s[44:45], s[14:15]
	s_xor_b64 s[14:15], exec, s[44:45]
	s_cbranch_execz .LBB454_31
; %bb.30:                               ;   in Loop: Header=BB454_9 Depth=1
	v_fma_f32 v90, |v85|, s31, v99
	v_fma_f32 v90, |v85|, v90, s33
	;; [unrolled: 1-line block ×6, first 2 shown]
	v_fma_f32 v90, |v85|, v90, |v85|
	v_mul_f32_e32 v91, 0xbfb8aa3b, v90
	v_fma_f32 v92, v90, s38, -v91
	v_rndne_f32_e32 v93, v91
	v_fmac_f32_e32 v92, 0xb2a5705f, v90
	v_sub_f32_e32 v91, v91, v93
	v_add_f32_e32 v91, v91, v92
	v_cvt_i32_f32_e32 v92, v93
	v_exp_f32_e32 v91, v91
	v_cmp_nlt_f32_e32 vcc, s39, v90
	v_ldexp_f32 v91, v91, v92
	s_nop 0
	v_cndmask_b32_e32 v91, 0, v91, vcc
	v_cmp_ngt_f32_e32 vcc, s40, v90
	s_nop 1
	v_cndmask_b32_e32 v90, v100, v91, vcc
	v_sub_f32_e32 v90, 1.0, v90
.LBB454_31:                             ;   in Loop: Header=BB454_9 Depth=1
	s_andn2_saveexec_b64 s[14:15], s[14:15]
; %bb.32:                               ;   in Loop: Header=BB454_9 Depth=1
	v_mul_f32_e32 v90, v85, v85
	v_fmamk_f32 v91, v90, 0xba1345e1, v98
	v_fmaak_f32 v91, v90, v91, 0xbcdac9b8
	v_fmaak_f32 v91, v90, v91, 0x3de703be
	;; [unrolled: 1-line block ×4, first 2 shown]
	v_fma_f32 v90, |v85|, v90, |v85|
; %bb.33:                               ;   in Loop: Header=BB454_9 Depth=1
	s_or_b64 exec, exec, s[14:15]
	v_bfi_b32 v81, s41, v84, v81
	v_mul_f32_e32 v80, 0.5, v80
	v_add_f32_e32 v81, 1.0, v81
	v_mul_f32_e32 v80, v80, v81
	v_and_b32_e32 v81, 0xffff0000, v74
	s_waitcnt vmcnt(6)
	v_add_f32_e32 v77, v77, v81
	v_lshlrev_b32_e32 v74, 16, v74
	v_bfi_b32 v81, s41, v90, v85
	v_add_f32_e32 v76, v76, v74
	v_mul_f32_e32 v74, 0.5, v82
	v_add_f32_e32 v81, 1.0, v81
	v_mul_f32_e32 v81, v74, v81
	v_lshlrev_b32_e32 v74, 16, v83
	v_add_f32_e32 v74, v86, v74
	;;#ASMSTART
	v_pk_mul_f32 v[76:77], v[80:81], v[76:77]
	;;#ASMEND
	v_mul_f32_e32 v80, 0x3f3504f3, v74
	v_cmp_nlt_f32_e64 s[14:15], |v80|, 1.0
                                        ; implicit-def: $vgpr81
	s_and_saveexec_b64 s[44:45], s[14:15]
	s_xor_b64 s[14:15], exec, s[44:45]
	s_cbranch_execz .LBB454_35
; %bb.34:                               ;   in Loop: Header=BB454_9 Depth=1
	v_fma_f32 v81, |v80|, s31, v99
	v_fma_f32 v81, |v80|, v81, s33
	v_fma_f32 v81, |v80|, v81, s34
	v_fma_f32 v81, |v80|, v81, s35
	v_fma_f32 v81, |v80|, v81, s36
	v_fma_f32 v81, |v80|, v81, s37
	v_fma_f32 v81, |v80|, v81, |v80|
	v_mul_f32_e32 v82, 0xbfb8aa3b, v81
	v_fma_f32 v84, v81, s38, -v82
	v_rndne_f32_e32 v85, v82
	v_fmac_f32_e32 v84, 0xb2a5705f, v81
	v_sub_f32_e32 v82, v82, v85
	v_add_f32_e32 v82, v82, v84
	v_cvt_i32_f32_e32 v84, v85
	v_exp_f32_e32 v82, v82
	v_cmp_nlt_f32_e32 vcc, s39, v81
	v_ldexp_f32 v82, v82, v84
	s_nop 0
	v_cndmask_b32_e32 v82, 0, v82, vcc
	v_cmp_ngt_f32_e32 vcc, s40, v81
	s_nop 1
	v_cndmask_b32_e32 v81, v100, v82, vcc
	v_sub_f32_e32 v81, 1.0, v81
.LBB454_35:                             ;   in Loop: Header=BB454_9 Depth=1
	s_andn2_saveexec_b64 s[14:15], s[14:15]
; %bb.36:                               ;   in Loop: Header=BB454_9 Depth=1
	v_mul_f32_e32 v81, v80, v80
	v_fmamk_f32 v82, v81, 0xba1345e1, v98
	v_fmaak_f32 v82, v81, v82, 0xbcdac9b8
	v_fmaak_f32 v82, v81, v82, 0x3de703be
	;; [unrolled: 1-line block ×4, first 2 shown]
	v_fma_f32 v81, |v80|, v81, |v80|
; %bb.37:                               ;   in Loop: Header=BB454_9 Depth=1
	s_or_b64 exec, exec, s[14:15]
	v_and_b32_e32 v82, 0xffff0000, v83
	v_add_f32_e32 v82, v87, v82
	v_mul_f32_e32 v83, 0x3f3504f3, v82
	v_cmp_nlt_f32_e64 s[14:15], |v83|, 1.0
                                        ; implicit-def: $vgpr84
	s_and_saveexec_b64 s[44:45], s[14:15]
	s_xor_b64 s[14:15], exec, s[44:45]
	s_cbranch_execz .LBB454_39
; %bb.38:                               ;   in Loop: Header=BB454_9 Depth=1
	v_fma_f32 v84, |v83|, s31, v99
	v_fma_f32 v84, |v83|, v84, s33
	;; [unrolled: 1-line block ×6, first 2 shown]
	v_fma_f32 v84, |v83|, v84, |v83|
	v_mul_f32_e32 v85, 0xbfb8aa3b, v84
	v_fma_f32 v86, v84, s38, -v85
	v_rndne_f32_e32 v87, v85
	v_fmac_f32_e32 v86, 0xb2a5705f, v84
	v_sub_f32_e32 v85, v85, v87
	v_add_f32_e32 v85, v85, v86
	v_cvt_i32_f32_e32 v86, v87
	v_exp_f32_e32 v85, v85
	v_cmp_nlt_f32_e32 vcc, s39, v84
	v_ldexp_f32 v85, v85, v86
	s_nop 0
	v_cndmask_b32_e32 v85, 0, v85, vcc
	v_cmp_ngt_f32_e32 vcc, s40, v84
	s_nop 1
	v_cndmask_b32_e32 v84, v100, v85, vcc
	v_sub_f32_e32 v84, 1.0, v84
.LBB454_39:                             ;   in Loop: Header=BB454_9 Depth=1
	s_andn2_saveexec_b64 s[14:15], s[14:15]
; %bb.40:                               ;   in Loop: Header=BB454_9 Depth=1
	v_mul_f32_e32 v84, v83, v83
	v_fmamk_f32 v85, v84, 0xba1345e1, v98
	v_fmaak_f32 v85, v84, v85, 0xbcdac9b8
	v_fmaak_f32 v85, v84, v85, 0x3de703be
	;; [unrolled: 1-line block ×4, first 2 shown]
	v_fma_f32 v84, |v83|, v84, |v83|
; %bb.41:                               ;   in Loop: Header=BB454_9 Depth=1
	s_or_b64 exec, exec, s[14:15]
	v_bfi_b32 v80, s41, v81, v80
	v_mul_f32_e32 v74, 0.5, v74
	v_add_f32_e32 v80, 1.0, v80
	v_mul_f32_e32 v74, v74, v80
	v_and_b32_e32 v80, 0xffff0000, v75
	v_add_f32_e32 v79, v79, v80
	v_lshlrev_b32_e32 v75, 16, v75
	v_bfi_b32 v80, s41, v84, v83
	v_add_f32_e32 v78, v78, v75
	v_mul_f32_e32 v75, 0.5, v82
	v_add_f32_e32 v80, 1.0, v80
	v_mul_f32_e32 v75, v75, v80
	;;#ASMSTART
	v_pk_mul_f32 v[74:75], v[74:75], v[78:79]
	;;#ASMEND
	v_lshlrev_b32_e32 v78, 16, v56
	v_add_f32_e32 v68, v68, v78
	v_mul_f32_e32 v78, 0x3f3504f3, v68
	v_cmp_nlt_f32_e64 s[14:15], |v78|, 1.0
                                        ; implicit-def: $vgpr79
	s_and_saveexec_b64 s[44:45], s[14:15]
	s_xor_b64 s[14:15], exec, s[44:45]
	s_cbranch_execz .LBB454_43
; %bb.42:                               ;   in Loop: Header=BB454_9 Depth=1
	v_fma_f32 v79, |v78|, s31, v99
	v_fma_f32 v79, |v78|, v79, s33
	;; [unrolled: 1-line block ×6, first 2 shown]
	v_fma_f32 v79, |v78|, v79, |v78|
	v_mul_f32_e32 v80, 0xbfb8aa3b, v79
	v_fma_f32 v81, v79, s38, -v80
	v_rndne_f32_e32 v82, v80
	v_fmac_f32_e32 v81, 0xb2a5705f, v79
	v_sub_f32_e32 v80, v80, v82
	v_add_f32_e32 v80, v80, v81
	v_cvt_i32_f32_e32 v81, v82
	v_exp_f32_e32 v80, v80
	v_cmp_nlt_f32_e32 vcc, s39, v79
	v_ldexp_f32 v80, v80, v81
	s_nop 0
	v_cndmask_b32_e32 v80, 0, v80, vcc
	v_cmp_ngt_f32_e32 vcc, s40, v79
	s_nop 1
	v_cndmask_b32_e32 v79, v100, v80, vcc
	v_sub_f32_e32 v79, 1.0, v79
.LBB454_43:                             ;   in Loop: Header=BB454_9 Depth=1
	s_andn2_saveexec_b64 s[14:15], s[14:15]
; %bb.44:                               ;   in Loop: Header=BB454_9 Depth=1
	v_mul_f32_e32 v79, v78, v78
	v_fmamk_f32 v80, v79, 0xba1345e1, v98
	v_fmaak_f32 v80, v79, v80, 0xbcdac9b8
	v_fmaak_f32 v80, v79, v80, 0x3de703be
	;; [unrolled: 1-line block ×4, first 2 shown]
	v_fma_f32 v79, |v78|, v79, |v78|
; %bb.45:                               ;   in Loop: Header=BB454_9 Depth=1
	s_or_b64 exec, exec, s[14:15]
	v_and_b32_e32 v56, 0xffff0000, v56
	v_add_f32_e32 v56, v69, v56
	v_mul_f32_e32 v69, 0x3f3504f3, v56
	v_cmp_nlt_f32_e64 s[14:15], |v69|, 1.0
                                        ; implicit-def: $vgpr80
	s_and_saveexec_b64 s[44:45], s[14:15]
	s_xor_b64 s[14:15], exec, s[44:45]
	s_cbranch_execz .LBB454_47
; %bb.46:                               ;   in Loop: Header=BB454_9 Depth=1
	v_fma_f32 v80, |v69|, s31, v99
	v_fma_f32 v80, |v69|, v80, s33
	;; [unrolled: 1-line block ×6, first 2 shown]
	v_fma_f32 v80, |v69|, v80, |v69|
	v_mul_f32_e32 v81, 0xbfb8aa3b, v80
	v_fma_f32 v82, v80, s38, -v81
	v_rndne_f32_e32 v83, v81
	v_fmac_f32_e32 v82, 0xb2a5705f, v80
	v_sub_f32_e32 v81, v81, v83
	v_add_f32_e32 v81, v81, v82
	v_cvt_i32_f32_e32 v82, v83
	v_exp_f32_e32 v81, v81
	v_cmp_nlt_f32_e32 vcc, s39, v80
	v_ldexp_f32 v81, v81, v82
	s_nop 0
	v_cndmask_b32_e32 v81, 0, v81, vcc
	v_cmp_ngt_f32_e32 vcc, s40, v80
	s_nop 1
	v_cndmask_b32_e32 v80, v100, v81, vcc
	v_sub_f32_e32 v80, 1.0, v80
.LBB454_47:                             ;   in Loop: Header=BB454_9 Depth=1
	s_andn2_saveexec_b64 s[14:15], s[14:15]
; %bb.48:                               ;   in Loop: Header=BB454_9 Depth=1
	v_mul_f32_e32 v80, v69, v69
	v_fmamk_f32 v81, v80, 0xba1345e1, v98
	v_fmaak_f32 v81, v80, v81, 0xbcdac9b8
	v_fmaak_f32 v81, v80, v81, 0x3de703be
	;; [unrolled: 1-line block ×4, first 2 shown]
	v_fma_f32 v80, |v69|, v80, |v69|
; %bb.49:                               ;   in Loop: Header=BB454_9 Depth=1
	s_or_b64 exec, exec, s[14:15]
	v_bfi_b32 v78, s41, v79, v78
	v_mul_f32_e32 v68, 0.5, v68
	v_add_f32_e32 v78, 1.0, v78
	v_mul_f32_e32 v68, v68, v78
	v_and_b32_e32 v78, 0xffff0000, v48
	v_lshlrev_b32_e32 v48, 16, v48
	s_waitcnt vmcnt(5)
	v_add_f32_e32 v64, v64, v48
	v_mul_f32_e32 v48, 0.5, v56
	v_bfi_b32 v56, s41, v80, v69
	v_add_f32_e32 v56, 1.0, v56
	v_mul_f32_e32 v69, v48, v56
	v_lshlrev_b32_e32 v48, 16, v57
	v_add_f32_e32 v48, v70, v48
	v_mul_f32_e32 v56, 0x3f3504f3, v48
	v_add_f32_e32 v65, v65, v78
	v_cmp_nlt_f32_e64 s[14:15], |v56|, 1.0
	;;#ASMSTART
	v_pk_mul_f32 v[64:65], v[68:69], v[64:65]
	;;#ASMEND
                                        ; implicit-def: $vgpr68
	s_and_saveexec_b64 s[44:45], s[14:15]
	s_xor_b64 s[14:15], exec, s[44:45]
	s_cbranch_execz .LBB454_51
; %bb.50:                               ;   in Loop: Header=BB454_9 Depth=1
	v_fma_f32 v68, |v56|, s31, v99
	v_fma_f32 v68, |v56|, v68, s33
	;; [unrolled: 1-line block ×6, first 2 shown]
	v_fma_f32 v68, |v56|, v68, |v56|
	v_mul_f32_e32 v69, 0xbfb8aa3b, v68
	v_fma_f32 v70, v68, s38, -v69
	v_rndne_f32_e32 v78, v69
	v_fmac_f32_e32 v70, 0xb2a5705f, v68
	v_sub_f32_e32 v69, v69, v78
	v_add_f32_e32 v69, v69, v70
	v_cvt_i32_f32_e32 v70, v78
	v_exp_f32_e32 v69, v69
	v_cmp_nlt_f32_e32 vcc, s39, v68
	v_ldexp_f32 v69, v69, v70
	s_nop 0
	v_cndmask_b32_e32 v69, 0, v69, vcc
	v_cmp_ngt_f32_e32 vcc, s40, v68
	s_nop 1
	v_cndmask_b32_e32 v68, v100, v69, vcc
	v_sub_f32_e32 v68, 1.0, v68
.LBB454_51:                             ;   in Loop: Header=BB454_9 Depth=1
	s_andn2_saveexec_b64 s[14:15], s[14:15]
; %bb.52:                               ;   in Loop: Header=BB454_9 Depth=1
	v_mul_f32_e32 v68, v56, v56
	v_fmamk_f32 v69, v68, 0xba1345e1, v98
	v_fmaak_f32 v69, v68, v69, 0xbcdac9b8
	v_fmaak_f32 v69, v68, v69, 0x3de703be
	;; [unrolled: 1-line block ×4, first 2 shown]
	v_fma_f32 v68, |v56|, v68, |v56|
; %bb.53:                               ;   in Loop: Header=BB454_9 Depth=1
	s_or_b64 exec, exec, s[14:15]
	v_and_b32_e32 v57, 0xffff0000, v57
	v_add_f32_e32 v57, v71, v57
	v_mul_f32_e32 v69, 0x3f3504f3, v57
	v_cmp_nlt_f32_e64 s[14:15], |v69|, 1.0
                                        ; implicit-def: $vgpr70
	s_and_saveexec_b64 s[44:45], s[14:15]
	s_xor_b64 s[14:15], exec, s[44:45]
	s_cbranch_execz .LBB454_55
; %bb.54:                               ;   in Loop: Header=BB454_9 Depth=1
	v_fma_f32 v70, |v69|, s31, v99
	v_fma_f32 v70, |v69|, v70, s33
	;; [unrolled: 1-line block ×6, first 2 shown]
	v_fma_f32 v70, |v69|, v70, |v69|
	v_mul_f32_e32 v71, 0xbfb8aa3b, v70
	v_fma_f32 v78, v70, s38, -v71
	v_rndne_f32_e32 v79, v71
	v_fmac_f32_e32 v78, 0xb2a5705f, v70
	v_sub_f32_e32 v71, v71, v79
	v_add_f32_e32 v71, v71, v78
	v_cvt_i32_f32_e32 v78, v79
	v_exp_f32_e32 v71, v71
	v_cmp_nlt_f32_e32 vcc, s39, v70
	v_ldexp_f32 v71, v71, v78
	s_nop 0
	v_cndmask_b32_e32 v71, 0, v71, vcc
	v_cmp_ngt_f32_e32 vcc, s40, v70
	s_nop 1
	v_cndmask_b32_e32 v70, v100, v71, vcc
	v_sub_f32_e32 v70, 1.0, v70
.LBB454_55:                             ;   in Loop: Header=BB454_9 Depth=1
	s_andn2_saveexec_b64 s[14:15], s[14:15]
; %bb.56:                               ;   in Loop: Header=BB454_9 Depth=1
	v_mul_f32_e32 v70, v69, v69
	v_fmamk_f32 v71, v70, 0xba1345e1, v98
	v_fmaak_f32 v71, v70, v71, 0xbcdac9b8
	v_fmaak_f32 v71, v70, v71, 0x3de703be
	;; [unrolled: 1-line block ×4, first 2 shown]
	v_fma_f32 v70, |v69|, v70, |v69|
; %bb.57:                               ;   in Loop: Header=BB454_9 Depth=1
	s_or_b64 exec, exec, s[14:15]
	v_bfi_b32 v56, s41, v68, v56
	v_mul_f32_e32 v48, 0.5, v48
	v_add_f32_e32 v56, 1.0, v56
	v_mul_f32_e32 v48, v48, v56
	v_and_b32_e32 v56, 0xffff0000, v49
	v_add_f32_e32 v67, v67, v56
	v_lshlrev_b32_e32 v49, 16, v49
	v_bfi_b32 v56, s41, v70, v69
	v_add_f32_e32 v66, v66, v49
	v_mul_f32_e32 v49, 0.5, v57
	v_add_f32_e32 v56, 1.0, v56
	v_mul_f32_e32 v49, v49, v56
	v_lshlrev_b32_e32 v56, 16, v58
	v_add_f32_e32 v56, v60, v56
	v_mul_f32_e32 v57, 0x3f3504f3, v56
	v_cmp_nlt_f32_e64 s[14:15], |v57|, 1.0
	;;#ASMSTART
	v_pk_mul_f32 v[48:49], v[48:49], v[66:67]
	;;#ASMEND
                                        ; implicit-def: $vgpr60
	s_and_saveexec_b64 s[44:45], s[14:15]
	s_xor_b64 s[14:15], exec, s[44:45]
	s_cbranch_execz .LBB454_59
; %bb.58:                               ;   in Loop: Header=BB454_9 Depth=1
	v_fma_f32 v60, |v57|, s31, v99
	v_fma_f32 v60, |v57|, v60, s33
	;; [unrolled: 1-line block ×6, first 2 shown]
	v_fma_f32 v60, |v57|, v60, |v57|
	v_mul_f32_e32 v66, 0xbfb8aa3b, v60
	v_fma_f32 v67, v60, s38, -v66
	v_rndne_f32_e32 v68, v66
	v_fmac_f32_e32 v67, 0xb2a5705f, v60
	v_sub_f32_e32 v66, v66, v68
	v_add_f32_e32 v66, v66, v67
	v_cvt_i32_f32_e32 v67, v68
	v_exp_f32_e32 v66, v66
	v_cmp_nlt_f32_e32 vcc, s39, v60
	v_ldexp_f32 v66, v66, v67
	s_nop 0
	v_cndmask_b32_e32 v66, 0, v66, vcc
	v_cmp_ngt_f32_e32 vcc, s40, v60
	s_nop 1
	v_cndmask_b32_e32 v60, v100, v66, vcc
	v_sub_f32_e32 v60, 1.0, v60
.LBB454_59:                             ;   in Loop: Header=BB454_9 Depth=1
	s_andn2_saveexec_b64 s[14:15], s[14:15]
; %bb.60:                               ;   in Loop: Header=BB454_9 Depth=1
	v_mul_f32_e32 v60, v57, v57
	v_fmamk_f32 v66, v60, 0xba1345e1, v98
	v_fmaak_f32 v66, v60, v66, 0xbcdac9b8
	v_fmaak_f32 v66, v60, v66, 0x3de703be
	;; [unrolled: 1-line block ×4, first 2 shown]
	v_fma_f32 v60, |v57|, v60, |v57|
; %bb.61:                               ;   in Loop: Header=BB454_9 Depth=1
	s_or_b64 exec, exec, s[14:15]
	v_and_b32_e32 v58, 0xffff0000, v58
	v_add_f32_e32 v58, v61, v58
	v_mul_f32_e32 v61, 0x3f3504f3, v58
	v_cmp_nlt_f32_e64 s[14:15], |v61|, 1.0
                                        ; implicit-def: $vgpr66
	s_and_saveexec_b64 s[44:45], s[14:15]
	s_xor_b64 s[14:15], exec, s[44:45]
	s_cbranch_execz .LBB454_63
; %bb.62:                               ;   in Loop: Header=BB454_9 Depth=1
	v_fma_f32 v66, |v61|, s31, v99
	v_fma_f32 v66, |v61|, v66, s33
	v_fma_f32 v66, |v61|, v66, s34
	v_fma_f32 v66, |v61|, v66, s35
	v_fma_f32 v66, |v61|, v66, s36
	v_fma_f32 v66, |v61|, v66, s37
	v_fma_f32 v66, |v61|, v66, |v61|
	v_mul_f32_e32 v67, 0xbfb8aa3b, v66
	v_fma_f32 v68, v66, s38, -v67
	v_rndne_f32_e32 v69, v67
	v_fmac_f32_e32 v68, 0xb2a5705f, v66
	v_sub_f32_e32 v67, v67, v69
	v_add_f32_e32 v67, v67, v68
	v_cvt_i32_f32_e32 v68, v69
	v_exp_f32_e32 v67, v67
	v_cmp_nlt_f32_e32 vcc, s39, v66
	v_ldexp_f32 v67, v67, v68
	s_nop 0
	v_cndmask_b32_e32 v67, 0, v67, vcc
	v_cmp_ngt_f32_e32 vcc, s40, v66
	s_nop 1
	v_cndmask_b32_e32 v66, v100, v67, vcc
	v_sub_f32_e32 v66, 1.0, v66
.LBB454_63:                             ;   in Loop: Header=BB454_9 Depth=1
	s_andn2_saveexec_b64 s[14:15], s[14:15]
; %bb.64:                               ;   in Loop: Header=BB454_9 Depth=1
	v_mul_f32_e32 v66, v61, v61
	v_fmamk_f32 v67, v66, 0xba1345e1, v98
	v_fmaak_f32 v67, v66, v67, 0xbcdac9b8
	v_fmaak_f32 v67, v66, v67, 0x3de703be
	v_fmaak_f32 v67, v66, v67, 0xbec09330
	v_fmaak_f32 v66, v66, v67, 0x3e0375d0
	v_fma_f32 v66, |v61|, v66, |v61|
; %bb.65:                               ;   in Loop: Header=BB454_9 Depth=1
	s_or_b64 exec, exec, s[14:15]
	v_bfi_b32 v57, s41, v60, v57
	v_mul_f32_e32 v56, 0.5, v56
	v_add_f32_e32 v57, 1.0, v57
	v_mul_f32_e32 v56, v56, v57
	v_and_b32_e32 v57, 0xffff0000, v50
	s_waitcnt vmcnt(4)
	v_add_f32_e32 v53, v53, v57
	v_lshlrev_b32_e32 v50, 16, v50
	v_bfi_b32 v57, s41, v66, v61
	v_add_f32_e32 v52, v52, v50
	v_mul_f32_e32 v50, 0.5, v58
	v_add_f32_e32 v57, 1.0, v57
	v_mul_f32_e32 v57, v50, v57
	v_lshlrev_b32_e32 v50, 16, v59
	v_add_f32_e32 v50, v62, v50
	;;#ASMSTART
	v_pk_mul_f32 v[52:53], v[56:57], v[52:53]
	;;#ASMEND
	v_mul_f32_e32 v56, 0x3f3504f3, v50
	v_cmp_nlt_f32_e64 s[14:15], |v56|, 1.0
                                        ; implicit-def: $vgpr57
	s_and_saveexec_b64 s[44:45], s[14:15]
	s_xor_b64 s[14:15], exec, s[44:45]
	s_cbranch_execz .LBB454_67
; %bb.66:                               ;   in Loop: Header=BB454_9 Depth=1
	v_fma_f32 v57, |v56|, s31, v99
	v_fma_f32 v57, |v56|, v57, s33
	;; [unrolled: 1-line block ×6, first 2 shown]
	v_fma_f32 v57, |v56|, v57, |v56|
	v_mul_f32_e32 v58, 0xbfb8aa3b, v57
	v_fma_f32 v60, v57, s38, -v58
	v_rndne_f32_e32 v61, v58
	v_fmac_f32_e32 v60, 0xb2a5705f, v57
	v_sub_f32_e32 v58, v58, v61
	v_add_f32_e32 v58, v58, v60
	v_cvt_i32_f32_e32 v60, v61
	v_exp_f32_e32 v58, v58
	v_cmp_nlt_f32_e32 vcc, s39, v57
	v_ldexp_f32 v58, v58, v60
	s_nop 0
	v_cndmask_b32_e32 v58, 0, v58, vcc
	v_cmp_ngt_f32_e32 vcc, s40, v57
	s_nop 1
	v_cndmask_b32_e32 v57, v100, v58, vcc
	v_sub_f32_e32 v57, 1.0, v57
.LBB454_67:                             ;   in Loop: Header=BB454_9 Depth=1
	s_andn2_saveexec_b64 s[14:15], s[14:15]
; %bb.68:                               ;   in Loop: Header=BB454_9 Depth=1
	v_mul_f32_e32 v57, v56, v56
	v_fmamk_f32 v58, v57, 0xba1345e1, v98
	v_fmaak_f32 v58, v57, v58, 0xbcdac9b8
	v_fmaak_f32 v58, v57, v58, 0x3de703be
	;; [unrolled: 1-line block ×4, first 2 shown]
	v_fma_f32 v57, |v56|, v57, |v56|
; %bb.69:                               ;   in Loop: Header=BB454_9 Depth=1
	s_or_b64 exec, exec, s[14:15]
	v_and_b32_e32 v58, 0xffff0000, v59
	v_add_f32_e32 v58, v63, v58
	v_mul_f32_e32 v59, 0x3f3504f3, v58
	v_cmp_nlt_f32_e64 s[14:15], |v59|, 1.0
                                        ; implicit-def: $vgpr60
	s_and_saveexec_b64 s[44:45], s[14:15]
	s_xor_b64 s[14:15], exec, s[44:45]
	s_cbranch_execz .LBB454_71
; %bb.70:                               ;   in Loop: Header=BB454_9 Depth=1
	v_fma_f32 v60, |v59|, s31, v99
	v_fma_f32 v60, |v59|, v60, s33
	;; [unrolled: 1-line block ×6, first 2 shown]
	v_fma_f32 v60, |v59|, v60, |v59|
	v_mul_f32_e32 v61, 0xbfb8aa3b, v60
	v_fma_f32 v62, v60, s38, -v61
	v_rndne_f32_e32 v63, v61
	v_fmac_f32_e32 v62, 0xb2a5705f, v60
	v_sub_f32_e32 v61, v61, v63
	v_add_f32_e32 v61, v61, v62
	v_cvt_i32_f32_e32 v62, v63
	v_exp_f32_e32 v61, v61
	v_cmp_nlt_f32_e32 vcc, s39, v60
	v_ldexp_f32 v61, v61, v62
	s_nop 0
	v_cndmask_b32_e32 v61, 0, v61, vcc
	v_cmp_ngt_f32_e32 vcc, s40, v60
	s_nop 1
	v_cndmask_b32_e32 v60, v100, v61, vcc
	v_sub_f32_e32 v60, 1.0, v60
.LBB454_71:                             ;   in Loop: Header=BB454_9 Depth=1
	s_andn2_saveexec_b64 s[14:15], s[14:15]
; %bb.72:                               ;   in Loop: Header=BB454_9 Depth=1
	v_mul_f32_e32 v60, v59, v59
	v_fmamk_f32 v61, v60, 0xba1345e1, v98
	v_fmaak_f32 v61, v60, v61, 0xbcdac9b8
	v_fmaak_f32 v61, v60, v61, 0x3de703be
	;; [unrolled: 1-line block ×4, first 2 shown]
	v_fma_f32 v60, |v59|, v60, |v59|
; %bb.73:                               ;   in Loop: Header=BB454_9 Depth=1
	s_or_b64 exec, exec, s[14:15]
	v_bfi_b32 v56, s41, v57, v56
	v_mul_f32_e32 v50, 0.5, v50
	v_add_f32_e32 v56, 1.0, v56
	v_mul_f32_e32 v50, v50, v56
	v_and_b32_e32 v56, 0xffff0000, v51
	v_add_f32_e32 v55, v55, v56
	v_lshlrev_b32_e32 v51, 16, v51
	v_bfi_b32 v56, s41, v60, v59
	v_add_f32_e32 v54, v54, v51
	v_mul_f32_e32 v51, 0.5, v58
	v_add_f32_e32 v56, 1.0, v56
	v_mul_f32_e32 v51, v51, v56
	;;#ASMSTART
	v_pk_mul_f32 v[50:51], v[50:51], v[54:55]
	;;#ASMEND
	v_lshlrev_b32_e32 v54, 16, v32
	v_add_f32_e32 v44, v44, v54
	v_mul_f32_e32 v54, 0x3f3504f3, v44
	v_cmp_nlt_f32_e64 s[14:15], |v54|, 1.0
                                        ; implicit-def: $vgpr55
	s_and_saveexec_b64 s[44:45], s[14:15]
	s_xor_b64 s[14:15], exec, s[44:45]
	s_cbranch_execz .LBB454_75
; %bb.74:                               ;   in Loop: Header=BB454_9 Depth=1
	v_fma_f32 v55, |v54|, s31, v99
	v_fma_f32 v55, |v54|, v55, s33
	;; [unrolled: 1-line block ×6, first 2 shown]
	v_fma_f32 v55, |v54|, v55, |v54|
	v_mul_f32_e32 v56, 0xbfb8aa3b, v55
	v_fma_f32 v57, v55, s38, -v56
	v_rndne_f32_e32 v58, v56
	v_fmac_f32_e32 v57, 0xb2a5705f, v55
	v_sub_f32_e32 v56, v56, v58
	v_add_f32_e32 v56, v56, v57
	v_cvt_i32_f32_e32 v57, v58
	v_exp_f32_e32 v56, v56
	v_cmp_nlt_f32_e32 vcc, s39, v55
	v_ldexp_f32 v56, v56, v57
	s_nop 0
	v_cndmask_b32_e32 v56, 0, v56, vcc
	v_cmp_ngt_f32_e32 vcc, s40, v55
	s_nop 1
	v_cndmask_b32_e32 v55, v100, v56, vcc
	v_sub_f32_e32 v55, 1.0, v55
.LBB454_75:                             ;   in Loop: Header=BB454_9 Depth=1
	s_andn2_saveexec_b64 s[14:15], s[14:15]
; %bb.76:                               ;   in Loop: Header=BB454_9 Depth=1
	v_mul_f32_e32 v55, v54, v54
	v_fmamk_f32 v56, v55, 0xba1345e1, v98
	v_fmaak_f32 v56, v55, v56, 0xbcdac9b8
	v_fmaak_f32 v56, v55, v56, 0x3de703be
	;; [unrolled: 1-line block ×4, first 2 shown]
	v_fma_f32 v55, |v54|, v55, |v54|
; %bb.77:                               ;   in Loop: Header=BB454_9 Depth=1
	s_or_b64 exec, exec, s[14:15]
	v_and_b32_e32 v32, 0xffff0000, v32
	v_add_f32_e32 v32, v45, v32
	v_mul_f32_e32 v45, 0x3f3504f3, v32
	v_cmp_nlt_f32_e64 s[14:15], |v45|, 1.0
                                        ; implicit-def: $vgpr56
	s_and_saveexec_b64 s[44:45], s[14:15]
	s_xor_b64 s[14:15], exec, s[44:45]
	s_cbranch_execz .LBB454_79
; %bb.78:                               ;   in Loop: Header=BB454_9 Depth=1
	v_fma_f32 v56, |v45|, s31, v99
	v_fma_f32 v56, |v45|, v56, s33
	;; [unrolled: 1-line block ×6, first 2 shown]
	v_fma_f32 v56, |v45|, v56, |v45|
	v_mul_f32_e32 v57, 0xbfb8aa3b, v56
	v_fma_f32 v58, v56, s38, -v57
	v_rndne_f32_e32 v59, v57
	v_fmac_f32_e32 v58, 0xb2a5705f, v56
	v_sub_f32_e32 v57, v57, v59
	v_add_f32_e32 v57, v57, v58
	v_cvt_i32_f32_e32 v58, v59
	v_exp_f32_e32 v57, v57
	v_cmp_nlt_f32_e32 vcc, s39, v56
	v_ldexp_f32 v57, v57, v58
	s_nop 0
	v_cndmask_b32_e32 v57, 0, v57, vcc
	v_cmp_ngt_f32_e32 vcc, s40, v56
	s_nop 1
	v_cndmask_b32_e32 v56, v100, v57, vcc
	v_sub_f32_e32 v56, 1.0, v56
.LBB454_79:                             ;   in Loop: Header=BB454_9 Depth=1
	s_andn2_saveexec_b64 s[14:15], s[14:15]
; %bb.80:                               ;   in Loop: Header=BB454_9 Depth=1
	v_mul_f32_e32 v56, v45, v45
	v_fmamk_f32 v57, v56, 0xba1345e1, v98
	v_fmaak_f32 v57, v56, v57, 0xbcdac9b8
	v_fmaak_f32 v57, v56, v57, 0x3de703be
	;; [unrolled: 1-line block ×4, first 2 shown]
	v_fma_f32 v56, |v45|, v56, |v45|
; %bb.81:                               ;   in Loop: Header=BB454_9 Depth=1
	s_or_b64 exec, exec, s[14:15]
	v_bfi_b32 v54, s41, v55, v54
	v_mul_f32_e32 v44, 0.5, v44
	v_add_f32_e32 v54, 1.0, v54
	v_mul_f32_e32 v44, v44, v54
	v_and_b32_e32 v54, 0xffff0000, v24
	v_lshlrev_b32_e32 v24, 16, v24
	s_waitcnt vmcnt(3)
	v_add_f32_e32 v40, v40, v24
	v_mul_f32_e32 v24, 0.5, v32
	v_bfi_b32 v32, s41, v56, v45
	v_add_f32_e32 v32, 1.0, v32
	v_mul_f32_e32 v45, v24, v32
	v_lshlrev_b32_e32 v24, 16, v33
	v_add_f32_e32 v24, v46, v24
	v_mul_f32_e32 v32, 0x3f3504f3, v24
	v_add_f32_e32 v41, v41, v54
	v_cmp_nlt_f32_e64 s[14:15], |v32|, 1.0
	;;#ASMSTART
	v_pk_mul_f32 v[40:41], v[44:45], v[40:41]
	;;#ASMEND
                                        ; implicit-def: $vgpr44
	s_and_saveexec_b64 s[44:45], s[14:15]
	s_xor_b64 s[14:15], exec, s[44:45]
	s_cbranch_execz .LBB454_83
; %bb.82:                               ;   in Loop: Header=BB454_9 Depth=1
	v_fma_f32 v44, |v32|, s31, v99
	v_fma_f32 v44, |v32|, v44, s33
	;; [unrolled: 1-line block ×6, first 2 shown]
	v_fma_f32 v44, |v32|, v44, |v32|
	v_mul_f32_e32 v45, 0xbfb8aa3b, v44
	v_fma_f32 v46, v44, s38, -v45
	v_rndne_f32_e32 v54, v45
	v_fmac_f32_e32 v46, 0xb2a5705f, v44
	v_sub_f32_e32 v45, v45, v54
	v_add_f32_e32 v45, v45, v46
	v_cvt_i32_f32_e32 v46, v54
	v_exp_f32_e32 v45, v45
	v_cmp_nlt_f32_e32 vcc, s39, v44
	v_ldexp_f32 v45, v45, v46
	s_nop 0
	v_cndmask_b32_e32 v45, 0, v45, vcc
	v_cmp_ngt_f32_e32 vcc, s40, v44
	s_nop 1
	v_cndmask_b32_e32 v44, v100, v45, vcc
	v_sub_f32_e32 v44, 1.0, v44
.LBB454_83:                             ;   in Loop: Header=BB454_9 Depth=1
	s_andn2_saveexec_b64 s[14:15], s[14:15]
; %bb.84:                               ;   in Loop: Header=BB454_9 Depth=1
	v_mul_f32_e32 v44, v32, v32
	v_fmamk_f32 v45, v44, 0xba1345e1, v98
	v_fmaak_f32 v45, v44, v45, 0xbcdac9b8
	v_fmaak_f32 v45, v44, v45, 0x3de703be
	;; [unrolled: 1-line block ×4, first 2 shown]
	v_fma_f32 v44, |v32|, v44, |v32|
; %bb.85:                               ;   in Loop: Header=BB454_9 Depth=1
	s_or_b64 exec, exec, s[14:15]
	v_and_b32_e32 v33, 0xffff0000, v33
	v_add_f32_e32 v33, v47, v33
	v_mul_f32_e32 v45, 0x3f3504f3, v33
	v_cmp_nlt_f32_e64 s[14:15], |v45|, 1.0
                                        ; implicit-def: $vgpr46
	s_and_saveexec_b64 s[44:45], s[14:15]
	s_xor_b64 s[14:15], exec, s[44:45]
	s_cbranch_execz .LBB454_87
; %bb.86:                               ;   in Loop: Header=BB454_9 Depth=1
	v_fma_f32 v46, |v45|, s31, v99
	v_fma_f32 v46, |v45|, v46, s33
	;; [unrolled: 1-line block ×6, first 2 shown]
	v_fma_f32 v46, |v45|, v46, |v45|
	v_mul_f32_e32 v47, 0xbfb8aa3b, v46
	v_fma_f32 v54, v46, s38, -v47
	v_rndne_f32_e32 v55, v47
	v_fmac_f32_e32 v54, 0xb2a5705f, v46
	v_sub_f32_e32 v47, v47, v55
	v_add_f32_e32 v47, v47, v54
	v_cvt_i32_f32_e32 v54, v55
	v_exp_f32_e32 v47, v47
	v_cmp_nlt_f32_e32 vcc, s39, v46
	v_ldexp_f32 v47, v47, v54
	s_nop 0
	v_cndmask_b32_e32 v47, 0, v47, vcc
	v_cmp_ngt_f32_e32 vcc, s40, v46
	s_nop 1
	v_cndmask_b32_e32 v46, v100, v47, vcc
	v_sub_f32_e32 v46, 1.0, v46
.LBB454_87:                             ;   in Loop: Header=BB454_9 Depth=1
	s_andn2_saveexec_b64 s[14:15], s[14:15]
; %bb.88:                               ;   in Loop: Header=BB454_9 Depth=1
	v_mul_f32_e32 v46, v45, v45
	v_fmamk_f32 v47, v46, 0xba1345e1, v98
	v_fmaak_f32 v47, v46, v47, 0xbcdac9b8
	v_fmaak_f32 v47, v46, v47, 0x3de703be
	;; [unrolled: 1-line block ×4, first 2 shown]
	v_fma_f32 v46, |v45|, v46, |v45|
; %bb.89:                               ;   in Loop: Header=BB454_9 Depth=1
	s_or_b64 exec, exec, s[14:15]
	v_bfi_b32 v32, s41, v44, v32
	v_mul_f32_e32 v24, 0.5, v24
	v_add_f32_e32 v32, 1.0, v32
	v_mul_f32_e32 v24, v24, v32
	v_and_b32_e32 v32, 0xffff0000, v25
	v_add_f32_e32 v43, v43, v32
	v_lshlrev_b32_e32 v25, 16, v25
	v_bfi_b32 v32, s41, v46, v45
	v_add_f32_e32 v42, v42, v25
	v_mul_f32_e32 v25, 0.5, v33
	v_add_f32_e32 v32, 1.0, v32
	v_mul_f32_e32 v25, v25, v32
	v_lshlrev_b32_e32 v32, 16, v34
	v_add_f32_e32 v32, v36, v32
	v_mul_f32_e32 v33, 0x3f3504f3, v32
	v_cmp_nlt_f32_e64 s[14:15], |v33|, 1.0
	;;#ASMSTART
	v_pk_mul_f32 v[24:25], v[24:25], v[42:43]
	;;#ASMEND
                                        ; implicit-def: $vgpr36
	s_and_saveexec_b64 s[44:45], s[14:15]
	s_xor_b64 s[14:15], exec, s[44:45]
	s_cbranch_execz .LBB454_91
; %bb.90:                               ;   in Loop: Header=BB454_9 Depth=1
	v_fma_f32 v36, |v33|, s31, v99
	v_fma_f32 v36, |v33|, v36, s33
	;; [unrolled: 1-line block ×6, first 2 shown]
	v_fma_f32 v36, |v33|, v36, |v33|
	v_mul_f32_e32 v42, 0xbfb8aa3b, v36
	v_fma_f32 v43, v36, s38, -v42
	v_rndne_f32_e32 v44, v42
	v_fmac_f32_e32 v43, 0xb2a5705f, v36
	v_sub_f32_e32 v42, v42, v44
	v_add_f32_e32 v42, v42, v43
	v_cvt_i32_f32_e32 v43, v44
	v_exp_f32_e32 v42, v42
	v_cmp_nlt_f32_e32 vcc, s39, v36
	v_ldexp_f32 v42, v42, v43
	s_nop 0
	v_cndmask_b32_e32 v42, 0, v42, vcc
	v_cmp_ngt_f32_e32 vcc, s40, v36
	s_nop 1
	v_cndmask_b32_e32 v36, v100, v42, vcc
	v_sub_f32_e32 v36, 1.0, v36
.LBB454_91:                             ;   in Loop: Header=BB454_9 Depth=1
	s_andn2_saveexec_b64 s[14:15], s[14:15]
; %bb.92:                               ;   in Loop: Header=BB454_9 Depth=1
	v_mul_f32_e32 v36, v33, v33
	v_fmamk_f32 v42, v36, 0xba1345e1, v98
	v_fmaak_f32 v42, v36, v42, 0xbcdac9b8
	v_fmaak_f32 v42, v36, v42, 0x3de703be
	;; [unrolled: 1-line block ×4, first 2 shown]
	v_fma_f32 v36, |v33|, v36, |v33|
; %bb.93:                               ;   in Loop: Header=BB454_9 Depth=1
	s_or_b64 exec, exec, s[14:15]
	v_and_b32_e32 v34, 0xffff0000, v34
	v_add_f32_e32 v34, v37, v34
	v_mul_f32_e32 v37, 0x3f3504f3, v34
	v_cmp_nlt_f32_e64 s[14:15], |v37|, 1.0
                                        ; implicit-def: $vgpr42
	s_and_saveexec_b64 s[44:45], s[14:15]
	s_xor_b64 s[14:15], exec, s[44:45]
	s_cbranch_execz .LBB454_95
; %bb.94:                               ;   in Loop: Header=BB454_9 Depth=1
	v_fma_f32 v42, |v37|, s31, v99
	v_fma_f32 v42, |v37|, v42, s33
	;; [unrolled: 1-line block ×6, first 2 shown]
	v_fma_f32 v42, |v37|, v42, |v37|
	v_mul_f32_e32 v43, 0xbfb8aa3b, v42
	v_fma_f32 v44, v42, s38, -v43
	v_rndne_f32_e32 v45, v43
	v_fmac_f32_e32 v44, 0xb2a5705f, v42
	v_sub_f32_e32 v43, v43, v45
	v_add_f32_e32 v43, v43, v44
	v_cvt_i32_f32_e32 v44, v45
	v_exp_f32_e32 v43, v43
	v_cmp_nlt_f32_e32 vcc, s39, v42
	v_ldexp_f32 v43, v43, v44
	s_nop 0
	v_cndmask_b32_e32 v43, 0, v43, vcc
	v_cmp_ngt_f32_e32 vcc, s40, v42
	s_nop 1
	v_cndmask_b32_e32 v42, v100, v43, vcc
	v_sub_f32_e32 v42, 1.0, v42
.LBB454_95:                             ;   in Loop: Header=BB454_9 Depth=1
	s_andn2_saveexec_b64 s[14:15], s[14:15]
; %bb.96:                               ;   in Loop: Header=BB454_9 Depth=1
	v_mul_f32_e32 v42, v37, v37
	v_fmamk_f32 v43, v42, 0xba1345e1, v98
	v_fmaak_f32 v43, v42, v43, 0xbcdac9b8
	v_fmaak_f32 v43, v42, v43, 0x3de703be
	;; [unrolled: 1-line block ×4, first 2 shown]
	v_fma_f32 v42, |v37|, v42, |v37|
; %bb.97:                               ;   in Loop: Header=BB454_9 Depth=1
	s_or_b64 exec, exec, s[14:15]
	v_bfi_b32 v33, s41, v36, v33
	v_mul_f32_e32 v32, 0.5, v32
	v_add_f32_e32 v33, 1.0, v33
	v_mul_f32_e32 v32, v32, v33
	v_and_b32_e32 v33, 0xffff0000, v26
	s_waitcnt vmcnt(2)
	v_add_f32_e32 v29, v29, v33
	v_lshlrev_b32_e32 v26, 16, v26
	v_bfi_b32 v33, s41, v42, v37
	v_add_f32_e32 v28, v28, v26
	v_mul_f32_e32 v26, 0.5, v34
	v_add_f32_e32 v33, 1.0, v33
	v_mul_f32_e32 v33, v26, v33
	v_lshlrev_b32_e32 v26, 16, v35
	v_add_f32_e32 v26, v38, v26
	;;#ASMSTART
	v_pk_mul_f32 v[28:29], v[32:33], v[28:29]
	;;#ASMEND
	v_mul_f32_e32 v32, 0x3f3504f3, v26
	v_cmp_nlt_f32_e64 s[14:15], |v32|, 1.0
                                        ; implicit-def: $vgpr33
	s_and_saveexec_b64 s[44:45], s[14:15]
	s_xor_b64 s[14:15], exec, s[44:45]
	s_cbranch_execz .LBB454_99
; %bb.98:                               ;   in Loop: Header=BB454_9 Depth=1
	v_fma_f32 v33, |v32|, s31, v99
	v_fma_f32 v33, |v32|, v33, s33
	v_fma_f32 v33, |v32|, v33, s34
	v_fma_f32 v33, |v32|, v33, s35
	v_fma_f32 v33, |v32|, v33, s36
	v_fma_f32 v33, |v32|, v33, s37
	v_fma_f32 v33, |v32|, v33, |v32|
	v_mul_f32_e32 v34, 0xbfb8aa3b, v33
	v_fma_f32 v36, v33, s38, -v34
	v_rndne_f32_e32 v37, v34
	v_fmac_f32_e32 v36, 0xb2a5705f, v33
	v_sub_f32_e32 v34, v34, v37
	v_add_f32_e32 v34, v34, v36
	v_cvt_i32_f32_e32 v36, v37
	v_exp_f32_e32 v34, v34
	v_cmp_nlt_f32_e32 vcc, s39, v33
	v_ldexp_f32 v34, v34, v36
	s_nop 0
	v_cndmask_b32_e32 v34, 0, v34, vcc
	v_cmp_ngt_f32_e32 vcc, s40, v33
	s_nop 1
	v_cndmask_b32_e32 v33, v100, v34, vcc
	v_sub_f32_e32 v33, 1.0, v33
.LBB454_99:                             ;   in Loop: Header=BB454_9 Depth=1
	s_andn2_saveexec_b64 s[14:15], s[14:15]
; %bb.100:                              ;   in Loop: Header=BB454_9 Depth=1
	v_mul_f32_e32 v33, v32, v32
	v_fmamk_f32 v34, v33, 0xba1345e1, v98
	v_fmaak_f32 v34, v33, v34, 0xbcdac9b8
	v_fmaak_f32 v34, v33, v34, 0x3de703be
	v_fmaak_f32 v34, v33, v34, 0xbec09330
	v_fmaak_f32 v33, v33, v34, 0x3e0375d0
	v_fma_f32 v33, |v32|, v33, |v32|
; %bb.101:                              ;   in Loop: Header=BB454_9 Depth=1
	s_or_b64 exec, exec, s[14:15]
	v_and_b32_e32 v34, 0xffff0000, v35
	v_add_f32_e32 v34, v39, v34
	v_mul_f32_e32 v35, 0x3f3504f3, v34
	v_cmp_nlt_f32_e64 s[14:15], |v35|, 1.0
                                        ; implicit-def: $vgpr36
	s_and_saveexec_b64 s[44:45], s[14:15]
	s_xor_b64 s[14:15], exec, s[44:45]
	s_cbranch_execz .LBB454_103
; %bb.102:                              ;   in Loop: Header=BB454_9 Depth=1
	v_fma_f32 v36, |v35|, s31, v99
	v_fma_f32 v36, |v35|, v36, s33
	;; [unrolled: 1-line block ×6, first 2 shown]
	v_fma_f32 v36, |v35|, v36, |v35|
	v_mul_f32_e32 v37, 0xbfb8aa3b, v36
	v_fma_f32 v38, v36, s38, -v37
	v_rndne_f32_e32 v39, v37
	v_fmac_f32_e32 v38, 0xb2a5705f, v36
	v_sub_f32_e32 v37, v37, v39
	v_add_f32_e32 v37, v37, v38
	v_cvt_i32_f32_e32 v38, v39
	v_exp_f32_e32 v37, v37
	v_cmp_nlt_f32_e32 vcc, s39, v36
	v_ldexp_f32 v37, v37, v38
	s_nop 0
	v_cndmask_b32_e32 v37, 0, v37, vcc
	v_cmp_ngt_f32_e32 vcc, s40, v36
	s_nop 1
	v_cndmask_b32_e32 v36, v100, v37, vcc
	v_sub_f32_e32 v36, 1.0, v36
.LBB454_103:                            ;   in Loop: Header=BB454_9 Depth=1
	s_andn2_saveexec_b64 s[14:15], s[14:15]
; %bb.104:                              ;   in Loop: Header=BB454_9 Depth=1
	v_mul_f32_e32 v36, v35, v35
	v_fmamk_f32 v37, v36, 0xba1345e1, v98
	v_fmaak_f32 v37, v36, v37, 0xbcdac9b8
	v_fmaak_f32 v37, v36, v37, 0x3de703be
	;; [unrolled: 1-line block ×4, first 2 shown]
	v_fma_f32 v36, |v35|, v36, |v35|
; %bb.105:                              ;   in Loop: Header=BB454_9 Depth=1
	s_or_b64 exec, exec, s[14:15]
	v_bfi_b32 v32, s41, v33, v32
	v_mul_f32_e32 v26, 0.5, v26
	v_add_f32_e32 v32, 1.0, v32
	v_mul_f32_e32 v26, v26, v32
	v_and_b32_e32 v32, 0xffff0000, v27
	v_add_f32_e32 v31, v31, v32
	v_lshlrev_b32_e32 v27, 16, v27
	v_bfi_b32 v32, s41, v36, v35
	v_add_f32_e32 v30, v30, v27
	v_mul_f32_e32 v27, 0.5, v34
	v_add_f32_e32 v32, 1.0, v32
	v_mul_f32_e32 v27, v27, v32
	;;#ASMSTART
	v_pk_mul_f32 v[26:27], v[26:27], v[30:31]
	;;#ASMEND
	v_lshlrev_b32_e32 v30, 16, v8
	v_add_f32_e32 v20, v20, v30
	v_mul_f32_e32 v30, 0x3f3504f3, v20
	v_cmp_nlt_f32_e64 s[14:15], |v30|, 1.0
                                        ; implicit-def: $vgpr31
	s_and_saveexec_b64 s[44:45], s[14:15]
	s_xor_b64 s[14:15], exec, s[44:45]
	s_cbranch_execz .LBB454_107
; %bb.106:                              ;   in Loop: Header=BB454_9 Depth=1
	v_fma_f32 v31, |v30|, s31, v99
	v_fma_f32 v31, |v30|, v31, s33
	;; [unrolled: 1-line block ×6, first 2 shown]
	v_fma_f32 v31, |v30|, v31, |v30|
	v_mul_f32_e32 v32, 0xbfb8aa3b, v31
	v_fma_f32 v33, v31, s38, -v32
	v_rndne_f32_e32 v34, v32
	v_fmac_f32_e32 v33, 0xb2a5705f, v31
	v_sub_f32_e32 v32, v32, v34
	v_add_f32_e32 v32, v32, v33
	v_cvt_i32_f32_e32 v33, v34
	v_exp_f32_e32 v32, v32
	v_cmp_nlt_f32_e32 vcc, s39, v31
	v_ldexp_f32 v32, v32, v33
	s_nop 0
	v_cndmask_b32_e32 v32, 0, v32, vcc
	v_cmp_ngt_f32_e32 vcc, s40, v31
	s_nop 1
	v_cndmask_b32_e32 v31, v100, v32, vcc
	v_sub_f32_e32 v31, 1.0, v31
.LBB454_107:                            ;   in Loop: Header=BB454_9 Depth=1
	s_andn2_saveexec_b64 s[14:15], s[14:15]
; %bb.108:                              ;   in Loop: Header=BB454_9 Depth=1
	v_mul_f32_e32 v31, v30, v30
	v_fmamk_f32 v32, v31, 0xba1345e1, v98
	v_fmaak_f32 v32, v31, v32, 0xbcdac9b8
	v_fmaak_f32 v32, v31, v32, 0x3de703be
	;; [unrolled: 1-line block ×4, first 2 shown]
	v_fma_f32 v31, |v30|, v31, |v30|
; %bb.109:                              ;   in Loop: Header=BB454_9 Depth=1
	s_or_b64 exec, exec, s[14:15]
	v_and_b32_e32 v8, 0xffff0000, v8
	v_add_f32_e32 v8, v21, v8
	v_mul_f32_e32 v21, 0x3f3504f3, v8
	v_cmp_nlt_f32_e64 s[14:15], |v21|, 1.0
                                        ; implicit-def: $vgpr32
	s_and_saveexec_b64 s[44:45], s[14:15]
	s_xor_b64 s[14:15], exec, s[44:45]
	s_cbranch_execz .LBB454_111
; %bb.110:                              ;   in Loop: Header=BB454_9 Depth=1
	v_fma_f32 v32, |v21|, s31, v99
	v_fma_f32 v32, |v21|, v32, s33
	;; [unrolled: 1-line block ×6, first 2 shown]
	v_fma_f32 v32, |v21|, v32, |v21|
	v_mul_f32_e32 v33, 0xbfb8aa3b, v32
	v_fma_f32 v34, v32, s38, -v33
	v_rndne_f32_e32 v35, v33
	v_fmac_f32_e32 v34, 0xb2a5705f, v32
	v_sub_f32_e32 v33, v33, v35
	v_add_f32_e32 v33, v33, v34
	v_cvt_i32_f32_e32 v34, v35
	v_exp_f32_e32 v33, v33
	v_cmp_nlt_f32_e32 vcc, s39, v32
	v_ldexp_f32 v33, v33, v34
	s_nop 0
	v_cndmask_b32_e32 v33, 0, v33, vcc
	v_cmp_ngt_f32_e32 vcc, s40, v32
	s_nop 1
	v_cndmask_b32_e32 v32, v100, v33, vcc
	v_sub_f32_e32 v32, 1.0, v32
.LBB454_111:                            ;   in Loop: Header=BB454_9 Depth=1
	s_andn2_saveexec_b64 s[14:15], s[14:15]
; %bb.112:                              ;   in Loop: Header=BB454_9 Depth=1
	v_mul_f32_e32 v32, v21, v21
	v_fmamk_f32 v33, v32, 0xba1345e1, v98
	v_fmaak_f32 v33, v32, v33, 0xbcdac9b8
	v_fmaak_f32 v33, v32, v33, 0x3de703be
	;; [unrolled: 1-line block ×4, first 2 shown]
	v_fma_f32 v32, |v21|, v32, |v21|
; %bb.113:                              ;   in Loop: Header=BB454_9 Depth=1
	s_or_b64 exec, exec, s[14:15]
	v_bfi_b32 v30, s41, v31, v30
	v_mul_f32_e32 v20, 0.5, v20
	v_add_f32_e32 v30, 1.0, v30
	v_mul_f32_e32 v20, v20, v30
	v_and_b32_e32 v30, 0xffff0000, v0
	v_lshlrev_b32_e32 v0, 16, v0
	s_waitcnt vmcnt(1)
	v_add_f32_e32 v16, v16, v0
	v_mul_f32_e32 v0, 0.5, v8
	v_bfi_b32 v8, s41, v32, v21
	v_add_f32_e32 v8, 1.0, v8
	v_mul_f32_e32 v21, v0, v8
	v_lshlrev_b32_e32 v0, 16, v9
	v_add_f32_e32 v0, v22, v0
	v_mul_f32_e32 v8, 0x3f3504f3, v0
	v_add_f32_e32 v17, v17, v30
	v_cmp_nlt_f32_e64 s[14:15], |v8|, 1.0
	;;#ASMSTART
	v_pk_mul_f32 v[16:17], v[20:21], v[16:17]
	;;#ASMEND
                                        ; implicit-def: $vgpr20
	s_and_saveexec_b64 s[44:45], s[14:15]
	s_xor_b64 s[14:15], exec, s[44:45]
	s_cbranch_execz .LBB454_115
; %bb.114:                              ;   in Loop: Header=BB454_9 Depth=1
	v_fma_f32 v20, |v8|, s31, v99
	v_fma_f32 v20, |v8|, v20, s33
	;; [unrolled: 1-line block ×6, first 2 shown]
	v_fma_f32 v20, |v8|, v20, |v8|
	v_mul_f32_e32 v21, 0xbfb8aa3b, v20
	v_fma_f32 v22, v20, s38, -v21
	v_rndne_f32_e32 v30, v21
	v_fmac_f32_e32 v22, 0xb2a5705f, v20
	v_sub_f32_e32 v21, v21, v30
	v_add_f32_e32 v21, v21, v22
	v_cvt_i32_f32_e32 v22, v30
	v_exp_f32_e32 v21, v21
	v_cmp_nlt_f32_e32 vcc, s39, v20
	v_ldexp_f32 v21, v21, v22
	s_nop 0
	v_cndmask_b32_e32 v21, 0, v21, vcc
	v_cmp_ngt_f32_e32 vcc, s40, v20
	s_nop 1
	v_cndmask_b32_e32 v20, v100, v21, vcc
	v_sub_f32_e32 v20, 1.0, v20
.LBB454_115:                            ;   in Loop: Header=BB454_9 Depth=1
	s_andn2_saveexec_b64 s[14:15], s[14:15]
; %bb.116:                              ;   in Loop: Header=BB454_9 Depth=1
	v_mul_f32_e32 v20, v8, v8
	v_fmamk_f32 v21, v20, 0xba1345e1, v98
	v_fmaak_f32 v21, v20, v21, 0xbcdac9b8
	v_fmaak_f32 v21, v20, v21, 0x3de703be
	;; [unrolled: 1-line block ×4, first 2 shown]
	v_fma_f32 v20, |v8|, v20, |v8|
; %bb.117:                              ;   in Loop: Header=BB454_9 Depth=1
	s_or_b64 exec, exec, s[14:15]
	v_and_b32_e32 v9, 0xffff0000, v9
	v_add_f32_e32 v9, v23, v9
	v_mul_f32_e32 v21, 0x3f3504f3, v9
	v_cmp_nlt_f32_e64 s[14:15], |v21|, 1.0
                                        ; implicit-def: $vgpr22
	s_and_saveexec_b64 s[44:45], s[14:15]
	s_xor_b64 s[14:15], exec, s[44:45]
	s_cbranch_execz .LBB454_119
; %bb.118:                              ;   in Loop: Header=BB454_9 Depth=1
	v_fma_f32 v22, |v21|, s31, v99
	v_fma_f32 v22, |v21|, v22, s33
	;; [unrolled: 1-line block ×6, first 2 shown]
	v_fma_f32 v22, |v21|, v22, |v21|
	v_mul_f32_e32 v23, 0xbfb8aa3b, v22
	v_fma_f32 v30, v22, s38, -v23
	v_rndne_f32_e32 v31, v23
	v_fmac_f32_e32 v30, 0xb2a5705f, v22
	v_sub_f32_e32 v23, v23, v31
	v_add_f32_e32 v23, v23, v30
	v_cvt_i32_f32_e32 v30, v31
	v_exp_f32_e32 v23, v23
	v_cmp_nlt_f32_e32 vcc, s39, v22
	v_ldexp_f32 v23, v23, v30
	s_nop 0
	v_cndmask_b32_e32 v23, 0, v23, vcc
	v_cmp_ngt_f32_e32 vcc, s40, v22
	s_nop 1
	v_cndmask_b32_e32 v22, v100, v23, vcc
	v_sub_f32_e32 v22, 1.0, v22
.LBB454_119:                            ;   in Loop: Header=BB454_9 Depth=1
	s_andn2_saveexec_b64 s[14:15], s[14:15]
; %bb.120:                              ;   in Loop: Header=BB454_9 Depth=1
	v_mul_f32_e32 v22, v21, v21
	v_fmamk_f32 v23, v22, 0xba1345e1, v98
	v_fmaak_f32 v23, v22, v23, 0xbcdac9b8
	v_fmaak_f32 v23, v22, v23, 0x3de703be
	;; [unrolled: 1-line block ×4, first 2 shown]
	v_fma_f32 v22, |v21|, v22, |v21|
; %bb.121:                              ;   in Loop: Header=BB454_9 Depth=1
	s_or_b64 exec, exec, s[14:15]
	v_bfi_b32 v8, s41, v20, v8
	v_mul_f32_e32 v0, 0.5, v0
	v_add_f32_e32 v8, 1.0, v8
	v_mul_f32_e32 v0, v0, v8
	v_and_b32_e32 v8, 0xffff0000, v1
	v_add_f32_e32 v19, v19, v8
	v_lshlrev_b32_e32 v1, 16, v1
	v_bfi_b32 v8, s41, v22, v21
	v_add_f32_e32 v18, v18, v1
	v_mul_f32_e32 v1, 0.5, v9
	v_add_f32_e32 v8, 1.0, v8
	v_mul_f32_e32 v1, v1, v8
	v_lshlrev_b32_e32 v8, 16, v10
	v_add_f32_e32 v8, v12, v8
	v_mul_f32_e32 v9, 0x3f3504f3, v8
	v_cmp_nlt_f32_e64 s[14:15], |v9|, 1.0
	;;#ASMSTART
	v_pk_mul_f32 v[0:1], v[0:1], v[18:19]
	;;#ASMEND
                                        ; implicit-def: $vgpr12
	s_and_saveexec_b64 s[44:45], s[14:15]
	s_xor_b64 s[14:15], exec, s[44:45]
	s_cbranch_execz .LBB454_123
; %bb.122:                              ;   in Loop: Header=BB454_9 Depth=1
	v_fma_f32 v12, |v9|, s31, v99
	v_fma_f32 v12, |v9|, v12, s33
	v_fma_f32 v12, |v9|, v12, s34
	v_fma_f32 v12, |v9|, v12, s35
	v_fma_f32 v12, |v9|, v12, s36
	v_fma_f32 v12, |v9|, v12, s37
	v_fma_f32 v12, |v9|, v12, |v9|
	v_mul_f32_e32 v18, 0xbfb8aa3b, v12
	v_fma_f32 v19, v12, s38, -v18
	v_rndne_f32_e32 v20, v18
	v_fmac_f32_e32 v19, 0xb2a5705f, v12
	v_sub_f32_e32 v18, v18, v20
	v_add_f32_e32 v18, v18, v19
	v_cvt_i32_f32_e32 v19, v20
	v_exp_f32_e32 v18, v18
	v_cmp_nlt_f32_e32 vcc, s39, v12
	v_ldexp_f32 v18, v18, v19
	s_nop 0
	v_cndmask_b32_e32 v18, 0, v18, vcc
	v_cmp_ngt_f32_e32 vcc, s40, v12
	s_nop 1
	v_cndmask_b32_e32 v12, v100, v18, vcc
	v_sub_f32_e32 v12, 1.0, v12
.LBB454_123:                            ;   in Loop: Header=BB454_9 Depth=1
	s_andn2_saveexec_b64 s[14:15], s[14:15]
; %bb.124:                              ;   in Loop: Header=BB454_9 Depth=1
	v_mul_f32_e32 v12, v9, v9
	v_fmamk_f32 v18, v12, 0xba1345e1, v98
	v_fmaak_f32 v18, v12, v18, 0xbcdac9b8
	v_fmaak_f32 v18, v12, v18, 0x3de703be
	v_fmaak_f32 v18, v12, v18, 0xbec09330
	v_fmaak_f32 v12, v12, v18, 0x3e0375d0
	v_fma_f32 v12, |v9|, v12, |v9|
; %bb.125:                              ;   in Loop: Header=BB454_9 Depth=1
	s_or_b64 exec, exec, s[14:15]
	v_and_b32_e32 v10, 0xffff0000, v10
	v_add_f32_e32 v10, v13, v10
	v_mul_f32_e32 v13, 0x3f3504f3, v10
	v_cmp_nlt_f32_e64 s[14:15], |v13|, 1.0
                                        ; implicit-def: $vgpr18
	s_and_saveexec_b64 s[44:45], s[14:15]
	s_xor_b64 s[14:15], exec, s[44:45]
	s_cbranch_execz .LBB454_127
; %bb.126:                              ;   in Loop: Header=BB454_9 Depth=1
	v_fma_f32 v18, |v13|, s31, v99
	v_fma_f32 v18, |v13|, v18, s33
	;; [unrolled: 1-line block ×6, first 2 shown]
	v_fma_f32 v18, |v13|, v18, |v13|
	v_mul_f32_e32 v19, 0xbfb8aa3b, v18
	v_fma_f32 v20, v18, s38, -v19
	v_rndne_f32_e32 v21, v19
	v_fmac_f32_e32 v20, 0xb2a5705f, v18
	v_sub_f32_e32 v19, v19, v21
	v_add_f32_e32 v19, v19, v20
	v_cvt_i32_f32_e32 v20, v21
	v_exp_f32_e32 v19, v19
	v_cmp_nlt_f32_e32 vcc, s39, v18
	v_ldexp_f32 v19, v19, v20
	s_nop 0
	v_cndmask_b32_e32 v19, 0, v19, vcc
	v_cmp_ngt_f32_e32 vcc, s40, v18
	s_nop 1
	v_cndmask_b32_e32 v18, v100, v19, vcc
	v_sub_f32_e32 v18, 1.0, v18
.LBB454_127:                            ;   in Loop: Header=BB454_9 Depth=1
	s_andn2_saveexec_b64 s[14:15], s[14:15]
; %bb.128:                              ;   in Loop: Header=BB454_9 Depth=1
	v_mul_f32_e32 v18, v13, v13
	v_fmamk_f32 v19, v18, 0xba1345e1, v98
	v_fmaak_f32 v19, v18, v19, 0xbcdac9b8
	v_fmaak_f32 v19, v18, v19, 0x3de703be
	;; [unrolled: 1-line block ×4, first 2 shown]
	v_fma_f32 v18, |v13|, v18, |v13|
; %bb.129:                              ;   in Loop: Header=BB454_9 Depth=1
	s_or_b64 exec, exec, s[14:15]
	v_bfi_b32 v9, s41, v12, v9
	v_mul_f32_e32 v8, 0.5, v8
	v_add_f32_e32 v9, 1.0, v9
	v_mul_f32_e32 v8, v8, v9
	v_and_b32_e32 v9, 0xffff0000, v2
	s_waitcnt vmcnt(0)
	v_add_f32_e32 v5, v5, v9
	v_lshlrev_b32_e32 v2, 16, v2
	v_bfi_b32 v9, s41, v18, v13
	v_add_f32_e32 v4, v4, v2
	v_mul_f32_e32 v2, 0.5, v10
	v_add_f32_e32 v9, 1.0, v9
	v_mul_f32_e32 v9, v2, v9
	v_lshlrev_b32_e32 v2, 16, v11
	v_add_f32_e32 v2, v14, v2
	;;#ASMSTART
	v_pk_mul_f32 v[4:5], v[8:9], v[4:5]
	;;#ASMEND
	v_mul_f32_e32 v8, 0x3f3504f3, v2
	v_cmp_nlt_f32_e64 s[14:15], |v8|, 1.0
                                        ; implicit-def: $vgpr9
	s_and_saveexec_b64 s[44:45], s[14:15]
	s_xor_b64 s[14:15], exec, s[44:45]
	s_cbranch_execz .LBB454_131
; %bb.130:                              ;   in Loop: Header=BB454_9 Depth=1
	v_fma_f32 v9, |v8|, s31, v99
	v_fma_f32 v9, |v8|, v9, s33
	v_fma_f32 v9, |v8|, v9, s34
	v_fma_f32 v9, |v8|, v9, s35
	v_fma_f32 v9, |v8|, v9, s36
	v_fma_f32 v9, |v8|, v9, s37
	v_fma_f32 v9, |v8|, v9, |v8|
	v_mul_f32_e32 v10, 0xbfb8aa3b, v9
	v_fma_f32 v12, v9, s38, -v10
	v_rndne_f32_e32 v13, v10
	v_fmac_f32_e32 v12, 0xb2a5705f, v9
	v_sub_f32_e32 v10, v10, v13
	v_add_f32_e32 v10, v10, v12
	v_cvt_i32_f32_e32 v12, v13
	v_exp_f32_e32 v10, v10
	v_cmp_nlt_f32_e32 vcc, s39, v9
	v_ldexp_f32 v10, v10, v12
	s_nop 0
	v_cndmask_b32_e32 v10, 0, v10, vcc
	v_cmp_ngt_f32_e32 vcc, s40, v9
	s_nop 1
	v_cndmask_b32_e32 v9, v100, v10, vcc
	v_sub_f32_e32 v9, 1.0, v9
.LBB454_131:                            ;   in Loop: Header=BB454_9 Depth=1
	s_andn2_saveexec_b64 s[14:15], s[14:15]
; %bb.132:                              ;   in Loop: Header=BB454_9 Depth=1
	v_mul_f32_e32 v9, v8, v8
	v_fmamk_f32 v10, v9, 0xba1345e1, v98
	v_fmaak_f32 v10, v9, v10, 0xbcdac9b8
	v_fmaak_f32 v10, v9, v10, 0x3de703be
	;; [unrolled: 1-line block ×4, first 2 shown]
	v_fma_f32 v9, |v8|, v9, |v8|
; %bb.133:                              ;   in Loop: Header=BB454_9 Depth=1
	s_or_b64 exec, exec, s[14:15]
	v_and_b32_e32 v10, 0xffff0000, v11
	v_add_f32_e32 v10, v15, v10
	v_mul_f32_e32 v11, 0x3f3504f3, v10
	v_cmp_nlt_f32_e64 s[14:15], |v11|, 1.0
                                        ; implicit-def: $vgpr12
	s_and_saveexec_b64 s[44:45], s[14:15]
	s_xor_b64 s[14:15], exec, s[44:45]
	s_cbranch_execz .LBB454_135
; %bb.134:                              ;   in Loop: Header=BB454_9 Depth=1
	v_fma_f32 v12, |v11|, s31, v99
	v_fma_f32 v12, |v11|, v12, s33
	;; [unrolled: 1-line block ×6, first 2 shown]
	v_fma_f32 v12, |v11|, v12, |v11|
	v_mul_f32_e32 v13, 0xbfb8aa3b, v12
	v_fma_f32 v14, v12, s38, -v13
	v_rndne_f32_e32 v15, v13
	v_fmac_f32_e32 v14, 0xb2a5705f, v12
	v_sub_f32_e32 v13, v13, v15
	v_add_f32_e32 v13, v13, v14
	v_cvt_i32_f32_e32 v14, v15
	v_exp_f32_e32 v13, v13
	v_cmp_nlt_f32_e32 vcc, s39, v12
	v_ldexp_f32 v13, v13, v14
	s_nop 0
	v_cndmask_b32_e32 v13, 0, v13, vcc
	v_cmp_ngt_f32_e32 vcc, s40, v12
	s_nop 1
	v_cndmask_b32_e32 v12, v100, v13, vcc
	v_sub_f32_e32 v12, 1.0, v12
.LBB454_135:                            ;   in Loop: Header=BB454_9 Depth=1
	s_andn2_saveexec_b64 s[14:15], s[14:15]
	s_cbranch_execz .LBB454_8
; %bb.136:                              ;   in Loop: Header=BB454_9 Depth=1
	v_mul_f32_e32 v12, v11, v11
	v_fmamk_f32 v13, v12, 0xba1345e1, v98
	v_fmaak_f32 v13, v12, v13, 0xbcdac9b8
	v_fmaak_f32 v13, v12, v13, 0x3de703be
	;; [unrolled: 1-line block ×4, first 2 shown]
	v_fma_f32 v12, |v11|, v12, |v11|
	s_branch .LBB454_8
.LBB454_137:
	s_endpgm
	.section	.rodata,"a",@progbits
	.p2align	6, 0x0
	.amdhsa_kernel _ZN5aiter23act_and_mul_bias_kernelIttifTnPFfRKT2_EXadL_ZNS_11gelu_kernelIfEEfRKT_EELi32EEEvPT0_PS8_PKT1_PS2_il
		.amdhsa_group_segment_fixed_size 0
		.amdhsa_private_segment_fixed_size 0
		.amdhsa_kernarg_size 304
		.amdhsa_user_sgpr_count 2
		.amdhsa_user_sgpr_dispatch_ptr 0
		.amdhsa_user_sgpr_queue_ptr 0
		.amdhsa_user_sgpr_kernarg_segment_ptr 1
		.amdhsa_user_sgpr_dispatch_id 0
		.amdhsa_user_sgpr_kernarg_preload_length 0
		.amdhsa_user_sgpr_kernarg_preload_offset 0
		.amdhsa_user_sgpr_private_segment_size 0
		.amdhsa_uses_dynamic_stack 0
		.amdhsa_enable_private_segment 0
		.amdhsa_system_sgpr_workgroup_id_x 1
		.amdhsa_system_sgpr_workgroup_id_y 0
		.amdhsa_system_sgpr_workgroup_id_z 0
		.amdhsa_system_sgpr_workgroup_info 0
		.amdhsa_system_vgpr_workitem_id 0
		.amdhsa_next_free_vgpr 108
		.amdhsa_next_free_sgpr 46
		.amdhsa_accum_offset 108
		.amdhsa_reserve_vcc 1
		.amdhsa_float_round_mode_32 0
		.amdhsa_float_round_mode_16_64 0
		.amdhsa_float_denorm_mode_32 3
		.amdhsa_float_denorm_mode_16_64 3
		.amdhsa_dx10_clamp 1
		.amdhsa_ieee_mode 1
		.amdhsa_fp16_overflow 0
		.amdhsa_tg_split 0
		.amdhsa_exception_fp_ieee_invalid_op 0
		.amdhsa_exception_fp_denorm_src 0
		.amdhsa_exception_fp_ieee_div_zero 0
		.amdhsa_exception_fp_ieee_overflow 0
		.amdhsa_exception_fp_ieee_underflow 0
		.amdhsa_exception_fp_ieee_inexact 0
		.amdhsa_exception_int_div_zero 0
	.end_amdhsa_kernel
	.section	.text._ZN5aiter23act_and_mul_bias_kernelIttifTnPFfRKT2_EXadL_ZNS_11gelu_kernelIfEEfRKT_EELi32EEEvPT0_PS8_PKT1_PS2_il,"axG",@progbits,_ZN5aiter23act_and_mul_bias_kernelIttifTnPFfRKT2_EXadL_ZNS_11gelu_kernelIfEEfRKT_EELi32EEEvPT0_PS8_PKT1_PS2_il,comdat
.Lfunc_end454:
	.size	_ZN5aiter23act_and_mul_bias_kernelIttifTnPFfRKT2_EXadL_ZNS_11gelu_kernelIfEEfRKT_EELi32EEEvPT0_PS8_PKT1_PS2_il, .Lfunc_end454-_ZN5aiter23act_and_mul_bias_kernelIttifTnPFfRKT2_EXadL_ZNS_11gelu_kernelIfEEfRKT_EELi32EEEvPT0_PS8_PKT1_PS2_il
                                        ; -- End function
	.section	.AMDGPU.csdata,"",@progbits
; Kernel info:
; codeLenInByte = 9688
; NumSgprs: 52
; NumVgprs: 108
; NumAgprs: 0
; TotalNumVgprs: 108
; ScratchSize: 0
; MemoryBound: 0
; FloatMode: 240
; IeeeMode: 1
; LDSByteSize: 0 bytes/workgroup (compile time only)
; SGPRBlocks: 6
; VGPRBlocks: 13
; NumSGPRsForWavesPerEU: 52
; NumVGPRsForWavesPerEU: 108
; AccumOffset: 108
; Occupancy: 4
; WaveLimiterHint : 0
; COMPUTE_PGM_RSRC2:SCRATCH_EN: 0
; COMPUTE_PGM_RSRC2:USER_SGPR: 2
; COMPUTE_PGM_RSRC2:TRAP_HANDLER: 0
; COMPUTE_PGM_RSRC2:TGID_X_EN: 1
; COMPUTE_PGM_RSRC2:TGID_Y_EN: 0
; COMPUTE_PGM_RSRC2:TGID_Z_EN: 0
; COMPUTE_PGM_RSRC2:TIDIG_COMP_CNT: 0
; COMPUTE_PGM_RSRC3_GFX90A:ACCUM_OFFSET: 26
; COMPUTE_PGM_RSRC3_GFX90A:TG_SPLIT: 0
	.section	.text._ZN5aiter23act_and_mul_bias_kernelIttifTnPFfRKT2_EXadL_ZNS_11gelu_kernelIfEEfRKT_EELi16EEEvPT0_PS8_PKT1_PS2_il,"axG",@progbits,_ZN5aiter23act_and_mul_bias_kernelIttifTnPFfRKT2_EXadL_ZNS_11gelu_kernelIfEEfRKT_EELi16EEEvPT0_PS8_PKT1_PS2_il,comdat
	.protected	_ZN5aiter23act_and_mul_bias_kernelIttifTnPFfRKT2_EXadL_ZNS_11gelu_kernelIfEEfRKT_EELi16EEEvPT0_PS8_PKT1_PS2_il ; -- Begin function _ZN5aiter23act_and_mul_bias_kernelIttifTnPFfRKT2_EXadL_ZNS_11gelu_kernelIfEEfRKT_EELi16EEEvPT0_PS8_PKT1_PS2_il
	.globl	_ZN5aiter23act_and_mul_bias_kernelIttifTnPFfRKT2_EXadL_ZNS_11gelu_kernelIfEEfRKT_EELi16EEEvPT0_PS8_PKT1_PS2_il
	.p2align	8
	.type	_ZN5aiter23act_and_mul_bias_kernelIttifTnPFfRKT2_EXadL_ZNS_11gelu_kernelIfEEfRKT_EELi16EEEvPT0_PS8_PKT1_PS2_il,@function
_ZN5aiter23act_and_mul_bias_kernelIttifTnPFfRKT2_EXadL_ZNS_11gelu_kernelIfEEfRKT_EELi16EEEvPT0_PS8_PKT1_PS2_il: ; @_ZN5aiter23act_and_mul_bias_kernelIttifTnPFfRKT2_EXadL_ZNS_11gelu_kernelIfEEfRKT_EELi16EEEvPT0_PS8_PKT1_PS2_il
; %bb.0:
	s_load_dword s24, s[0:1], 0x20
	s_load_dwordx2 s[4:5], s[0:1], 0x10
	s_load_dwordx2 s[12:13], s[0:1], 0x28
	s_mov_b32 s3, 0
	s_lshl_b64 s[6:7], s[2:3], 2
	s_waitcnt lgkmcnt(0)
	s_ashr_i32 s25, s24, 31
	s_add_u32 s4, s4, s6
	s_addc_u32 s5, s5, s7
	s_add_i32 s3, s24, 1
	s_load_dword s8, s[4:5], 0x0
	s_load_dwordx2 s[14:15], s[0:1], 0x0
	s_lshr_b32 s4, s3, 31
	s_add_i32 s3, s3, s4
	s_lshl_b32 s3, s3, 1
	s_and_b32 s6, s3, -4
	s_mul_hi_u32 s3, s24, s2
	s_mul_i32 s4, s25, s2
	s_add_i32 s5, s3, s4
	s_mul_i32 s4, s24, s2
	s_waitcnt lgkmcnt(0)
	s_ashr_i32 s9, s8, 31
	s_lshl_b64 s[4:5], s[4:5], 1
	v_mov_b64_e32 v[2:3], s[12:13]
	v_cmp_gt_i64_e64 s[16:17], s[8:9], -1
	s_add_u32 s4, s14, s4
	v_cmp_lt_i64_e32 vcc, s[8:9], v[2:3]
	s_addc_u32 s3, s15, s5
	s_and_b64 s[12:13], s[16:17], vcc
	s_mov_b64 s[10:11], -1
	s_and_b32 s5, s3, 0xffff
	s_and_b64 vcc, exec, s[12:13]
	v_lshlrev_b32_e32 v48, 4, v0
	s_cbranch_vccnz .LBB455_5
; %bb.1:
	v_cmp_gt_i32_e32 vcc, s24, v48
	s_and_saveexec_b64 s[10:11], vcc
	s_cbranch_execz .LBB455_4
; %bb.2:
	s_load_dword s3, s[0:1], 0x3c
	s_mov_b32 s13, 0
	s_mov_b32 s16, s13
	;; [unrolled: 1-line block ×3, first 2 shown]
	v_mov_b32_e32 v49, 0
	v_lshlrev_b32_e32 v6, 5, v0
	s_waitcnt lgkmcnt(0)
	s_and_b32 s3, s3, 0xffff
	s_mov_b32 s18, s13
	s_mov_b32 s19, s13
	v_mov_b64_e32 v[0:1], s[16:17]
	s_lshl_b32 s12, s3, 4
	s_lshl_b32 s3, s3, 5
	s_mov_b64 s[14:15], 0
	s_mov_b32 s7, 0x20000
	v_mov_b64_e32 v[2:3], s[18:19]
	v_mov_b64_e32 v[4:5], v[48:49]
.LBB455_3:                              ; =>This Inner Loop Header: Depth=1
	v_lshl_add_u64 v[4:5], s[12:13], 0, v[4:5]
	v_cmp_le_i64_e32 vcc, s[24:25], v[4:5]
	buffer_store_dwordx4 v[0:3], v6, s[4:7], 0 offen
	buffer_store_dwordx4 v[0:3], v6, s[4:7], 16 offen
	s_or_b64 s[14:15], vcc, s[14:15]
	v_add_u32_e32 v6, s3, v6
	s_andn2_b64 exec, exec, s[14:15]
	s_cbranch_execnz .LBB455_3
.LBB455_4:
	s_or_b64 exec, exec, s[10:11]
	s_mov_b64 s[10:11], 0
.LBB455_5:
	s_andn2_b64 vcc, exec, s[10:11]
	s_cbranch_vccnz .LBB455_73
; %bb.6:
	v_cmp_gt_i32_e32 vcc, s24, v48
	s_and_saveexec_b64 s[10:11], vcc
	s_cbranch_execz .LBB455_73
; %bb.7:
	s_load_dwordx2 s[10:11], s[0:1], 0x18
	s_load_dwordx2 s[14:15], s[0:1], 0x8
	s_mul_hi_i32 s9, s24, s8
	s_mul_i32 s8, s24, s8
	s_lshl_b64 s[8:9], s[8:9], 3
	s_waitcnt lgkmcnt(0)
	s_add_u32 s8, s10, s8
	s_addc_u32 s3, s11, s9
	s_lshl_b64 s[10:11], s[24:25], 2
	s_add_u32 s12, s8, s10
	s_addc_u32 s13, s3, s11
	s_and_b32 s9, s3, 0xffff
	s_mul_i32 s3, s2, s25
	s_mul_hi_u32 s16, s2, s24
	s_add_i32 s3, s16, s3
	s_mul_i32 s2, s2, s24
	s_lshl_b32 s10, s24, 2
	s_and_b32 s13, s13, 0xffff
	s_lshl_b64 s[2:3], s[2:3], 2
	s_add_u32 s16, s14, s2
	s_addc_u32 s14, s15, s3
	s_lshl_b64 s[2:3], s[24:25], 1
	s_add_u32 s20, s16, s2
	s_addc_u32 s2, s14, s3
	s_and_b32 s17, s14, 0xffff
	s_and_b32 s21, s2, 0xffff
	s_mov_b32 s7, 0x20000
	s_add_u32 s0, s0, 48
	s_mov_b32 s11, s7
	s_mov_b64 s[22:23], s[6:7]
	v_mov_b32_e32 v49, 0
	s_addc_u32 s1, s1, 0
	s_mov_b64 s[2:3], 0
	s_mov_b32 s18, s6
	s_mov_b32 s19, s7
	;; [unrolled: 1-line block ×12, first 2 shown]
	v_mov_b32_e32 v50, 0x3ba10414
	s_brev_b32 s38, -2
	s_mov_b32 s39, 0x7060302
	v_mov_b32_e32 v51, 0xb9c68948
	v_mov_b32_e32 v52, 0x7f800000
                                        ; implicit-def: $vgpr0
                                        ; implicit-def: $vgpr0
	;; [unrolled: 1-line block ×4, first 2 shown]
	s_branch .LBB455_9
.LBB455_8:                              ;   in Loop: Header=BB455_9 Depth=1
	s_or_b64 exec, exec, s[14:15]
	v_bfi_b32 v8, s38, v9, v8
	v_mul_f32_e32 v2, 0.5, v2
	v_add_f32_e32 v8, 1.0, v8
	v_mul_f32_e32 v2, v2, v8
	v_and_b32_e32 v8, 0xffff0000, v3
	v_add_f32_e32 v7, v7, v8
	v_lshlrev_b32_e32 v3, 16, v3
	v_bfi_b32 v8, s38, v12, v11
	v_add_f32_e32 v6, v6, v3
	v_mul_f32_e32 v3, 0.5, v10
	v_add_f32_e32 v8, 1.0, v8
	v_mul_f32_e32 v3, v3, v8
	;;#ASMSTART
	v_pk_mul_f32 v[2:3], v[2:3], v[6:7]
	;;#ASMEND
	s_load_dword s14, s[0:1], 0xc
	v_perm_b32 v9, v27, v26, s39
	v_perm_b32 v8, v29, v28, s39
	v_perm_b32 v7, v25, v24, s39
	v_perm_b32 v6, v41, v40, s39
	s_waitcnt lgkmcnt(0)
	s_and_b32 s14, s14, 0xffff
	s_lshl_b32 s26, s14, 4
	v_lshl_add_u64 v[48:49], s[26:27], 0, v[48:49]
	v_cmp_le_i64_e32 vcc, s[24:25], v[48:49]
	v_perm_b32 v3, v3, v2, s39
	v_perm_b32 v2, v5, v4, s39
	;; [unrolled: 1-line block ×4, first 2 shown]
	s_or_b64 s[2:3], vcc, s[2:3]
	buffer_store_dwordx4 v[6:9], v53, s[4:7], 0 offen
	buffer_store_dwordx4 v[0:3], v53, s[4:7], 16 offen
	s_andn2_b64 exec, exec, s[2:3]
	s_cbranch_execz .LBB455_73
.LBB455_9:                              ; =>This Inner Loop Header: Depth=1
	v_lshlrev_b32_e32 v53, 1, v48
	v_lshlrev_b32_e32 v54, 2, v48
	s_mov_b32 s14, s10
	s_mov_b32 s15, s11
	buffer_load_dwordx4 v[32:35], v53, s[16:19], 0 offen
	buffer_load_dwordx4 v[8:11], v53, s[16:19], 16 offen
	buffer_load_dwordx4 v[24:27], v53, s[20:23], 0 offen
	buffer_load_dwordx4 v[0:3], v53, s[20:23], 16 offen
	buffer_load_dwordx4 v[44:47], v54, s[8:11], 0 offen
	buffer_load_dwordx4 v[36:39], v54, s[8:11], 16 offen
	buffer_load_dwordx4 v[20:23], v54, s[8:11], 32 offen
	buffer_load_dwordx4 v[12:15], v54, s[8:11], 48 offen
	buffer_load_dwordx4 v[40:43], v54, s[12:15], 0 offen
	buffer_load_dwordx4 v[28:31], v54, s[12:15], 16 offen
	buffer_load_dwordx4 v[16:19], v54, s[12:15], 32 offen
	buffer_load_dwordx4 v[4:7], v54, s[12:15], 48 offen
                                        ; implicit-def: $vgpr55
	s_waitcnt vmcnt(11)
	v_lshlrev_b32_e32 v54, 16, v32
	s_waitcnt vmcnt(7)
	v_add_f32_e32 v44, v44, v54
	v_mul_f32_e32 v54, 0x3f3504f3, v44
	v_cmp_nlt_f32_e64 s[14:15], |v54|, 1.0
	s_and_saveexec_b64 s[40:41], s[14:15]
	s_xor_b64 s[14:15], exec, s[40:41]
	s_cbranch_execz .LBB455_11
; %bb.10:                               ;   in Loop: Header=BB455_9 Depth=1
	v_fma_f32 v55, |v54|, s28, v51
	v_fma_f32 v55, |v54|, v55, s29
	;; [unrolled: 1-line block ×6, first 2 shown]
	v_fma_f32 v55, |v54|, v55, |v54|
	v_mul_f32_e32 v56, 0xbfb8aa3b, v55
	v_fma_f32 v57, v55, s35, -v56
	v_rndne_f32_e32 v58, v56
	v_fmac_f32_e32 v57, 0xb2a5705f, v55
	v_sub_f32_e32 v56, v56, v58
	v_add_f32_e32 v56, v56, v57
	v_cvt_i32_f32_e32 v57, v58
	v_exp_f32_e32 v56, v56
	v_cmp_nlt_f32_e32 vcc, s36, v55
	v_ldexp_f32 v56, v56, v57
	s_nop 0
	v_cndmask_b32_e32 v56, 0, v56, vcc
	v_cmp_ngt_f32_e32 vcc, s37, v55
	s_nop 1
	v_cndmask_b32_e32 v55, v52, v56, vcc
	v_sub_f32_e32 v55, 1.0, v55
.LBB455_11:                             ;   in Loop: Header=BB455_9 Depth=1
	s_andn2_saveexec_b64 s[14:15], s[14:15]
; %bb.12:                               ;   in Loop: Header=BB455_9 Depth=1
	v_mul_f32_e32 v55, v54, v54
	v_fmamk_f32 v56, v55, 0xba1345e1, v50
	v_fmaak_f32 v56, v55, v56, 0xbcdac9b8
	v_fmaak_f32 v56, v55, v56, 0x3de703be
	;; [unrolled: 1-line block ×4, first 2 shown]
	v_fma_f32 v55, |v54|, v55, |v54|
; %bb.13:                               ;   in Loop: Header=BB455_9 Depth=1
	s_or_b64 exec, exec, s[14:15]
	v_and_b32_e32 v32, 0xffff0000, v32
	v_add_f32_e32 v32, v45, v32
	v_mul_f32_e32 v45, 0x3f3504f3, v32
	v_cmp_nlt_f32_e64 s[14:15], |v45|, 1.0
                                        ; implicit-def: $vgpr56
	s_and_saveexec_b64 s[40:41], s[14:15]
	s_xor_b64 s[14:15], exec, s[40:41]
	s_cbranch_execz .LBB455_15
; %bb.14:                               ;   in Loop: Header=BB455_9 Depth=1
	v_fma_f32 v56, |v45|, s28, v51
	v_fma_f32 v56, |v45|, v56, s29
	;; [unrolled: 1-line block ×6, first 2 shown]
	v_fma_f32 v56, |v45|, v56, |v45|
	v_mul_f32_e32 v57, 0xbfb8aa3b, v56
	v_fma_f32 v58, v56, s35, -v57
	v_rndne_f32_e32 v59, v57
	v_fmac_f32_e32 v58, 0xb2a5705f, v56
	v_sub_f32_e32 v57, v57, v59
	v_add_f32_e32 v57, v57, v58
	v_cvt_i32_f32_e32 v58, v59
	v_exp_f32_e32 v57, v57
	v_cmp_nlt_f32_e32 vcc, s36, v56
	v_ldexp_f32 v57, v57, v58
	s_nop 0
	v_cndmask_b32_e32 v57, 0, v57, vcc
	v_cmp_ngt_f32_e32 vcc, s37, v56
	s_nop 1
	v_cndmask_b32_e32 v56, v52, v57, vcc
	v_sub_f32_e32 v56, 1.0, v56
.LBB455_15:                             ;   in Loop: Header=BB455_9 Depth=1
	s_andn2_saveexec_b64 s[14:15], s[14:15]
; %bb.16:                               ;   in Loop: Header=BB455_9 Depth=1
	v_mul_f32_e32 v56, v45, v45
	v_fmamk_f32 v57, v56, 0xba1345e1, v50
	v_fmaak_f32 v57, v56, v57, 0xbcdac9b8
	v_fmaak_f32 v57, v56, v57, 0x3de703be
	;; [unrolled: 1-line block ×4, first 2 shown]
	v_fma_f32 v56, |v45|, v56, |v45|
; %bb.17:                               ;   in Loop: Header=BB455_9 Depth=1
	s_or_b64 exec, exec, s[14:15]
	v_bfi_b32 v54, s38, v55, v54
	v_mul_f32_e32 v44, 0.5, v44
	v_add_f32_e32 v54, 1.0, v54
	v_mul_f32_e32 v44, v44, v54
	v_and_b32_e32 v54, 0xffff0000, v24
	v_lshlrev_b32_e32 v24, 16, v24
	s_waitcnt vmcnt(3)
	v_add_f32_e32 v40, v40, v24
	v_mul_f32_e32 v24, 0.5, v32
	v_bfi_b32 v32, s38, v56, v45
	v_add_f32_e32 v32, 1.0, v32
	v_mul_f32_e32 v45, v24, v32
	v_lshlrev_b32_e32 v24, 16, v33
	v_add_f32_e32 v24, v46, v24
	v_mul_f32_e32 v32, 0x3f3504f3, v24
	v_add_f32_e32 v41, v41, v54
	v_cmp_nlt_f32_e64 s[14:15], |v32|, 1.0
	;;#ASMSTART
	v_pk_mul_f32 v[40:41], v[44:45], v[40:41]
	;;#ASMEND
                                        ; implicit-def: $vgpr44
	s_and_saveexec_b64 s[40:41], s[14:15]
	s_xor_b64 s[14:15], exec, s[40:41]
	s_cbranch_execz .LBB455_19
; %bb.18:                               ;   in Loop: Header=BB455_9 Depth=1
	v_fma_f32 v44, |v32|, s28, v51
	v_fma_f32 v44, |v32|, v44, s29
	;; [unrolled: 1-line block ×6, first 2 shown]
	v_fma_f32 v44, |v32|, v44, |v32|
	v_mul_f32_e32 v45, 0xbfb8aa3b, v44
	v_fma_f32 v46, v44, s35, -v45
	v_rndne_f32_e32 v54, v45
	v_fmac_f32_e32 v46, 0xb2a5705f, v44
	v_sub_f32_e32 v45, v45, v54
	v_add_f32_e32 v45, v45, v46
	v_cvt_i32_f32_e32 v46, v54
	v_exp_f32_e32 v45, v45
	v_cmp_nlt_f32_e32 vcc, s36, v44
	v_ldexp_f32 v45, v45, v46
	s_nop 0
	v_cndmask_b32_e32 v45, 0, v45, vcc
	v_cmp_ngt_f32_e32 vcc, s37, v44
	s_nop 1
	v_cndmask_b32_e32 v44, v52, v45, vcc
	v_sub_f32_e32 v44, 1.0, v44
.LBB455_19:                             ;   in Loop: Header=BB455_9 Depth=1
	s_andn2_saveexec_b64 s[14:15], s[14:15]
; %bb.20:                               ;   in Loop: Header=BB455_9 Depth=1
	v_mul_f32_e32 v44, v32, v32
	v_fmamk_f32 v45, v44, 0xba1345e1, v50
	v_fmaak_f32 v45, v44, v45, 0xbcdac9b8
	v_fmaak_f32 v45, v44, v45, 0x3de703be
	;; [unrolled: 1-line block ×4, first 2 shown]
	v_fma_f32 v44, |v32|, v44, |v32|
; %bb.21:                               ;   in Loop: Header=BB455_9 Depth=1
	s_or_b64 exec, exec, s[14:15]
	v_and_b32_e32 v33, 0xffff0000, v33
	v_add_f32_e32 v33, v47, v33
	v_mul_f32_e32 v45, 0x3f3504f3, v33
	v_cmp_nlt_f32_e64 s[14:15], |v45|, 1.0
                                        ; implicit-def: $vgpr46
	s_and_saveexec_b64 s[40:41], s[14:15]
	s_xor_b64 s[14:15], exec, s[40:41]
	s_cbranch_execz .LBB455_23
; %bb.22:                               ;   in Loop: Header=BB455_9 Depth=1
	v_fma_f32 v46, |v45|, s28, v51
	v_fma_f32 v46, |v45|, v46, s29
	;; [unrolled: 1-line block ×6, first 2 shown]
	v_fma_f32 v46, |v45|, v46, |v45|
	v_mul_f32_e32 v47, 0xbfb8aa3b, v46
	v_fma_f32 v54, v46, s35, -v47
	v_rndne_f32_e32 v55, v47
	v_fmac_f32_e32 v54, 0xb2a5705f, v46
	v_sub_f32_e32 v47, v47, v55
	v_add_f32_e32 v47, v47, v54
	v_cvt_i32_f32_e32 v54, v55
	v_exp_f32_e32 v47, v47
	v_cmp_nlt_f32_e32 vcc, s36, v46
	v_ldexp_f32 v47, v47, v54
	s_nop 0
	v_cndmask_b32_e32 v47, 0, v47, vcc
	v_cmp_ngt_f32_e32 vcc, s37, v46
	s_nop 1
	v_cndmask_b32_e32 v46, v52, v47, vcc
	v_sub_f32_e32 v46, 1.0, v46
.LBB455_23:                             ;   in Loop: Header=BB455_9 Depth=1
	s_andn2_saveexec_b64 s[14:15], s[14:15]
; %bb.24:                               ;   in Loop: Header=BB455_9 Depth=1
	v_mul_f32_e32 v46, v45, v45
	v_fmamk_f32 v47, v46, 0xba1345e1, v50
	v_fmaak_f32 v47, v46, v47, 0xbcdac9b8
	v_fmaak_f32 v47, v46, v47, 0x3de703be
	;; [unrolled: 1-line block ×4, first 2 shown]
	v_fma_f32 v46, |v45|, v46, |v45|
; %bb.25:                               ;   in Loop: Header=BB455_9 Depth=1
	s_or_b64 exec, exec, s[14:15]
	v_bfi_b32 v32, s38, v44, v32
	v_mul_f32_e32 v24, 0.5, v24
	v_add_f32_e32 v32, 1.0, v32
	v_mul_f32_e32 v24, v24, v32
	v_and_b32_e32 v32, 0xffff0000, v25
	v_add_f32_e32 v43, v43, v32
	v_lshlrev_b32_e32 v25, 16, v25
	v_bfi_b32 v32, s38, v46, v45
	v_add_f32_e32 v42, v42, v25
	v_mul_f32_e32 v25, 0.5, v33
	v_add_f32_e32 v32, 1.0, v32
	v_mul_f32_e32 v25, v25, v32
	v_lshlrev_b32_e32 v32, 16, v34
	v_add_f32_e32 v32, v36, v32
	v_mul_f32_e32 v33, 0x3f3504f3, v32
	v_cmp_nlt_f32_e64 s[14:15], |v33|, 1.0
	;;#ASMSTART
	v_pk_mul_f32 v[24:25], v[24:25], v[42:43]
	;;#ASMEND
                                        ; implicit-def: $vgpr36
	s_and_saveexec_b64 s[40:41], s[14:15]
	s_xor_b64 s[14:15], exec, s[40:41]
	s_cbranch_execz .LBB455_27
; %bb.26:                               ;   in Loop: Header=BB455_9 Depth=1
	v_fma_f32 v36, |v33|, s28, v51
	v_fma_f32 v36, |v33|, v36, s29
	;; [unrolled: 1-line block ×6, first 2 shown]
	v_fma_f32 v36, |v33|, v36, |v33|
	v_mul_f32_e32 v42, 0xbfb8aa3b, v36
	v_fma_f32 v43, v36, s35, -v42
	v_rndne_f32_e32 v44, v42
	v_fmac_f32_e32 v43, 0xb2a5705f, v36
	v_sub_f32_e32 v42, v42, v44
	v_add_f32_e32 v42, v42, v43
	v_cvt_i32_f32_e32 v43, v44
	v_exp_f32_e32 v42, v42
	v_cmp_nlt_f32_e32 vcc, s36, v36
	v_ldexp_f32 v42, v42, v43
	s_nop 0
	v_cndmask_b32_e32 v42, 0, v42, vcc
	v_cmp_ngt_f32_e32 vcc, s37, v36
	s_nop 1
	v_cndmask_b32_e32 v36, v52, v42, vcc
	v_sub_f32_e32 v36, 1.0, v36
.LBB455_27:                             ;   in Loop: Header=BB455_9 Depth=1
	s_andn2_saveexec_b64 s[14:15], s[14:15]
; %bb.28:                               ;   in Loop: Header=BB455_9 Depth=1
	v_mul_f32_e32 v36, v33, v33
	v_fmamk_f32 v42, v36, 0xba1345e1, v50
	v_fmaak_f32 v42, v36, v42, 0xbcdac9b8
	v_fmaak_f32 v42, v36, v42, 0x3de703be
	;; [unrolled: 1-line block ×4, first 2 shown]
	v_fma_f32 v36, |v33|, v36, |v33|
; %bb.29:                               ;   in Loop: Header=BB455_9 Depth=1
	s_or_b64 exec, exec, s[14:15]
	v_and_b32_e32 v34, 0xffff0000, v34
	v_add_f32_e32 v34, v37, v34
	v_mul_f32_e32 v37, 0x3f3504f3, v34
	v_cmp_nlt_f32_e64 s[14:15], |v37|, 1.0
                                        ; implicit-def: $vgpr42
	s_and_saveexec_b64 s[40:41], s[14:15]
	s_xor_b64 s[14:15], exec, s[40:41]
	s_cbranch_execz .LBB455_31
; %bb.30:                               ;   in Loop: Header=BB455_9 Depth=1
	v_fma_f32 v42, |v37|, s28, v51
	v_fma_f32 v42, |v37|, v42, s29
	;; [unrolled: 1-line block ×6, first 2 shown]
	v_fma_f32 v42, |v37|, v42, |v37|
	v_mul_f32_e32 v43, 0xbfb8aa3b, v42
	v_fma_f32 v44, v42, s35, -v43
	v_rndne_f32_e32 v45, v43
	v_fmac_f32_e32 v44, 0xb2a5705f, v42
	v_sub_f32_e32 v43, v43, v45
	v_add_f32_e32 v43, v43, v44
	v_cvt_i32_f32_e32 v44, v45
	v_exp_f32_e32 v43, v43
	v_cmp_nlt_f32_e32 vcc, s36, v42
	v_ldexp_f32 v43, v43, v44
	s_nop 0
	v_cndmask_b32_e32 v43, 0, v43, vcc
	v_cmp_ngt_f32_e32 vcc, s37, v42
	s_nop 1
	v_cndmask_b32_e32 v42, v52, v43, vcc
	v_sub_f32_e32 v42, 1.0, v42
.LBB455_31:                             ;   in Loop: Header=BB455_9 Depth=1
	s_andn2_saveexec_b64 s[14:15], s[14:15]
; %bb.32:                               ;   in Loop: Header=BB455_9 Depth=1
	v_mul_f32_e32 v42, v37, v37
	v_fmamk_f32 v43, v42, 0xba1345e1, v50
	v_fmaak_f32 v43, v42, v43, 0xbcdac9b8
	v_fmaak_f32 v43, v42, v43, 0x3de703be
	;; [unrolled: 1-line block ×4, first 2 shown]
	v_fma_f32 v42, |v37|, v42, |v37|
; %bb.33:                               ;   in Loop: Header=BB455_9 Depth=1
	s_or_b64 exec, exec, s[14:15]
	v_bfi_b32 v33, s38, v36, v33
	v_mul_f32_e32 v32, 0.5, v32
	v_add_f32_e32 v33, 1.0, v33
	v_mul_f32_e32 v32, v32, v33
	v_and_b32_e32 v33, 0xffff0000, v26
	s_waitcnt vmcnt(2)
	v_add_f32_e32 v29, v29, v33
	v_lshlrev_b32_e32 v26, 16, v26
	v_bfi_b32 v33, s38, v42, v37
	v_add_f32_e32 v28, v28, v26
	v_mul_f32_e32 v26, 0.5, v34
	v_add_f32_e32 v33, 1.0, v33
	v_mul_f32_e32 v33, v26, v33
	v_lshlrev_b32_e32 v26, 16, v35
	v_add_f32_e32 v26, v38, v26
	;;#ASMSTART
	v_pk_mul_f32 v[28:29], v[32:33], v[28:29]
	;;#ASMEND
	v_mul_f32_e32 v32, 0x3f3504f3, v26
	v_cmp_nlt_f32_e64 s[14:15], |v32|, 1.0
                                        ; implicit-def: $vgpr33
	s_and_saveexec_b64 s[40:41], s[14:15]
	s_xor_b64 s[14:15], exec, s[40:41]
	s_cbranch_execz .LBB455_35
; %bb.34:                               ;   in Loop: Header=BB455_9 Depth=1
	v_fma_f32 v33, |v32|, s28, v51
	v_fma_f32 v33, |v32|, v33, s29
	;; [unrolled: 1-line block ×6, first 2 shown]
	v_fma_f32 v33, |v32|, v33, |v32|
	v_mul_f32_e32 v34, 0xbfb8aa3b, v33
	v_fma_f32 v36, v33, s35, -v34
	v_rndne_f32_e32 v37, v34
	v_fmac_f32_e32 v36, 0xb2a5705f, v33
	v_sub_f32_e32 v34, v34, v37
	v_add_f32_e32 v34, v34, v36
	v_cvt_i32_f32_e32 v36, v37
	v_exp_f32_e32 v34, v34
	v_cmp_nlt_f32_e32 vcc, s36, v33
	v_ldexp_f32 v34, v34, v36
	s_nop 0
	v_cndmask_b32_e32 v34, 0, v34, vcc
	v_cmp_ngt_f32_e32 vcc, s37, v33
	s_nop 1
	v_cndmask_b32_e32 v33, v52, v34, vcc
	v_sub_f32_e32 v33, 1.0, v33
.LBB455_35:                             ;   in Loop: Header=BB455_9 Depth=1
	s_andn2_saveexec_b64 s[14:15], s[14:15]
; %bb.36:                               ;   in Loop: Header=BB455_9 Depth=1
	v_mul_f32_e32 v33, v32, v32
	v_fmamk_f32 v34, v33, 0xba1345e1, v50
	v_fmaak_f32 v34, v33, v34, 0xbcdac9b8
	v_fmaak_f32 v34, v33, v34, 0x3de703be
	;; [unrolled: 1-line block ×4, first 2 shown]
	v_fma_f32 v33, |v32|, v33, |v32|
; %bb.37:                               ;   in Loop: Header=BB455_9 Depth=1
	s_or_b64 exec, exec, s[14:15]
	v_and_b32_e32 v34, 0xffff0000, v35
	v_add_f32_e32 v34, v39, v34
	v_mul_f32_e32 v35, 0x3f3504f3, v34
	v_cmp_nlt_f32_e64 s[14:15], |v35|, 1.0
                                        ; implicit-def: $vgpr36
	s_and_saveexec_b64 s[40:41], s[14:15]
	s_xor_b64 s[14:15], exec, s[40:41]
	s_cbranch_execz .LBB455_39
; %bb.38:                               ;   in Loop: Header=BB455_9 Depth=1
	v_fma_f32 v36, |v35|, s28, v51
	v_fma_f32 v36, |v35|, v36, s29
	;; [unrolled: 1-line block ×6, first 2 shown]
	v_fma_f32 v36, |v35|, v36, |v35|
	v_mul_f32_e32 v37, 0xbfb8aa3b, v36
	v_fma_f32 v38, v36, s35, -v37
	v_rndne_f32_e32 v39, v37
	v_fmac_f32_e32 v38, 0xb2a5705f, v36
	v_sub_f32_e32 v37, v37, v39
	v_add_f32_e32 v37, v37, v38
	v_cvt_i32_f32_e32 v38, v39
	v_exp_f32_e32 v37, v37
	v_cmp_nlt_f32_e32 vcc, s36, v36
	v_ldexp_f32 v37, v37, v38
	s_nop 0
	v_cndmask_b32_e32 v37, 0, v37, vcc
	v_cmp_ngt_f32_e32 vcc, s37, v36
	s_nop 1
	v_cndmask_b32_e32 v36, v52, v37, vcc
	v_sub_f32_e32 v36, 1.0, v36
.LBB455_39:                             ;   in Loop: Header=BB455_9 Depth=1
	s_andn2_saveexec_b64 s[14:15], s[14:15]
; %bb.40:                               ;   in Loop: Header=BB455_9 Depth=1
	v_mul_f32_e32 v36, v35, v35
	v_fmamk_f32 v37, v36, 0xba1345e1, v50
	v_fmaak_f32 v37, v36, v37, 0xbcdac9b8
	v_fmaak_f32 v37, v36, v37, 0x3de703be
	;; [unrolled: 1-line block ×4, first 2 shown]
	v_fma_f32 v36, |v35|, v36, |v35|
; %bb.41:                               ;   in Loop: Header=BB455_9 Depth=1
	s_or_b64 exec, exec, s[14:15]
	v_bfi_b32 v32, s38, v33, v32
	v_mul_f32_e32 v26, 0.5, v26
	v_add_f32_e32 v32, 1.0, v32
	v_mul_f32_e32 v26, v26, v32
	v_and_b32_e32 v32, 0xffff0000, v27
	v_add_f32_e32 v31, v31, v32
	v_lshlrev_b32_e32 v27, 16, v27
	v_bfi_b32 v32, s38, v36, v35
	v_add_f32_e32 v30, v30, v27
	v_mul_f32_e32 v27, 0.5, v34
	v_add_f32_e32 v32, 1.0, v32
	v_mul_f32_e32 v27, v27, v32
	;;#ASMSTART
	v_pk_mul_f32 v[26:27], v[26:27], v[30:31]
	;;#ASMEND
	v_lshlrev_b32_e32 v30, 16, v8
	v_add_f32_e32 v20, v20, v30
	v_mul_f32_e32 v30, 0x3f3504f3, v20
	v_cmp_nlt_f32_e64 s[14:15], |v30|, 1.0
                                        ; implicit-def: $vgpr31
	s_and_saveexec_b64 s[40:41], s[14:15]
	s_xor_b64 s[14:15], exec, s[40:41]
	s_cbranch_execz .LBB455_43
; %bb.42:                               ;   in Loop: Header=BB455_9 Depth=1
	v_fma_f32 v31, |v30|, s28, v51
	v_fma_f32 v31, |v30|, v31, s29
	;; [unrolled: 1-line block ×6, first 2 shown]
	v_fma_f32 v31, |v30|, v31, |v30|
	v_mul_f32_e32 v32, 0xbfb8aa3b, v31
	v_fma_f32 v33, v31, s35, -v32
	v_rndne_f32_e32 v34, v32
	v_fmac_f32_e32 v33, 0xb2a5705f, v31
	v_sub_f32_e32 v32, v32, v34
	v_add_f32_e32 v32, v32, v33
	v_cvt_i32_f32_e32 v33, v34
	v_exp_f32_e32 v32, v32
	v_cmp_nlt_f32_e32 vcc, s36, v31
	v_ldexp_f32 v32, v32, v33
	s_nop 0
	v_cndmask_b32_e32 v32, 0, v32, vcc
	v_cmp_ngt_f32_e32 vcc, s37, v31
	s_nop 1
	v_cndmask_b32_e32 v31, v52, v32, vcc
	v_sub_f32_e32 v31, 1.0, v31
.LBB455_43:                             ;   in Loop: Header=BB455_9 Depth=1
	s_andn2_saveexec_b64 s[14:15], s[14:15]
; %bb.44:                               ;   in Loop: Header=BB455_9 Depth=1
	v_mul_f32_e32 v31, v30, v30
	v_fmamk_f32 v32, v31, 0xba1345e1, v50
	v_fmaak_f32 v32, v31, v32, 0xbcdac9b8
	v_fmaak_f32 v32, v31, v32, 0x3de703be
	;; [unrolled: 1-line block ×4, first 2 shown]
	v_fma_f32 v31, |v30|, v31, |v30|
; %bb.45:                               ;   in Loop: Header=BB455_9 Depth=1
	s_or_b64 exec, exec, s[14:15]
	v_and_b32_e32 v8, 0xffff0000, v8
	v_add_f32_e32 v8, v21, v8
	v_mul_f32_e32 v21, 0x3f3504f3, v8
	v_cmp_nlt_f32_e64 s[14:15], |v21|, 1.0
                                        ; implicit-def: $vgpr32
	s_and_saveexec_b64 s[40:41], s[14:15]
	s_xor_b64 s[14:15], exec, s[40:41]
	s_cbranch_execz .LBB455_47
; %bb.46:                               ;   in Loop: Header=BB455_9 Depth=1
	v_fma_f32 v32, |v21|, s28, v51
	v_fma_f32 v32, |v21|, v32, s29
	v_fma_f32 v32, |v21|, v32, s30
	v_fma_f32 v32, |v21|, v32, s31
	v_fma_f32 v32, |v21|, v32, s33
	v_fma_f32 v32, |v21|, v32, s34
	v_fma_f32 v32, |v21|, v32, |v21|
	v_mul_f32_e32 v33, 0xbfb8aa3b, v32
	v_fma_f32 v34, v32, s35, -v33
	v_rndne_f32_e32 v35, v33
	v_fmac_f32_e32 v34, 0xb2a5705f, v32
	v_sub_f32_e32 v33, v33, v35
	v_add_f32_e32 v33, v33, v34
	v_cvt_i32_f32_e32 v34, v35
	v_exp_f32_e32 v33, v33
	v_cmp_nlt_f32_e32 vcc, s36, v32
	v_ldexp_f32 v33, v33, v34
	s_nop 0
	v_cndmask_b32_e32 v33, 0, v33, vcc
	v_cmp_ngt_f32_e32 vcc, s37, v32
	s_nop 1
	v_cndmask_b32_e32 v32, v52, v33, vcc
	v_sub_f32_e32 v32, 1.0, v32
.LBB455_47:                             ;   in Loop: Header=BB455_9 Depth=1
	s_andn2_saveexec_b64 s[14:15], s[14:15]
; %bb.48:                               ;   in Loop: Header=BB455_9 Depth=1
	v_mul_f32_e32 v32, v21, v21
	v_fmamk_f32 v33, v32, 0xba1345e1, v50
	v_fmaak_f32 v33, v32, v33, 0xbcdac9b8
	v_fmaak_f32 v33, v32, v33, 0x3de703be
	;; [unrolled: 1-line block ×4, first 2 shown]
	v_fma_f32 v32, |v21|, v32, |v21|
; %bb.49:                               ;   in Loop: Header=BB455_9 Depth=1
	s_or_b64 exec, exec, s[14:15]
	v_bfi_b32 v30, s38, v31, v30
	v_mul_f32_e32 v20, 0.5, v20
	v_add_f32_e32 v30, 1.0, v30
	v_mul_f32_e32 v20, v20, v30
	v_and_b32_e32 v30, 0xffff0000, v0
	v_lshlrev_b32_e32 v0, 16, v0
	s_waitcnt vmcnt(1)
	v_add_f32_e32 v16, v16, v0
	v_mul_f32_e32 v0, 0.5, v8
	v_bfi_b32 v8, s38, v32, v21
	v_add_f32_e32 v8, 1.0, v8
	v_mul_f32_e32 v21, v0, v8
	v_lshlrev_b32_e32 v0, 16, v9
	v_add_f32_e32 v0, v22, v0
	v_mul_f32_e32 v8, 0x3f3504f3, v0
	v_add_f32_e32 v17, v17, v30
	v_cmp_nlt_f32_e64 s[14:15], |v8|, 1.0
	;;#ASMSTART
	v_pk_mul_f32 v[16:17], v[20:21], v[16:17]
	;;#ASMEND
                                        ; implicit-def: $vgpr20
	s_and_saveexec_b64 s[40:41], s[14:15]
	s_xor_b64 s[14:15], exec, s[40:41]
	s_cbranch_execz .LBB455_51
; %bb.50:                               ;   in Loop: Header=BB455_9 Depth=1
	v_fma_f32 v20, |v8|, s28, v51
	v_fma_f32 v20, |v8|, v20, s29
	;; [unrolled: 1-line block ×6, first 2 shown]
	v_fma_f32 v20, |v8|, v20, |v8|
	v_mul_f32_e32 v21, 0xbfb8aa3b, v20
	v_fma_f32 v22, v20, s35, -v21
	v_rndne_f32_e32 v30, v21
	v_fmac_f32_e32 v22, 0xb2a5705f, v20
	v_sub_f32_e32 v21, v21, v30
	v_add_f32_e32 v21, v21, v22
	v_cvt_i32_f32_e32 v22, v30
	v_exp_f32_e32 v21, v21
	v_cmp_nlt_f32_e32 vcc, s36, v20
	v_ldexp_f32 v21, v21, v22
	s_nop 0
	v_cndmask_b32_e32 v21, 0, v21, vcc
	v_cmp_ngt_f32_e32 vcc, s37, v20
	s_nop 1
	v_cndmask_b32_e32 v20, v52, v21, vcc
	v_sub_f32_e32 v20, 1.0, v20
.LBB455_51:                             ;   in Loop: Header=BB455_9 Depth=1
	s_andn2_saveexec_b64 s[14:15], s[14:15]
; %bb.52:                               ;   in Loop: Header=BB455_9 Depth=1
	v_mul_f32_e32 v20, v8, v8
	v_fmamk_f32 v21, v20, 0xba1345e1, v50
	v_fmaak_f32 v21, v20, v21, 0xbcdac9b8
	v_fmaak_f32 v21, v20, v21, 0x3de703be
	;; [unrolled: 1-line block ×4, first 2 shown]
	v_fma_f32 v20, |v8|, v20, |v8|
; %bb.53:                               ;   in Loop: Header=BB455_9 Depth=1
	s_or_b64 exec, exec, s[14:15]
	v_and_b32_e32 v9, 0xffff0000, v9
	v_add_f32_e32 v9, v23, v9
	v_mul_f32_e32 v21, 0x3f3504f3, v9
	v_cmp_nlt_f32_e64 s[14:15], |v21|, 1.0
                                        ; implicit-def: $vgpr22
	s_and_saveexec_b64 s[40:41], s[14:15]
	s_xor_b64 s[14:15], exec, s[40:41]
	s_cbranch_execz .LBB455_55
; %bb.54:                               ;   in Loop: Header=BB455_9 Depth=1
	v_fma_f32 v22, |v21|, s28, v51
	v_fma_f32 v22, |v21|, v22, s29
	;; [unrolled: 1-line block ×6, first 2 shown]
	v_fma_f32 v22, |v21|, v22, |v21|
	v_mul_f32_e32 v23, 0xbfb8aa3b, v22
	v_fma_f32 v30, v22, s35, -v23
	v_rndne_f32_e32 v31, v23
	v_fmac_f32_e32 v30, 0xb2a5705f, v22
	v_sub_f32_e32 v23, v23, v31
	v_add_f32_e32 v23, v23, v30
	v_cvt_i32_f32_e32 v30, v31
	v_exp_f32_e32 v23, v23
	v_cmp_nlt_f32_e32 vcc, s36, v22
	v_ldexp_f32 v23, v23, v30
	s_nop 0
	v_cndmask_b32_e32 v23, 0, v23, vcc
	v_cmp_ngt_f32_e32 vcc, s37, v22
	s_nop 1
	v_cndmask_b32_e32 v22, v52, v23, vcc
	v_sub_f32_e32 v22, 1.0, v22
.LBB455_55:                             ;   in Loop: Header=BB455_9 Depth=1
	s_andn2_saveexec_b64 s[14:15], s[14:15]
; %bb.56:                               ;   in Loop: Header=BB455_9 Depth=1
	v_mul_f32_e32 v22, v21, v21
	v_fmamk_f32 v23, v22, 0xba1345e1, v50
	v_fmaak_f32 v23, v22, v23, 0xbcdac9b8
	v_fmaak_f32 v23, v22, v23, 0x3de703be
	;; [unrolled: 1-line block ×4, first 2 shown]
	v_fma_f32 v22, |v21|, v22, |v21|
; %bb.57:                               ;   in Loop: Header=BB455_9 Depth=1
	s_or_b64 exec, exec, s[14:15]
	v_bfi_b32 v8, s38, v20, v8
	v_mul_f32_e32 v0, 0.5, v0
	v_add_f32_e32 v8, 1.0, v8
	v_mul_f32_e32 v0, v0, v8
	v_and_b32_e32 v8, 0xffff0000, v1
	v_add_f32_e32 v19, v19, v8
	v_lshlrev_b32_e32 v1, 16, v1
	v_bfi_b32 v8, s38, v22, v21
	v_add_f32_e32 v18, v18, v1
	v_mul_f32_e32 v1, 0.5, v9
	v_add_f32_e32 v8, 1.0, v8
	v_mul_f32_e32 v1, v1, v8
	v_lshlrev_b32_e32 v8, 16, v10
	v_add_f32_e32 v8, v12, v8
	v_mul_f32_e32 v9, 0x3f3504f3, v8
	v_cmp_nlt_f32_e64 s[14:15], |v9|, 1.0
	;;#ASMSTART
	v_pk_mul_f32 v[0:1], v[0:1], v[18:19]
	;;#ASMEND
                                        ; implicit-def: $vgpr12
	s_and_saveexec_b64 s[40:41], s[14:15]
	s_xor_b64 s[14:15], exec, s[40:41]
	s_cbranch_execz .LBB455_59
; %bb.58:                               ;   in Loop: Header=BB455_9 Depth=1
	v_fma_f32 v12, |v9|, s28, v51
	v_fma_f32 v12, |v9|, v12, s29
	;; [unrolled: 1-line block ×6, first 2 shown]
	v_fma_f32 v12, |v9|, v12, |v9|
	v_mul_f32_e32 v18, 0xbfb8aa3b, v12
	v_fma_f32 v19, v12, s35, -v18
	v_rndne_f32_e32 v20, v18
	v_fmac_f32_e32 v19, 0xb2a5705f, v12
	v_sub_f32_e32 v18, v18, v20
	v_add_f32_e32 v18, v18, v19
	v_cvt_i32_f32_e32 v19, v20
	v_exp_f32_e32 v18, v18
	v_cmp_nlt_f32_e32 vcc, s36, v12
	v_ldexp_f32 v18, v18, v19
	s_nop 0
	v_cndmask_b32_e32 v18, 0, v18, vcc
	v_cmp_ngt_f32_e32 vcc, s37, v12
	s_nop 1
	v_cndmask_b32_e32 v12, v52, v18, vcc
	v_sub_f32_e32 v12, 1.0, v12
.LBB455_59:                             ;   in Loop: Header=BB455_9 Depth=1
	s_andn2_saveexec_b64 s[14:15], s[14:15]
; %bb.60:                               ;   in Loop: Header=BB455_9 Depth=1
	v_mul_f32_e32 v12, v9, v9
	v_fmamk_f32 v18, v12, 0xba1345e1, v50
	v_fmaak_f32 v18, v12, v18, 0xbcdac9b8
	v_fmaak_f32 v18, v12, v18, 0x3de703be
	v_fmaak_f32 v18, v12, v18, 0xbec09330
	v_fmaak_f32 v12, v12, v18, 0x3e0375d0
	v_fma_f32 v12, |v9|, v12, |v9|
; %bb.61:                               ;   in Loop: Header=BB455_9 Depth=1
	s_or_b64 exec, exec, s[14:15]
	v_and_b32_e32 v10, 0xffff0000, v10
	v_add_f32_e32 v10, v13, v10
	v_mul_f32_e32 v13, 0x3f3504f3, v10
	v_cmp_nlt_f32_e64 s[14:15], |v13|, 1.0
                                        ; implicit-def: $vgpr18
	s_and_saveexec_b64 s[40:41], s[14:15]
	s_xor_b64 s[14:15], exec, s[40:41]
	s_cbranch_execz .LBB455_63
; %bb.62:                               ;   in Loop: Header=BB455_9 Depth=1
	v_fma_f32 v18, |v13|, s28, v51
	v_fma_f32 v18, |v13|, v18, s29
	;; [unrolled: 1-line block ×6, first 2 shown]
	v_fma_f32 v18, |v13|, v18, |v13|
	v_mul_f32_e32 v19, 0xbfb8aa3b, v18
	v_fma_f32 v20, v18, s35, -v19
	v_rndne_f32_e32 v21, v19
	v_fmac_f32_e32 v20, 0xb2a5705f, v18
	v_sub_f32_e32 v19, v19, v21
	v_add_f32_e32 v19, v19, v20
	v_cvt_i32_f32_e32 v20, v21
	v_exp_f32_e32 v19, v19
	v_cmp_nlt_f32_e32 vcc, s36, v18
	v_ldexp_f32 v19, v19, v20
	s_nop 0
	v_cndmask_b32_e32 v19, 0, v19, vcc
	v_cmp_ngt_f32_e32 vcc, s37, v18
	s_nop 1
	v_cndmask_b32_e32 v18, v52, v19, vcc
	v_sub_f32_e32 v18, 1.0, v18
.LBB455_63:                             ;   in Loop: Header=BB455_9 Depth=1
	s_andn2_saveexec_b64 s[14:15], s[14:15]
; %bb.64:                               ;   in Loop: Header=BB455_9 Depth=1
	v_mul_f32_e32 v18, v13, v13
	v_fmamk_f32 v19, v18, 0xba1345e1, v50
	v_fmaak_f32 v19, v18, v19, 0xbcdac9b8
	v_fmaak_f32 v19, v18, v19, 0x3de703be
	;; [unrolled: 1-line block ×4, first 2 shown]
	v_fma_f32 v18, |v13|, v18, |v13|
; %bb.65:                               ;   in Loop: Header=BB455_9 Depth=1
	s_or_b64 exec, exec, s[14:15]
	v_bfi_b32 v9, s38, v12, v9
	v_mul_f32_e32 v8, 0.5, v8
	v_add_f32_e32 v9, 1.0, v9
	v_mul_f32_e32 v8, v8, v9
	v_and_b32_e32 v9, 0xffff0000, v2
	s_waitcnt vmcnt(0)
	v_add_f32_e32 v5, v5, v9
	v_lshlrev_b32_e32 v2, 16, v2
	v_bfi_b32 v9, s38, v18, v13
	v_add_f32_e32 v4, v4, v2
	v_mul_f32_e32 v2, 0.5, v10
	v_add_f32_e32 v9, 1.0, v9
	v_mul_f32_e32 v9, v2, v9
	v_lshlrev_b32_e32 v2, 16, v11
	v_add_f32_e32 v2, v14, v2
	;;#ASMSTART
	v_pk_mul_f32 v[4:5], v[8:9], v[4:5]
	;;#ASMEND
	v_mul_f32_e32 v8, 0x3f3504f3, v2
	v_cmp_nlt_f32_e64 s[14:15], |v8|, 1.0
                                        ; implicit-def: $vgpr9
	s_and_saveexec_b64 s[40:41], s[14:15]
	s_xor_b64 s[14:15], exec, s[40:41]
	s_cbranch_execz .LBB455_67
; %bb.66:                               ;   in Loop: Header=BB455_9 Depth=1
	v_fma_f32 v9, |v8|, s28, v51
	v_fma_f32 v9, |v8|, v9, s29
	;; [unrolled: 1-line block ×6, first 2 shown]
	v_fma_f32 v9, |v8|, v9, |v8|
	v_mul_f32_e32 v10, 0xbfb8aa3b, v9
	v_fma_f32 v12, v9, s35, -v10
	v_rndne_f32_e32 v13, v10
	v_fmac_f32_e32 v12, 0xb2a5705f, v9
	v_sub_f32_e32 v10, v10, v13
	v_add_f32_e32 v10, v10, v12
	v_cvt_i32_f32_e32 v12, v13
	v_exp_f32_e32 v10, v10
	v_cmp_nlt_f32_e32 vcc, s36, v9
	v_ldexp_f32 v10, v10, v12
	s_nop 0
	v_cndmask_b32_e32 v10, 0, v10, vcc
	v_cmp_ngt_f32_e32 vcc, s37, v9
	s_nop 1
	v_cndmask_b32_e32 v9, v52, v10, vcc
	v_sub_f32_e32 v9, 1.0, v9
.LBB455_67:                             ;   in Loop: Header=BB455_9 Depth=1
	s_andn2_saveexec_b64 s[14:15], s[14:15]
; %bb.68:                               ;   in Loop: Header=BB455_9 Depth=1
	v_mul_f32_e32 v9, v8, v8
	v_fmamk_f32 v10, v9, 0xba1345e1, v50
	v_fmaak_f32 v10, v9, v10, 0xbcdac9b8
	v_fmaak_f32 v10, v9, v10, 0x3de703be
	;; [unrolled: 1-line block ×4, first 2 shown]
	v_fma_f32 v9, |v8|, v9, |v8|
; %bb.69:                               ;   in Loop: Header=BB455_9 Depth=1
	s_or_b64 exec, exec, s[14:15]
	v_and_b32_e32 v10, 0xffff0000, v11
	v_add_f32_e32 v10, v15, v10
	v_mul_f32_e32 v11, 0x3f3504f3, v10
	v_cmp_nlt_f32_e64 s[14:15], |v11|, 1.0
                                        ; implicit-def: $vgpr12
	s_and_saveexec_b64 s[40:41], s[14:15]
	s_xor_b64 s[14:15], exec, s[40:41]
	s_cbranch_execz .LBB455_71
; %bb.70:                               ;   in Loop: Header=BB455_9 Depth=1
	v_fma_f32 v12, |v11|, s28, v51
	v_fma_f32 v12, |v11|, v12, s29
	;; [unrolled: 1-line block ×6, first 2 shown]
	v_fma_f32 v12, |v11|, v12, |v11|
	v_mul_f32_e32 v13, 0xbfb8aa3b, v12
	v_fma_f32 v14, v12, s35, -v13
	v_rndne_f32_e32 v15, v13
	v_fmac_f32_e32 v14, 0xb2a5705f, v12
	v_sub_f32_e32 v13, v13, v15
	v_add_f32_e32 v13, v13, v14
	v_cvt_i32_f32_e32 v14, v15
	v_exp_f32_e32 v13, v13
	v_cmp_nlt_f32_e32 vcc, s36, v12
	v_ldexp_f32 v13, v13, v14
	s_nop 0
	v_cndmask_b32_e32 v13, 0, v13, vcc
	v_cmp_ngt_f32_e32 vcc, s37, v12
	s_nop 1
	v_cndmask_b32_e32 v12, v52, v13, vcc
	v_sub_f32_e32 v12, 1.0, v12
.LBB455_71:                             ;   in Loop: Header=BB455_9 Depth=1
	s_andn2_saveexec_b64 s[14:15], s[14:15]
	s_cbranch_execz .LBB455_8
; %bb.72:                               ;   in Loop: Header=BB455_9 Depth=1
	v_mul_f32_e32 v12, v11, v11
	v_fmamk_f32 v13, v12, 0xba1345e1, v50
	v_fmaak_f32 v13, v12, v13, 0xbcdac9b8
	v_fmaak_f32 v13, v12, v13, 0x3de703be
	v_fmaak_f32 v13, v12, v13, 0xbec09330
	v_fmaak_f32 v12, v12, v13, 0x3e0375d0
	v_fma_f32 v12, |v11|, v12, |v11|
	s_branch .LBB455_8
.LBB455_73:
	s_endpgm
	.section	.rodata,"a",@progbits
	.p2align	6, 0x0
	.amdhsa_kernel _ZN5aiter23act_and_mul_bias_kernelIttifTnPFfRKT2_EXadL_ZNS_11gelu_kernelIfEEfRKT_EELi16EEEvPT0_PS8_PKT1_PS2_il
		.amdhsa_group_segment_fixed_size 0
		.amdhsa_private_segment_fixed_size 0
		.amdhsa_kernarg_size 304
		.amdhsa_user_sgpr_count 2
		.amdhsa_user_sgpr_dispatch_ptr 0
		.amdhsa_user_sgpr_queue_ptr 0
		.amdhsa_user_sgpr_kernarg_segment_ptr 1
		.amdhsa_user_sgpr_dispatch_id 0
		.amdhsa_user_sgpr_kernarg_preload_length 0
		.amdhsa_user_sgpr_kernarg_preload_offset 0
		.amdhsa_user_sgpr_private_segment_size 0
		.amdhsa_uses_dynamic_stack 0
		.amdhsa_enable_private_segment 0
		.amdhsa_system_sgpr_workgroup_id_x 1
		.amdhsa_system_sgpr_workgroup_id_y 0
		.amdhsa_system_sgpr_workgroup_id_z 0
		.amdhsa_system_sgpr_workgroup_info 0
		.amdhsa_system_vgpr_workitem_id 0
		.amdhsa_next_free_vgpr 60
		.amdhsa_next_free_sgpr 42
		.amdhsa_accum_offset 60
		.amdhsa_reserve_vcc 1
		.amdhsa_float_round_mode_32 0
		.amdhsa_float_round_mode_16_64 0
		.amdhsa_float_denorm_mode_32 3
		.amdhsa_float_denorm_mode_16_64 3
		.amdhsa_dx10_clamp 1
		.amdhsa_ieee_mode 1
		.amdhsa_fp16_overflow 0
		.amdhsa_tg_split 0
		.amdhsa_exception_fp_ieee_invalid_op 0
		.amdhsa_exception_fp_denorm_src 0
		.amdhsa_exception_fp_ieee_div_zero 0
		.amdhsa_exception_fp_ieee_overflow 0
		.amdhsa_exception_fp_ieee_underflow 0
		.amdhsa_exception_fp_ieee_inexact 0
		.amdhsa_exception_int_div_zero 0
	.end_amdhsa_kernel
	.section	.text._ZN5aiter23act_and_mul_bias_kernelIttifTnPFfRKT2_EXadL_ZNS_11gelu_kernelIfEEfRKT_EELi16EEEvPT0_PS8_PKT1_PS2_il,"axG",@progbits,_ZN5aiter23act_and_mul_bias_kernelIttifTnPFfRKT2_EXadL_ZNS_11gelu_kernelIfEEfRKT_EELi16EEEvPT0_PS8_PKT1_PS2_il,comdat
.Lfunc_end455:
	.size	_ZN5aiter23act_and_mul_bias_kernelIttifTnPFfRKT2_EXadL_ZNS_11gelu_kernelIfEEfRKT_EELi16EEEvPT0_PS8_PKT1_PS2_il, .Lfunc_end455-_ZN5aiter23act_and_mul_bias_kernelIttifTnPFfRKT2_EXadL_ZNS_11gelu_kernelIfEEfRKT_EELi16EEEvPT0_PS8_PKT1_PS2_il
                                        ; -- End function
	.section	.AMDGPU.csdata,"",@progbits
; Kernel info:
; codeLenInByte = 5176
; NumSgprs: 48
; NumVgprs: 60
; NumAgprs: 0
; TotalNumVgprs: 60
; ScratchSize: 0
; MemoryBound: 0
; FloatMode: 240
; IeeeMode: 1
; LDSByteSize: 0 bytes/workgroup (compile time only)
; SGPRBlocks: 5
; VGPRBlocks: 7
; NumSGPRsForWavesPerEU: 48
; NumVGPRsForWavesPerEU: 60
; AccumOffset: 60
; Occupancy: 8
; WaveLimiterHint : 0
; COMPUTE_PGM_RSRC2:SCRATCH_EN: 0
; COMPUTE_PGM_RSRC2:USER_SGPR: 2
; COMPUTE_PGM_RSRC2:TRAP_HANDLER: 0
; COMPUTE_PGM_RSRC2:TGID_X_EN: 1
; COMPUTE_PGM_RSRC2:TGID_Y_EN: 0
; COMPUTE_PGM_RSRC2:TGID_Z_EN: 0
; COMPUTE_PGM_RSRC2:TIDIG_COMP_CNT: 0
; COMPUTE_PGM_RSRC3_GFX90A:ACCUM_OFFSET: 14
; COMPUTE_PGM_RSRC3_GFX90A:TG_SPLIT: 0
	.section	.text._ZN5aiter23act_and_mul_bias_kernelIttifTnPFfRKT2_EXadL_ZNS_11gelu_kernelIfEEfRKT_EELi8EEEvPT0_PS8_PKT1_PS2_il,"axG",@progbits,_ZN5aiter23act_and_mul_bias_kernelIttifTnPFfRKT2_EXadL_ZNS_11gelu_kernelIfEEfRKT_EELi8EEEvPT0_PS8_PKT1_PS2_il,comdat
	.protected	_ZN5aiter23act_and_mul_bias_kernelIttifTnPFfRKT2_EXadL_ZNS_11gelu_kernelIfEEfRKT_EELi8EEEvPT0_PS8_PKT1_PS2_il ; -- Begin function _ZN5aiter23act_and_mul_bias_kernelIttifTnPFfRKT2_EXadL_ZNS_11gelu_kernelIfEEfRKT_EELi8EEEvPT0_PS8_PKT1_PS2_il
	.globl	_ZN5aiter23act_and_mul_bias_kernelIttifTnPFfRKT2_EXadL_ZNS_11gelu_kernelIfEEfRKT_EELi8EEEvPT0_PS8_PKT1_PS2_il
	.p2align	8
	.type	_ZN5aiter23act_and_mul_bias_kernelIttifTnPFfRKT2_EXadL_ZNS_11gelu_kernelIfEEfRKT_EELi8EEEvPT0_PS8_PKT1_PS2_il,@function
_ZN5aiter23act_and_mul_bias_kernelIttifTnPFfRKT2_EXadL_ZNS_11gelu_kernelIfEEfRKT_EELi8EEEvPT0_PS8_PKT1_PS2_il: ; @_ZN5aiter23act_and_mul_bias_kernelIttifTnPFfRKT2_EXadL_ZNS_11gelu_kernelIfEEfRKT_EELi8EEEvPT0_PS8_PKT1_PS2_il
; %bb.0:
	s_load_dword s24, s[0:1], 0x20
	s_load_dwordx2 s[4:5], s[0:1], 0x10
	s_load_dwordx2 s[12:13], s[0:1], 0x28
	s_mov_b32 s3, 0
	s_lshl_b64 s[6:7], s[2:3], 2
	s_waitcnt lgkmcnt(0)
	s_ashr_i32 s25, s24, 31
	s_add_u32 s4, s4, s6
	s_addc_u32 s5, s5, s7
	s_add_i32 s3, s24, 1
	s_load_dword s8, s[4:5], 0x0
	s_load_dwordx2 s[14:15], s[0:1], 0x0
	s_lshr_b32 s4, s3, 31
	s_add_i32 s3, s3, s4
	s_lshl_b32 s3, s3, 1
	s_and_b32 s6, s3, -4
	s_mul_hi_u32 s3, s24, s2
	s_mul_i32 s4, s25, s2
	s_add_i32 s5, s3, s4
	s_mul_i32 s4, s24, s2
	s_waitcnt lgkmcnt(0)
	s_ashr_i32 s9, s8, 31
	s_lshl_b64 s[4:5], s[4:5], 1
	v_mov_b64_e32 v[2:3], s[12:13]
	v_cmp_gt_i64_e64 s[16:17], s[8:9], -1
	s_add_u32 s4, s14, s4
	v_cmp_lt_i64_e32 vcc, s[8:9], v[2:3]
	s_addc_u32 s3, s15, s5
	s_and_b64 s[12:13], s[16:17], vcc
	s_mov_b64 s[10:11], -1
	s_and_b32 s5, s3, 0xffff
	s_and_b64 vcc, exec, s[12:13]
	v_lshlrev_b32_e32 v24, 3, v0
	s_cbranch_vccnz .LBB456_5
; %bb.1:
	v_cmp_gt_i32_e32 vcc, s24, v24
	s_and_saveexec_b64 s[10:11], vcc
	s_cbranch_execz .LBB456_4
; %bb.2:
	s_load_dword s3, s[0:1], 0x3c
	v_mov_b32_e32 v25, 0
	s_mov_b32 s13, 0
	v_lshlrev_b32_e32 v6, 4, v0
	s_mov_b64 s[14:15], 0
	s_waitcnt lgkmcnt(0)
	s_and_b32 s3, s3, 0xffff
	s_lshl_b32 s12, s3, 3
	s_lshl_b32 s3, s3, 4
	s_mov_b32 s7, 0x20000
	v_mov_b32_e32 v0, v25
	v_mov_b32_e32 v1, v25
	v_mov_b32_e32 v2, v25
	v_mov_b32_e32 v3, v25
	v_mov_b64_e32 v[4:5], v[24:25]
.LBB456_3:                              ; =>This Inner Loop Header: Depth=1
	v_lshl_add_u64 v[4:5], s[12:13], 0, v[4:5]
	v_cmp_le_i64_e32 vcc, s[24:25], v[4:5]
	buffer_store_dwordx4 v[0:3], v6, s[4:7], 0 offen
	s_or_b64 s[14:15], vcc, s[14:15]
	v_add_u32_e32 v6, s3, v6
	s_andn2_b64 exec, exec, s[14:15]
	s_cbranch_execnz .LBB456_3
.LBB456_4:
	s_or_b64 exec, exec, s[10:11]
	s_mov_b64 s[10:11], 0
.LBB456_5:
	s_andn2_b64 vcc, exec, s[10:11]
	s_cbranch_vccnz .LBB456_41
; %bb.6:
	v_cmp_gt_i32_e32 vcc, s24, v24
	s_and_saveexec_b64 s[10:11], vcc
	s_cbranch_execz .LBB456_41
; %bb.7:
	s_load_dwordx2 s[10:11], s[0:1], 0x18
	s_load_dwordx2 s[14:15], s[0:1], 0x8
	s_mul_hi_i32 s9, s24, s8
	s_mul_i32 s8, s24, s8
	s_lshl_b64 s[8:9], s[8:9], 3
	s_waitcnt lgkmcnt(0)
	s_add_u32 s8, s10, s8
	s_addc_u32 s3, s11, s9
	s_lshl_b64 s[10:11], s[24:25], 2
	s_add_u32 s12, s8, s10
	s_addc_u32 s13, s3, s11
	s_and_b32 s9, s3, 0xffff
	s_mul_i32 s3, s2, s25
	s_mul_hi_u32 s16, s2, s24
	s_add_i32 s3, s16, s3
	s_mul_i32 s2, s2, s24
	s_lshl_b32 s10, s24, 2
	s_and_b32 s13, s13, 0xffff
	s_lshl_b64 s[2:3], s[2:3], 2
	s_add_u32 s16, s14, s2
	s_addc_u32 s14, s15, s3
	s_lshl_b64 s[2:3], s[24:25], 1
	s_add_u32 s20, s16, s2
	s_addc_u32 s2, s14, s3
	s_and_b32 s17, s14, 0xffff
	s_and_b32 s21, s2, 0xffff
	s_mov_b32 s7, 0x20000
	s_add_u32 s0, s0, 48
	s_mov_b32 s11, s7
	s_mov_b64 s[22:23], s[6:7]
	v_mov_b32_e32 v25, 0
	s_addc_u32 s1, s1, 0
	s_mov_b64 s[2:3], 0
	s_mov_b32 s18, s6
	s_mov_b32 s19, s7
	s_mov_b32 s27, 0
	s_mov_b32 s28, 0x378e98ab
	s_mov_b32 s29, 0x3b7cd369
	s_mov_b32 s30, 0xbcc618b2
	s_mov_b32 s31, 0x3dda74e4
	s_mov_b32 s33, 0x3f228afd
	s_mov_b32 s34, 0x3e03c728
	s_mov_b32 s35, 0xbfb8aa3b
	s_mov_b32 s36, 0x42ce8ed0
	s_mov_b32 s37, 0xc2b17218
	v_mov_b32_e32 v26, 0x3ba10414
	s_brev_b32 s38, -2
	s_mov_b32 s39, 0x7060302
	v_mov_b32_e32 v27, 0xb9c68948
	v_mov_b32_e32 v28, 0x7f800000
                                        ; implicit-def: $vgpr0
                                        ; implicit-def: $vgpr0
	;; [unrolled: 1-line block ×4, first 2 shown]
	s_branch .LBB456_9
.LBB456_8:                              ;   in Loop: Header=BB456_9 Depth=1
	s_or_b64 exec, exec, s[14:15]
	v_bfi_b32 v8, s38, v9, v8
	v_mul_f32_e32 v2, 0.5, v2
	v_add_f32_e32 v8, 1.0, v8
	v_mul_f32_e32 v2, v2, v8
	v_and_b32_e32 v8, 0xffff0000, v3
	v_add_f32_e32 v7, v7, v8
	v_lshlrev_b32_e32 v3, 16, v3
	v_bfi_b32 v8, s38, v12, v11
	v_add_f32_e32 v6, v6, v3
	v_mul_f32_e32 v3, 0.5, v10
	v_add_f32_e32 v8, 1.0, v8
	v_mul_f32_e32 v3, v3, v8
	;;#ASMSTART
	v_pk_mul_f32 v[2:3], v[2:3], v[6:7]
	;;#ASMEND
	s_load_dword s14, s[0:1], 0xc
	v_perm_b32 v3, v3, v2, s39
	v_perm_b32 v2, v5, v4, s39
	;; [unrolled: 1-line block ×4, first 2 shown]
	s_waitcnt lgkmcnt(0)
	s_and_b32 s14, s14, 0xffff
	s_lshl_b32 s26, s14, 3
	v_lshl_add_u64 v[24:25], s[26:27], 0, v[24:25]
	v_cmp_le_i64_e32 vcc, s[24:25], v[24:25]
	s_or_b64 s[2:3], vcc, s[2:3]
	buffer_store_dwordx4 v[0:3], v29, s[4:7], 0 offen
	s_andn2_b64 exec, exec, s[2:3]
	s_cbranch_execz .LBB456_41
.LBB456_9:                              ; =>This Inner Loop Header: Depth=1
	v_lshlrev_b32_e32 v29, 1, v24
	buffer_load_dwordx4 v[8:11], v29, s[16:19], 0 offen
	buffer_load_dwordx4 v[0:3], v29, s[20:23], 0 offen
	v_lshlrev_b32_e32 v30, 2, v24
	buffer_load_dwordx4 v[20:23], v30, s[8:11], 0 offen
	buffer_load_dwordx4 v[12:15], v30, s[8:11], 16 offen
	s_mov_b32 s14, s10
	s_mov_b32 s15, s11
	buffer_load_dwordx4 v[16:19], v30, s[12:15], 0 offen
	buffer_load_dwordx4 v[4:7], v30, s[12:15], 16 offen
                                        ; implicit-def: $vgpr31
	s_waitcnt vmcnt(5)
	v_lshlrev_b32_e32 v30, 16, v8
	s_waitcnt vmcnt(3)
	v_add_f32_e32 v20, v20, v30
	v_mul_f32_e32 v30, 0x3f3504f3, v20
	v_cmp_nlt_f32_e64 s[14:15], |v30|, 1.0
	s_and_saveexec_b64 s[40:41], s[14:15]
	s_xor_b64 s[14:15], exec, s[40:41]
	s_cbranch_execz .LBB456_11
; %bb.10:                               ;   in Loop: Header=BB456_9 Depth=1
	v_fma_f32 v31, |v30|, s28, v27
	v_fma_f32 v31, |v30|, v31, s29
	;; [unrolled: 1-line block ×6, first 2 shown]
	v_fma_f32 v31, |v30|, v31, |v30|
	v_mul_f32_e32 v32, 0xbfb8aa3b, v31
	v_fma_f32 v33, v31, s35, -v32
	v_rndne_f32_e32 v34, v32
	v_fmac_f32_e32 v33, 0xb2a5705f, v31
	v_sub_f32_e32 v32, v32, v34
	v_add_f32_e32 v32, v32, v33
	v_cvt_i32_f32_e32 v33, v34
	v_exp_f32_e32 v32, v32
	v_cmp_nlt_f32_e32 vcc, s36, v31
	v_ldexp_f32 v32, v32, v33
	s_nop 0
	v_cndmask_b32_e32 v32, 0, v32, vcc
	v_cmp_ngt_f32_e32 vcc, s37, v31
	s_nop 1
	v_cndmask_b32_e32 v31, v28, v32, vcc
	v_sub_f32_e32 v31, 1.0, v31
.LBB456_11:                             ;   in Loop: Header=BB456_9 Depth=1
	s_andn2_saveexec_b64 s[14:15], s[14:15]
; %bb.12:                               ;   in Loop: Header=BB456_9 Depth=1
	v_mul_f32_e32 v31, v30, v30
	v_fmamk_f32 v32, v31, 0xba1345e1, v26
	v_fmaak_f32 v32, v31, v32, 0xbcdac9b8
	v_fmaak_f32 v32, v31, v32, 0x3de703be
	v_fmaak_f32 v32, v31, v32, 0xbec09330
	v_fmaak_f32 v31, v31, v32, 0x3e0375d0
	v_fma_f32 v31, |v30|, v31, |v30|
; %bb.13:                               ;   in Loop: Header=BB456_9 Depth=1
	s_or_b64 exec, exec, s[14:15]
	v_and_b32_e32 v8, 0xffff0000, v8
	v_add_f32_e32 v8, v21, v8
	v_mul_f32_e32 v21, 0x3f3504f3, v8
	v_cmp_nlt_f32_e64 s[14:15], |v21|, 1.0
                                        ; implicit-def: $vgpr32
	s_and_saveexec_b64 s[40:41], s[14:15]
	s_xor_b64 s[14:15], exec, s[40:41]
	s_cbranch_execz .LBB456_15
; %bb.14:                               ;   in Loop: Header=BB456_9 Depth=1
	v_fma_f32 v32, |v21|, s28, v27
	v_fma_f32 v32, |v21|, v32, s29
	;; [unrolled: 1-line block ×6, first 2 shown]
	v_fma_f32 v32, |v21|, v32, |v21|
	v_mul_f32_e32 v33, 0xbfb8aa3b, v32
	v_fma_f32 v34, v32, s35, -v33
	v_rndne_f32_e32 v35, v33
	v_fmac_f32_e32 v34, 0xb2a5705f, v32
	v_sub_f32_e32 v33, v33, v35
	v_add_f32_e32 v33, v33, v34
	v_cvt_i32_f32_e32 v34, v35
	v_exp_f32_e32 v33, v33
	v_cmp_nlt_f32_e32 vcc, s36, v32
	v_ldexp_f32 v33, v33, v34
	s_nop 0
	v_cndmask_b32_e32 v33, 0, v33, vcc
	v_cmp_ngt_f32_e32 vcc, s37, v32
	s_nop 1
	v_cndmask_b32_e32 v32, v28, v33, vcc
	v_sub_f32_e32 v32, 1.0, v32
.LBB456_15:                             ;   in Loop: Header=BB456_9 Depth=1
	s_andn2_saveexec_b64 s[14:15], s[14:15]
; %bb.16:                               ;   in Loop: Header=BB456_9 Depth=1
	v_mul_f32_e32 v32, v21, v21
	v_fmamk_f32 v33, v32, 0xba1345e1, v26
	v_fmaak_f32 v33, v32, v33, 0xbcdac9b8
	v_fmaak_f32 v33, v32, v33, 0x3de703be
	;; [unrolled: 1-line block ×4, first 2 shown]
	v_fma_f32 v32, |v21|, v32, |v21|
; %bb.17:                               ;   in Loop: Header=BB456_9 Depth=1
	s_or_b64 exec, exec, s[14:15]
	v_bfi_b32 v30, s38, v31, v30
	v_mul_f32_e32 v20, 0.5, v20
	v_add_f32_e32 v30, 1.0, v30
	v_mul_f32_e32 v20, v20, v30
	v_and_b32_e32 v30, 0xffff0000, v0
	v_lshlrev_b32_e32 v0, 16, v0
	s_waitcnt vmcnt(1)
	v_add_f32_e32 v16, v16, v0
	v_mul_f32_e32 v0, 0.5, v8
	v_bfi_b32 v8, s38, v32, v21
	v_add_f32_e32 v8, 1.0, v8
	v_mul_f32_e32 v21, v0, v8
	v_lshlrev_b32_e32 v0, 16, v9
	v_add_f32_e32 v0, v22, v0
	v_mul_f32_e32 v8, 0x3f3504f3, v0
	v_add_f32_e32 v17, v17, v30
	v_cmp_nlt_f32_e64 s[14:15], |v8|, 1.0
	;;#ASMSTART
	v_pk_mul_f32 v[16:17], v[20:21], v[16:17]
	;;#ASMEND
                                        ; implicit-def: $vgpr20
	s_and_saveexec_b64 s[40:41], s[14:15]
	s_xor_b64 s[14:15], exec, s[40:41]
	s_cbranch_execz .LBB456_19
; %bb.18:                               ;   in Loop: Header=BB456_9 Depth=1
	v_fma_f32 v20, |v8|, s28, v27
	v_fma_f32 v20, |v8|, v20, s29
	;; [unrolled: 1-line block ×6, first 2 shown]
	v_fma_f32 v20, |v8|, v20, |v8|
	v_mul_f32_e32 v21, 0xbfb8aa3b, v20
	v_fma_f32 v22, v20, s35, -v21
	v_rndne_f32_e32 v30, v21
	v_fmac_f32_e32 v22, 0xb2a5705f, v20
	v_sub_f32_e32 v21, v21, v30
	v_add_f32_e32 v21, v21, v22
	v_cvt_i32_f32_e32 v22, v30
	v_exp_f32_e32 v21, v21
	v_cmp_nlt_f32_e32 vcc, s36, v20
	v_ldexp_f32 v21, v21, v22
	s_nop 0
	v_cndmask_b32_e32 v21, 0, v21, vcc
	v_cmp_ngt_f32_e32 vcc, s37, v20
	s_nop 1
	v_cndmask_b32_e32 v20, v28, v21, vcc
	v_sub_f32_e32 v20, 1.0, v20
.LBB456_19:                             ;   in Loop: Header=BB456_9 Depth=1
	s_andn2_saveexec_b64 s[14:15], s[14:15]
; %bb.20:                               ;   in Loop: Header=BB456_9 Depth=1
	v_mul_f32_e32 v20, v8, v8
	v_fmamk_f32 v21, v20, 0xba1345e1, v26
	v_fmaak_f32 v21, v20, v21, 0xbcdac9b8
	v_fmaak_f32 v21, v20, v21, 0x3de703be
	;; [unrolled: 1-line block ×4, first 2 shown]
	v_fma_f32 v20, |v8|, v20, |v8|
; %bb.21:                               ;   in Loop: Header=BB456_9 Depth=1
	s_or_b64 exec, exec, s[14:15]
	v_and_b32_e32 v9, 0xffff0000, v9
	v_add_f32_e32 v9, v23, v9
	v_mul_f32_e32 v21, 0x3f3504f3, v9
	v_cmp_nlt_f32_e64 s[14:15], |v21|, 1.0
                                        ; implicit-def: $vgpr22
	s_and_saveexec_b64 s[40:41], s[14:15]
	s_xor_b64 s[14:15], exec, s[40:41]
	s_cbranch_execz .LBB456_23
; %bb.22:                               ;   in Loop: Header=BB456_9 Depth=1
	v_fma_f32 v22, |v21|, s28, v27
	v_fma_f32 v22, |v21|, v22, s29
	v_fma_f32 v22, |v21|, v22, s30
	v_fma_f32 v22, |v21|, v22, s31
	v_fma_f32 v22, |v21|, v22, s33
	v_fma_f32 v22, |v21|, v22, s34
	v_fma_f32 v22, |v21|, v22, |v21|
	v_mul_f32_e32 v23, 0xbfb8aa3b, v22
	v_fma_f32 v30, v22, s35, -v23
	v_rndne_f32_e32 v31, v23
	v_fmac_f32_e32 v30, 0xb2a5705f, v22
	v_sub_f32_e32 v23, v23, v31
	v_add_f32_e32 v23, v23, v30
	v_cvt_i32_f32_e32 v30, v31
	v_exp_f32_e32 v23, v23
	v_cmp_nlt_f32_e32 vcc, s36, v22
	v_ldexp_f32 v23, v23, v30
	s_nop 0
	v_cndmask_b32_e32 v23, 0, v23, vcc
	v_cmp_ngt_f32_e32 vcc, s37, v22
	s_nop 1
	v_cndmask_b32_e32 v22, v28, v23, vcc
	v_sub_f32_e32 v22, 1.0, v22
.LBB456_23:                             ;   in Loop: Header=BB456_9 Depth=1
	s_andn2_saveexec_b64 s[14:15], s[14:15]
; %bb.24:                               ;   in Loop: Header=BB456_9 Depth=1
	v_mul_f32_e32 v22, v21, v21
	v_fmamk_f32 v23, v22, 0xba1345e1, v26
	v_fmaak_f32 v23, v22, v23, 0xbcdac9b8
	v_fmaak_f32 v23, v22, v23, 0x3de703be
	;; [unrolled: 1-line block ×4, first 2 shown]
	v_fma_f32 v22, |v21|, v22, |v21|
; %bb.25:                               ;   in Loop: Header=BB456_9 Depth=1
	s_or_b64 exec, exec, s[14:15]
	v_bfi_b32 v8, s38, v20, v8
	v_mul_f32_e32 v0, 0.5, v0
	v_add_f32_e32 v8, 1.0, v8
	v_mul_f32_e32 v0, v0, v8
	v_and_b32_e32 v8, 0xffff0000, v1
	v_add_f32_e32 v19, v19, v8
	v_lshlrev_b32_e32 v1, 16, v1
	v_bfi_b32 v8, s38, v22, v21
	v_add_f32_e32 v18, v18, v1
	v_mul_f32_e32 v1, 0.5, v9
	v_add_f32_e32 v8, 1.0, v8
	v_mul_f32_e32 v1, v1, v8
	v_lshlrev_b32_e32 v8, 16, v10
	v_add_f32_e32 v8, v12, v8
	v_mul_f32_e32 v9, 0x3f3504f3, v8
	v_cmp_nlt_f32_e64 s[14:15], |v9|, 1.0
	;;#ASMSTART
	v_pk_mul_f32 v[0:1], v[0:1], v[18:19]
	;;#ASMEND
                                        ; implicit-def: $vgpr12
	s_and_saveexec_b64 s[40:41], s[14:15]
	s_xor_b64 s[14:15], exec, s[40:41]
	s_cbranch_execz .LBB456_27
; %bb.26:                               ;   in Loop: Header=BB456_9 Depth=1
	v_fma_f32 v12, |v9|, s28, v27
	v_fma_f32 v12, |v9|, v12, s29
	;; [unrolled: 1-line block ×6, first 2 shown]
	v_fma_f32 v12, |v9|, v12, |v9|
	v_mul_f32_e32 v18, 0xbfb8aa3b, v12
	v_fma_f32 v19, v12, s35, -v18
	v_rndne_f32_e32 v20, v18
	v_fmac_f32_e32 v19, 0xb2a5705f, v12
	v_sub_f32_e32 v18, v18, v20
	v_add_f32_e32 v18, v18, v19
	v_cvt_i32_f32_e32 v19, v20
	v_exp_f32_e32 v18, v18
	v_cmp_nlt_f32_e32 vcc, s36, v12
	v_ldexp_f32 v18, v18, v19
	s_nop 0
	v_cndmask_b32_e32 v18, 0, v18, vcc
	v_cmp_ngt_f32_e32 vcc, s37, v12
	s_nop 1
	v_cndmask_b32_e32 v12, v28, v18, vcc
	v_sub_f32_e32 v12, 1.0, v12
.LBB456_27:                             ;   in Loop: Header=BB456_9 Depth=1
	s_andn2_saveexec_b64 s[14:15], s[14:15]
; %bb.28:                               ;   in Loop: Header=BB456_9 Depth=1
	v_mul_f32_e32 v12, v9, v9
	v_fmamk_f32 v18, v12, 0xba1345e1, v26
	v_fmaak_f32 v18, v12, v18, 0xbcdac9b8
	v_fmaak_f32 v18, v12, v18, 0x3de703be
	;; [unrolled: 1-line block ×4, first 2 shown]
	v_fma_f32 v12, |v9|, v12, |v9|
; %bb.29:                               ;   in Loop: Header=BB456_9 Depth=1
	s_or_b64 exec, exec, s[14:15]
	v_and_b32_e32 v10, 0xffff0000, v10
	v_add_f32_e32 v10, v13, v10
	v_mul_f32_e32 v13, 0x3f3504f3, v10
	v_cmp_nlt_f32_e64 s[14:15], |v13|, 1.0
                                        ; implicit-def: $vgpr18
	s_and_saveexec_b64 s[40:41], s[14:15]
	s_xor_b64 s[14:15], exec, s[40:41]
	s_cbranch_execz .LBB456_31
; %bb.30:                               ;   in Loop: Header=BB456_9 Depth=1
	v_fma_f32 v18, |v13|, s28, v27
	v_fma_f32 v18, |v13|, v18, s29
	;; [unrolled: 1-line block ×6, first 2 shown]
	v_fma_f32 v18, |v13|, v18, |v13|
	v_mul_f32_e32 v19, 0xbfb8aa3b, v18
	v_fma_f32 v20, v18, s35, -v19
	v_rndne_f32_e32 v21, v19
	v_fmac_f32_e32 v20, 0xb2a5705f, v18
	v_sub_f32_e32 v19, v19, v21
	v_add_f32_e32 v19, v19, v20
	v_cvt_i32_f32_e32 v20, v21
	v_exp_f32_e32 v19, v19
	v_cmp_nlt_f32_e32 vcc, s36, v18
	v_ldexp_f32 v19, v19, v20
	s_nop 0
	v_cndmask_b32_e32 v19, 0, v19, vcc
	v_cmp_ngt_f32_e32 vcc, s37, v18
	s_nop 1
	v_cndmask_b32_e32 v18, v28, v19, vcc
	v_sub_f32_e32 v18, 1.0, v18
.LBB456_31:                             ;   in Loop: Header=BB456_9 Depth=1
	s_andn2_saveexec_b64 s[14:15], s[14:15]
; %bb.32:                               ;   in Loop: Header=BB456_9 Depth=1
	v_mul_f32_e32 v18, v13, v13
	v_fmamk_f32 v19, v18, 0xba1345e1, v26
	v_fmaak_f32 v19, v18, v19, 0xbcdac9b8
	v_fmaak_f32 v19, v18, v19, 0x3de703be
	v_fmaak_f32 v19, v18, v19, 0xbec09330
	v_fmaak_f32 v18, v18, v19, 0x3e0375d0
	v_fma_f32 v18, |v13|, v18, |v13|
; %bb.33:                               ;   in Loop: Header=BB456_9 Depth=1
	s_or_b64 exec, exec, s[14:15]
	v_bfi_b32 v9, s38, v12, v9
	v_mul_f32_e32 v8, 0.5, v8
	v_add_f32_e32 v9, 1.0, v9
	v_mul_f32_e32 v8, v8, v9
	v_and_b32_e32 v9, 0xffff0000, v2
	s_waitcnt vmcnt(0)
	v_add_f32_e32 v5, v5, v9
	v_lshlrev_b32_e32 v2, 16, v2
	v_bfi_b32 v9, s38, v18, v13
	v_add_f32_e32 v4, v4, v2
	v_mul_f32_e32 v2, 0.5, v10
	v_add_f32_e32 v9, 1.0, v9
	v_mul_f32_e32 v9, v2, v9
	v_lshlrev_b32_e32 v2, 16, v11
	v_add_f32_e32 v2, v14, v2
	;;#ASMSTART
	v_pk_mul_f32 v[4:5], v[8:9], v[4:5]
	;;#ASMEND
	v_mul_f32_e32 v8, 0x3f3504f3, v2
	v_cmp_nlt_f32_e64 s[14:15], |v8|, 1.0
                                        ; implicit-def: $vgpr9
	s_and_saveexec_b64 s[40:41], s[14:15]
	s_xor_b64 s[14:15], exec, s[40:41]
	s_cbranch_execz .LBB456_35
; %bb.34:                               ;   in Loop: Header=BB456_9 Depth=1
	v_fma_f32 v9, |v8|, s28, v27
	v_fma_f32 v9, |v8|, v9, s29
	;; [unrolled: 1-line block ×6, first 2 shown]
	v_fma_f32 v9, |v8|, v9, |v8|
	v_mul_f32_e32 v10, 0xbfb8aa3b, v9
	v_fma_f32 v12, v9, s35, -v10
	v_rndne_f32_e32 v13, v10
	v_fmac_f32_e32 v12, 0xb2a5705f, v9
	v_sub_f32_e32 v10, v10, v13
	v_add_f32_e32 v10, v10, v12
	v_cvt_i32_f32_e32 v12, v13
	v_exp_f32_e32 v10, v10
	v_cmp_nlt_f32_e32 vcc, s36, v9
	v_ldexp_f32 v10, v10, v12
	s_nop 0
	v_cndmask_b32_e32 v10, 0, v10, vcc
	v_cmp_ngt_f32_e32 vcc, s37, v9
	s_nop 1
	v_cndmask_b32_e32 v9, v28, v10, vcc
	v_sub_f32_e32 v9, 1.0, v9
.LBB456_35:                             ;   in Loop: Header=BB456_9 Depth=1
	s_andn2_saveexec_b64 s[14:15], s[14:15]
; %bb.36:                               ;   in Loop: Header=BB456_9 Depth=1
	v_mul_f32_e32 v9, v8, v8
	v_fmamk_f32 v10, v9, 0xba1345e1, v26
	v_fmaak_f32 v10, v9, v10, 0xbcdac9b8
	v_fmaak_f32 v10, v9, v10, 0x3de703be
	;; [unrolled: 1-line block ×4, first 2 shown]
	v_fma_f32 v9, |v8|, v9, |v8|
; %bb.37:                               ;   in Loop: Header=BB456_9 Depth=1
	s_or_b64 exec, exec, s[14:15]
	v_and_b32_e32 v10, 0xffff0000, v11
	v_add_f32_e32 v10, v15, v10
	v_mul_f32_e32 v11, 0x3f3504f3, v10
	v_cmp_nlt_f32_e64 s[14:15], |v11|, 1.0
                                        ; implicit-def: $vgpr12
	s_and_saveexec_b64 s[40:41], s[14:15]
	s_xor_b64 s[14:15], exec, s[40:41]
	s_cbranch_execz .LBB456_39
; %bb.38:                               ;   in Loop: Header=BB456_9 Depth=1
	v_fma_f32 v12, |v11|, s28, v27
	v_fma_f32 v12, |v11|, v12, s29
	;; [unrolled: 1-line block ×6, first 2 shown]
	v_fma_f32 v12, |v11|, v12, |v11|
	v_mul_f32_e32 v13, 0xbfb8aa3b, v12
	v_fma_f32 v14, v12, s35, -v13
	v_rndne_f32_e32 v15, v13
	v_fmac_f32_e32 v14, 0xb2a5705f, v12
	v_sub_f32_e32 v13, v13, v15
	v_add_f32_e32 v13, v13, v14
	v_cvt_i32_f32_e32 v14, v15
	v_exp_f32_e32 v13, v13
	v_cmp_nlt_f32_e32 vcc, s36, v12
	v_ldexp_f32 v13, v13, v14
	s_nop 0
	v_cndmask_b32_e32 v13, 0, v13, vcc
	v_cmp_ngt_f32_e32 vcc, s37, v12
	s_nop 1
	v_cndmask_b32_e32 v12, v28, v13, vcc
	v_sub_f32_e32 v12, 1.0, v12
.LBB456_39:                             ;   in Loop: Header=BB456_9 Depth=1
	s_andn2_saveexec_b64 s[14:15], s[14:15]
	s_cbranch_execz .LBB456_8
; %bb.40:                               ;   in Loop: Header=BB456_9 Depth=1
	v_mul_f32_e32 v12, v11, v11
	v_fmamk_f32 v13, v12, 0xba1345e1, v26
	v_fmaak_f32 v13, v12, v13, 0xbcdac9b8
	v_fmaak_f32 v13, v12, v13, 0x3de703be
	v_fmaak_f32 v13, v12, v13, 0xbec09330
	v_fmaak_f32 v12, v12, v13, 0x3e0375d0
	v_fma_f32 v12, |v11|, v12, |v11|
	s_branch .LBB456_8
.LBB456_41:
	s_endpgm
	.section	.rodata,"a",@progbits
	.p2align	6, 0x0
	.amdhsa_kernel _ZN5aiter23act_and_mul_bias_kernelIttifTnPFfRKT2_EXadL_ZNS_11gelu_kernelIfEEfRKT_EELi8EEEvPT0_PS8_PKT1_PS2_il
		.amdhsa_group_segment_fixed_size 0
		.amdhsa_private_segment_fixed_size 0
		.amdhsa_kernarg_size 304
		.amdhsa_user_sgpr_count 2
		.amdhsa_user_sgpr_dispatch_ptr 0
		.amdhsa_user_sgpr_queue_ptr 0
		.amdhsa_user_sgpr_kernarg_segment_ptr 1
		.amdhsa_user_sgpr_dispatch_id 0
		.amdhsa_user_sgpr_kernarg_preload_length 0
		.amdhsa_user_sgpr_kernarg_preload_offset 0
		.amdhsa_user_sgpr_private_segment_size 0
		.amdhsa_uses_dynamic_stack 0
		.amdhsa_enable_private_segment 0
		.amdhsa_system_sgpr_workgroup_id_x 1
		.amdhsa_system_sgpr_workgroup_id_y 0
		.amdhsa_system_sgpr_workgroup_id_z 0
		.amdhsa_system_sgpr_workgroup_info 0
		.amdhsa_system_vgpr_workitem_id 0
		.amdhsa_next_free_vgpr 36
		.amdhsa_next_free_sgpr 42
		.amdhsa_accum_offset 36
		.amdhsa_reserve_vcc 1
		.amdhsa_float_round_mode_32 0
		.amdhsa_float_round_mode_16_64 0
		.amdhsa_float_denorm_mode_32 3
		.amdhsa_float_denorm_mode_16_64 3
		.amdhsa_dx10_clamp 1
		.amdhsa_ieee_mode 1
		.amdhsa_fp16_overflow 0
		.amdhsa_tg_split 0
		.amdhsa_exception_fp_ieee_invalid_op 0
		.amdhsa_exception_fp_denorm_src 0
		.amdhsa_exception_fp_ieee_div_zero 0
		.amdhsa_exception_fp_ieee_overflow 0
		.amdhsa_exception_fp_ieee_underflow 0
		.amdhsa_exception_fp_ieee_inexact 0
		.amdhsa_exception_int_div_zero 0
	.end_amdhsa_kernel
	.section	.text._ZN5aiter23act_and_mul_bias_kernelIttifTnPFfRKT2_EXadL_ZNS_11gelu_kernelIfEEfRKT_EELi8EEEvPT0_PS8_PKT1_PS2_il,"axG",@progbits,_ZN5aiter23act_and_mul_bias_kernelIttifTnPFfRKT2_EXadL_ZNS_11gelu_kernelIfEEfRKT_EELi8EEEvPT0_PS8_PKT1_PS2_il,comdat
.Lfunc_end456:
	.size	_ZN5aiter23act_and_mul_bias_kernelIttifTnPFfRKT2_EXadL_ZNS_11gelu_kernelIfEEfRKT_EELi8EEEvPT0_PS8_PKT1_PS2_il, .Lfunc_end456-_ZN5aiter23act_and_mul_bias_kernelIttifTnPFfRKT2_EXadL_ZNS_11gelu_kernelIfEEfRKT_EELi8EEEvPT0_PS8_PKT1_PS2_il
                                        ; -- End function
	.section	.AMDGPU.csdata,"",@progbits
; Kernel info:
; codeLenInByte = 2920
; NumSgprs: 48
; NumVgprs: 36
; NumAgprs: 0
; TotalNumVgprs: 36
; ScratchSize: 0
; MemoryBound: 0
; FloatMode: 240
; IeeeMode: 1
; LDSByteSize: 0 bytes/workgroup (compile time only)
; SGPRBlocks: 5
; VGPRBlocks: 4
; NumSGPRsForWavesPerEU: 48
; NumVGPRsForWavesPerEU: 36
; AccumOffset: 36
; Occupancy: 8
; WaveLimiterHint : 0
; COMPUTE_PGM_RSRC2:SCRATCH_EN: 0
; COMPUTE_PGM_RSRC2:USER_SGPR: 2
; COMPUTE_PGM_RSRC2:TRAP_HANDLER: 0
; COMPUTE_PGM_RSRC2:TGID_X_EN: 1
; COMPUTE_PGM_RSRC2:TGID_Y_EN: 0
; COMPUTE_PGM_RSRC2:TGID_Z_EN: 0
; COMPUTE_PGM_RSRC2:TIDIG_COMP_CNT: 0
; COMPUTE_PGM_RSRC3_GFX90A:ACCUM_OFFSET: 8
; COMPUTE_PGM_RSRC3_GFX90A:TG_SPLIT: 0
	.section	.text._ZN5aiter23act_and_mul_bias_kernelIttifTnPFfRKT2_EXadL_ZNS_11gelu_kernelIfEEfRKT_EELi4EEEvPT0_PS8_PKT1_PS2_il,"axG",@progbits,_ZN5aiter23act_and_mul_bias_kernelIttifTnPFfRKT2_EXadL_ZNS_11gelu_kernelIfEEfRKT_EELi4EEEvPT0_PS8_PKT1_PS2_il,comdat
	.protected	_ZN5aiter23act_and_mul_bias_kernelIttifTnPFfRKT2_EXadL_ZNS_11gelu_kernelIfEEfRKT_EELi4EEEvPT0_PS8_PKT1_PS2_il ; -- Begin function _ZN5aiter23act_and_mul_bias_kernelIttifTnPFfRKT2_EXadL_ZNS_11gelu_kernelIfEEfRKT_EELi4EEEvPT0_PS8_PKT1_PS2_il
	.globl	_ZN5aiter23act_and_mul_bias_kernelIttifTnPFfRKT2_EXadL_ZNS_11gelu_kernelIfEEfRKT_EELi4EEEvPT0_PS8_PKT1_PS2_il
	.p2align	8
	.type	_ZN5aiter23act_and_mul_bias_kernelIttifTnPFfRKT2_EXadL_ZNS_11gelu_kernelIfEEfRKT_EELi4EEEvPT0_PS8_PKT1_PS2_il,@function
_ZN5aiter23act_and_mul_bias_kernelIttifTnPFfRKT2_EXadL_ZNS_11gelu_kernelIfEEfRKT_EELi4EEEvPT0_PS8_PKT1_PS2_il: ; @_ZN5aiter23act_and_mul_bias_kernelIttifTnPFfRKT2_EXadL_ZNS_11gelu_kernelIfEEfRKT_EELi4EEEvPT0_PS8_PKT1_PS2_il
; %bb.0:
	s_load_dword s24, s[0:1], 0x20
	s_load_dwordx2 s[4:5], s[0:1], 0x10
	s_load_dwordx2 s[12:13], s[0:1], 0x28
	s_mov_b32 s3, 0
	s_lshl_b64 s[6:7], s[2:3], 2
	s_waitcnt lgkmcnt(0)
	s_ashr_i32 s25, s24, 31
	s_add_u32 s4, s4, s6
	s_addc_u32 s5, s5, s7
	s_add_i32 s3, s24, 1
	s_load_dword s8, s[4:5], 0x0
	s_load_dwordx2 s[14:15], s[0:1], 0x0
	s_lshr_b32 s4, s3, 31
	s_add_i32 s3, s3, s4
	s_lshl_b32 s3, s3, 1
	s_and_b32 s6, s3, -4
	s_mul_hi_u32 s3, s24, s2
	s_mul_i32 s4, s25, s2
	s_add_i32 s5, s3, s4
	s_mul_i32 s4, s24, s2
	s_waitcnt lgkmcnt(0)
	s_ashr_i32 s9, s8, 31
	s_lshl_b64 s[4:5], s[4:5], 1
	v_mov_b64_e32 v[2:3], s[12:13]
	v_cmp_gt_i64_e64 s[16:17], s[8:9], -1
	s_add_u32 s4, s14, s4
	v_cmp_lt_i64_e32 vcc, s[8:9], v[2:3]
	s_addc_u32 s3, s15, s5
	s_and_b64 s[12:13], s[16:17], vcc
	s_mov_b64 s[10:11], -1
	s_and_b32 s5, s3, 0xffff
	s_and_b64 vcc, exec, s[12:13]
	v_lshlrev_b32_e32 v8, 2, v0
	s_cbranch_vccnz .LBB457_5
; %bb.1:
	v_cmp_gt_i32_e32 vcc, s24, v8
	s_and_saveexec_b64 s[10:11], vcc
	s_cbranch_execz .LBB457_4
; %bb.2:
	s_load_dword s3, s[0:1], 0x3c
	v_mov_b32_e32 v9, 0
	s_mov_b32 s13, 0
	v_lshlrev_b32_e32 v4, 3, v0
	s_mov_b64 s[14:15], 0
	s_waitcnt lgkmcnt(0)
	s_and_b32 s3, s3, 0xffff
	s_lshl_b32 s12, s3, 2
	s_lshl_b32 s3, s3, 3
	s_mov_b32 s7, 0x20000
	v_mov_b32_e32 v0, v9
	v_mov_b32_e32 v1, v9
	v_mov_b64_e32 v[2:3], v[8:9]
.LBB457_3:                              ; =>This Inner Loop Header: Depth=1
	v_lshl_add_u64 v[2:3], s[12:13], 0, v[2:3]
	v_cmp_le_i64_e32 vcc, s[24:25], v[2:3]
	buffer_store_dwordx2 v[0:1], v4, s[4:7], 0 offen
	s_or_b64 s[14:15], vcc, s[14:15]
	v_add_u32_e32 v4, s3, v4
	s_andn2_b64 exec, exec, s[14:15]
	s_cbranch_execnz .LBB457_3
.LBB457_4:
	s_or_b64 exec, exec, s[10:11]
	s_mov_b64 s[10:11], 0
.LBB457_5:
	s_andn2_b64 vcc, exec, s[10:11]
	s_cbranch_vccnz .LBB457_25
; %bb.6:
	v_cmp_gt_i32_e32 vcc, s24, v8
	s_and_saveexec_b64 s[10:11], vcc
	s_cbranch_execz .LBB457_25
; %bb.7:
	s_load_dwordx2 s[10:11], s[0:1], 0x18
	s_load_dwordx2 s[14:15], s[0:1], 0x8
	s_mul_hi_i32 s9, s24, s8
	s_mul_i32 s8, s24, s8
	s_lshl_b64 s[8:9], s[8:9], 3
	s_waitcnt lgkmcnt(0)
	s_add_u32 s8, s10, s8
	s_addc_u32 s3, s11, s9
	s_lshl_b64 s[10:11], s[24:25], 2
	s_add_u32 s12, s8, s10
	s_addc_u32 s13, s3, s11
	s_and_b32 s9, s3, 0xffff
	s_mul_i32 s3, s2, s25
	s_mul_hi_u32 s16, s2, s24
	s_add_i32 s3, s16, s3
	s_mul_i32 s2, s2, s24
	s_lshl_b32 s10, s24, 2
	s_and_b32 s13, s13, 0xffff
	s_lshl_b64 s[2:3], s[2:3], 2
	s_add_u32 s16, s14, s2
	s_addc_u32 s14, s15, s3
	s_lshl_b64 s[2:3], s[24:25], 1
	s_add_u32 s20, s16, s2
	s_addc_u32 s2, s14, s3
	s_and_b32 s17, s14, 0xffff
	s_and_b32 s21, s2, 0xffff
	s_mov_b32 s7, 0x20000
	s_add_u32 s0, s0, 48
	s_mov_b32 s11, s7
	s_mov_b64 s[22:23], s[6:7]
	v_mov_b32_e32 v9, 0
	s_addc_u32 s1, s1, 0
	s_mov_b64 s[2:3], 0
	s_mov_b32 s18, s6
	s_mov_b32 s19, s7
	;; [unrolled: 1-line block ×12, first 2 shown]
	v_mov_b32_e32 v14, 0x3ba10414
	s_brev_b32 s38, -2
	s_mov_b32 s39, 0x7060302
	v_mov_b32_e32 v15, 0xb9c68948
	v_mov_b32_e32 v16, 0x7f800000
                                        ; implicit-def: $vgpr0
                                        ; implicit-def: $vgpr0
	;; [unrolled: 1-line block ×4, first 2 shown]
	s_branch .LBB457_9
.LBB457_8:                              ;   in Loop: Header=BB457_9 Depth=1
	s_or_b64 exec, exec, s[14:15]
	v_bfi_b32 v5, s38, v6, v5
	v_mul_f32_e32 v4, 0.5, v4
	v_add_f32_e32 v5, 1.0, v5
	v_mul_f32_e32 v4, v4, v5
	v_and_b32_e32 v5, 0xffff0000, v11
	v_add_f32_e32 v3, v3, v5
	v_lshlrev_b32_e32 v5, 16, v11
	v_bfi_b32 v6, s38, v12, v10
	v_add_f32_e32 v2, v2, v5
	v_mul_f32_e32 v5, 0.5, v7
	v_add_f32_e32 v6, 1.0, v6
	v_mul_f32_e32 v5, v5, v6
	;;#ASMSTART
	v_pk_mul_f32 v[2:3], v[4:5], v[2:3]
	;;#ASMEND
	s_load_dword s14, s[0:1], 0xc
	v_perm_b32 v3, v3, v2, s39
	v_perm_b32 v2, v1, v0, s39
	buffer_store_dwordx2 v[2:3], v17, s[4:7], 0 offen
	s_waitcnt lgkmcnt(0)
	s_and_b32 s14, s14, 0xffff
	s_lshl_b32 s26, s14, 2
	v_lshl_add_u64 v[8:9], s[26:27], 0, v[8:9]
	v_cmp_le_i64_e32 vcc, s[24:25], v[8:9]
	s_or_b64 s[2:3], vcc, s[2:3]
	s_andn2_b64 exec, exec, s[2:3]
	s_cbranch_execz .LBB457_25
.LBB457_9:                              ; =>This Inner Loop Header: Depth=1
	v_lshlrev_b32_e32 v17, 1, v8
	v_lshlrev_b32_e32 v0, 2, v8
	buffer_load_dwordx2 v[12:13], v17, s[16:19], 0 offen
	buffer_load_dwordx2 v[10:11], v17, s[20:23], 0 offen
	buffer_load_dwordx4 v[4:7], v0, s[8:11], 0 offen
	s_mov_b32 s14, s10
	s_mov_b32 s15, s11
	buffer_load_dwordx4 v[0:3], v0, s[12:15], 0 offen
                                        ; implicit-def: $vgpr19
	s_waitcnt vmcnt(3)
	v_lshlrev_b32_e32 v18, 16, v12
	s_waitcnt vmcnt(1)
	v_add_f32_e32 v4, v4, v18
	v_mul_f32_e32 v18, 0x3f3504f3, v4
	v_cmp_nlt_f32_e64 s[14:15], |v18|, 1.0
	s_and_saveexec_b64 s[40:41], s[14:15]
	s_xor_b64 s[14:15], exec, s[40:41]
	s_cbranch_execz .LBB457_11
; %bb.10:                               ;   in Loop: Header=BB457_9 Depth=1
	v_fma_f32 v19, |v18|, s28, v15
	v_fma_f32 v19, |v18|, v19, s29
	;; [unrolled: 1-line block ×6, first 2 shown]
	v_fma_f32 v19, |v18|, v19, |v18|
	v_mul_f32_e32 v20, 0xbfb8aa3b, v19
	v_fma_f32 v21, v19, s35, -v20
	v_rndne_f32_e32 v22, v20
	v_fmac_f32_e32 v21, 0xb2a5705f, v19
	v_sub_f32_e32 v20, v20, v22
	v_add_f32_e32 v20, v20, v21
	v_cvt_i32_f32_e32 v21, v22
	v_exp_f32_e32 v20, v20
	v_cmp_nlt_f32_e32 vcc, s36, v19
	v_ldexp_f32 v20, v20, v21
	s_nop 0
	v_cndmask_b32_e32 v20, 0, v20, vcc
	v_cmp_ngt_f32_e32 vcc, s37, v19
	s_nop 1
	v_cndmask_b32_e32 v19, v16, v20, vcc
	v_sub_f32_e32 v19, 1.0, v19
.LBB457_11:                             ;   in Loop: Header=BB457_9 Depth=1
	s_andn2_saveexec_b64 s[14:15], s[14:15]
; %bb.12:                               ;   in Loop: Header=BB457_9 Depth=1
	v_mul_f32_e32 v19, v18, v18
	v_fmamk_f32 v20, v19, 0xba1345e1, v14
	v_fmaak_f32 v20, v19, v20, 0xbcdac9b8
	v_fmaak_f32 v20, v19, v20, 0x3de703be
	;; [unrolled: 1-line block ×4, first 2 shown]
	v_fma_f32 v19, |v18|, v19, |v18|
; %bb.13:                               ;   in Loop: Header=BB457_9 Depth=1
	s_or_b64 exec, exec, s[14:15]
	v_and_b32_e32 v12, 0xffff0000, v12
	v_add_f32_e32 v5, v5, v12
	v_mul_f32_e32 v12, 0x3f3504f3, v5
	v_cmp_nlt_f32_e64 s[14:15], |v12|, 1.0
                                        ; implicit-def: $vgpr20
	s_and_saveexec_b64 s[40:41], s[14:15]
	s_xor_b64 s[14:15], exec, s[40:41]
	s_cbranch_execz .LBB457_15
; %bb.14:                               ;   in Loop: Header=BB457_9 Depth=1
	v_fma_f32 v20, |v12|, s28, v15
	v_fma_f32 v20, |v12|, v20, s29
	;; [unrolled: 1-line block ×6, first 2 shown]
	v_fma_f32 v20, |v12|, v20, |v12|
	v_mul_f32_e32 v21, 0xbfb8aa3b, v20
	v_fma_f32 v22, v20, s35, -v21
	v_rndne_f32_e32 v23, v21
	v_fmac_f32_e32 v22, 0xb2a5705f, v20
	v_sub_f32_e32 v21, v21, v23
	v_add_f32_e32 v21, v21, v22
	v_cvt_i32_f32_e32 v22, v23
	v_exp_f32_e32 v21, v21
	v_cmp_nlt_f32_e32 vcc, s36, v20
	v_ldexp_f32 v21, v21, v22
	s_nop 0
	v_cndmask_b32_e32 v21, 0, v21, vcc
	v_cmp_ngt_f32_e32 vcc, s37, v20
	s_nop 1
	v_cndmask_b32_e32 v20, v16, v21, vcc
	v_sub_f32_e32 v20, 1.0, v20
.LBB457_15:                             ;   in Loop: Header=BB457_9 Depth=1
	s_andn2_saveexec_b64 s[14:15], s[14:15]
; %bb.16:                               ;   in Loop: Header=BB457_9 Depth=1
	v_mul_f32_e32 v20, v12, v12
	v_fmamk_f32 v21, v20, 0xba1345e1, v14
	v_fmaak_f32 v21, v20, v21, 0xbcdac9b8
	v_fmaak_f32 v21, v20, v21, 0x3de703be
	;; [unrolled: 1-line block ×4, first 2 shown]
	v_fma_f32 v20, |v12|, v20, |v12|
; %bb.17:                               ;   in Loop: Header=BB457_9 Depth=1
	s_or_b64 exec, exec, s[14:15]
	v_bfi_b32 v18, s38, v19, v18
	v_mul_f32_e32 v4, 0.5, v4
	v_add_f32_e32 v18, 1.0, v18
	v_mul_f32_e32 v4, v4, v18
	v_and_b32_e32 v18, 0xffff0000, v10
	v_lshlrev_b32_e32 v10, 16, v10
	s_waitcnt vmcnt(0)
	v_add_f32_e32 v0, v0, v10
	v_bfi_b32 v10, s38, v20, v12
	v_add_f32_e32 v1, v1, v18
	v_mul_f32_e32 v5, 0.5, v5
	v_add_f32_e32 v10, 1.0, v10
	v_mul_f32_e32 v5, v5, v10
	;;#ASMSTART
	v_pk_mul_f32 v[0:1], v[4:5], v[0:1]
	;;#ASMEND
	v_lshlrev_b32_e32 v4, 16, v13
	v_add_f32_e32 v4, v6, v4
	v_mul_f32_e32 v5, 0x3f3504f3, v4
	v_cmp_nlt_f32_e64 s[14:15], |v5|, 1.0
                                        ; implicit-def: $vgpr6
	s_and_saveexec_b64 s[40:41], s[14:15]
	s_xor_b64 s[14:15], exec, s[40:41]
	s_cbranch_execz .LBB457_19
; %bb.18:                               ;   in Loop: Header=BB457_9 Depth=1
	v_fma_f32 v6, |v5|, s28, v15
	v_fma_f32 v6, |v5|, v6, s29
	;; [unrolled: 1-line block ×6, first 2 shown]
	v_fma_f32 v6, |v5|, v6, |v5|
	v_mul_f32_e32 v10, 0xbfb8aa3b, v6
	v_fma_f32 v12, v6, s35, -v10
	v_rndne_f32_e32 v18, v10
	v_fmac_f32_e32 v12, 0xb2a5705f, v6
	v_sub_f32_e32 v10, v10, v18
	v_add_f32_e32 v10, v10, v12
	v_cvt_i32_f32_e32 v12, v18
	v_exp_f32_e32 v10, v10
	v_cmp_nlt_f32_e32 vcc, s36, v6
	v_ldexp_f32 v10, v10, v12
	s_nop 0
	v_cndmask_b32_e32 v10, 0, v10, vcc
	v_cmp_ngt_f32_e32 vcc, s37, v6
	s_nop 1
	v_cndmask_b32_e32 v6, v16, v10, vcc
	v_sub_f32_e32 v6, 1.0, v6
.LBB457_19:                             ;   in Loop: Header=BB457_9 Depth=1
	s_andn2_saveexec_b64 s[14:15], s[14:15]
; %bb.20:                               ;   in Loop: Header=BB457_9 Depth=1
	v_mul_f32_e32 v6, v5, v5
	v_fmamk_f32 v10, v6, 0xba1345e1, v14
	v_fmaak_f32 v10, v6, v10, 0xbcdac9b8
	v_fmaak_f32 v10, v6, v10, 0x3de703be
	;; [unrolled: 1-line block ×4, first 2 shown]
	v_fma_f32 v6, |v5|, v6, |v5|
; %bb.21:                               ;   in Loop: Header=BB457_9 Depth=1
	s_or_b64 exec, exec, s[14:15]
	v_and_b32_e32 v10, 0xffff0000, v13
	v_add_f32_e32 v7, v7, v10
	v_mul_f32_e32 v10, 0x3f3504f3, v7
	v_cmp_nlt_f32_e64 s[14:15], |v10|, 1.0
                                        ; implicit-def: $vgpr12
	s_and_saveexec_b64 s[40:41], s[14:15]
	s_xor_b64 s[14:15], exec, s[40:41]
	s_cbranch_execz .LBB457_23
; %bb.22:                               ;   in Loop: Header=BB457_9 Depth=1
	v_fma_f32 v12, |v10|, s28, v15
	v_fma_f32 v12, |v10|, v12, s29
	;; [unrolled: 1-line block ×6, first 2 shown]
	v_fma_f32 v12, |v10|, v12, |v10|
	v_mul_f32_e32 v13, 0xbfb8aa3b, v12
	v_fma_f32 v18, v12, s35, -v13
	v_rndne_f32_e32 v19, v13
	v_fmac_f32_e32 v18, 0xb2a5705f, v12
	v_sub_f32_e32 v13, v13, v19
	v_add_f32_e32 v13, v13, v18
	v_cvt_i32_f32_e32 v18, v19
	v_exp_f32_e32 v13, v13
	v_cmp_nlt_f32_e32 vcc, s36, v12
	v_ldexp_f32 v13, v13, v18
	s_nop 0
	v_cndmask_b32_e32 v13, 0, v13, vcc
	v_cmp_ngt_f32_e32 vcc, s37, v12
	s_nop 1
	v_cndmask_b32_e32 v12, v16, v13, vcc
	v_sub_f32_e32 v12, 1.0, v12
.LBB457_23:                             ;   in Loop: Header=BB457_9 Depth=1
	s_andn2_saveexec_b64 s[14:15], s[14:15]
	s_cbranch_execz .LBB457_8
; %bb.24:                               ;   in Loop: Header=BB457_9 Depth=1
	v_mul_f32_e32 v12, v10, v10
	v_fmamk_f32 v13, v12, 0xba1345e1, v14
	v_fmaak_f32 v13, v12, v13, 0xbcdac9b8
	v_fmaak_f32 v13, v12, v13, 0x3de703be
	;; [unrolled: 1-line block ×4, first 2 shown]
	v_fma_f32 v12, |v10|, v12, |v10|
	s_branch .LBB457_8
.LBB457_25:
	s_endpgm
	.section	.rodata,"a",@progbits
	.p2align	6, 0x0
	.amdhsa_kernel _ZN5aiter23act_and_mul_bias_kernelIttifTnPFfRKT2_EXadL_ZNS_11gelu_kernelIfEEfRKT_EELi4EEEvPT0_PS8_PKT1_PS2_il
		.amdhsa_group_segment_fixed_size 0
		.amdhsa_private_segment_fixed_size 0
		.amdhsa_kernarg_size 304
		.amdhsa_user_sgpr_count 2
		.amdhsa_user_sgpr_dispatch_ptr 0
		.amdhsa_user_sgpr_queue_ptr 0
		.amdhsa_user_sgpr_kernarg_segment_ptr 1
		.amdhsa_user_sgpr_dispatch_id 0
		.amdhsa_user_sgpr_kernarg_preload_length 0
		.amdhsa_user_sgpr_kernarg_preload_offset 0
		.amdhsa_user_sgpr_private_segment_size 0
		.amdhsa_uses_dynamic_stack 0
		.amdhsa_enable_private_segment 0
		.amdhsa_system_sgpr_workgroup_id_x 1
		.amdhsa_system_sgpr_workgroup_id_y 0
		.amdhsa_system_sgpr_workgroup_id_z 0
		.amdhsa_system_sgpr_workgroup_info 0
		.amdhsa_system_vgpr_workitem_id 0
		.amdhsa_next_free_vgpr 24
		.amdhsa_next_free_sgpr 42
		.amdhsa_accum_offset 24
		.amdhsa_reserve_vcc 1
		.amdhsa_float_round_mode_32 0
		.amdhsa_float_round_mode_16_64 0
		.amdhsa_float_denorm_mode_32 3
		.amdhsa_float_denorm_mode_16_64 3
		.amdhsa_dx10_clamp 1
		.amdhsa_ieee_mode 1
		.amdhsa_fp16_overflow 0
		.amdhsa_tg_split 0
		.amdhsa_exception_fp_ieee_invalid_op 0
		.amdhsa_exception_fp_denorm_src 0
		.amdhsa_exception_fp_ieee_div_zero 0
		.amdhsa_exception_fp_ieee_overflow 0
		.amdhsa_exception_fp_ieee_underflow 0
		.amdhsa_exception_fp_ieee_inexact 0
		.amdhsa_exception_int_div_zero 0
	.end_amdhsa_kernel
	.section	.text._ZN5aiter23act_and_mul_bias_kernelIttifTnPFfRKT2_EXadL_ZNS_11gelu_kernelIfEEfRKT_EELi4EEEvPT0_PS8_PKT1_PS2_il,"axG",@progbits,_ZN5aiter23act_and_mul_bias_kernelIttifTnPFfRKT2_EXadL_ZNS_11gelu_kernelIfEEfRKT_EELi4EEEvPT0_PS8_PKT1_PS2_il,comdat
.Lfunc_end457:
	.size	_ZN5aiter23act_and_mul_bias_kernelIttifTnPFfRKT2_EXadL_ZNS_11gelu_kernelIfEEfRKT_EELi4EEEvPT0_PS8_PKT1_PS2_il, .Lfunc_end457-_ZN5aiter23act_and_mul_bias_kernelIttifTnPFfRKT2_EXadL_ZNS_11gelu_kernelIfEEfRKT_EELi4EEEvPT0_PS8_PKT1_PS2_il
                                        ; -- End function
	.section	.AMDGPU.csdata,"",@progbits
; Kernel info:
; codeLenInByte = 1804
; NumSgprs: 48
; NumVgprs: 24
; NumAgprs: 0
; TotalNumVgprs: 24
; ScratchSize: 0
; MemoryBound: 0
; FloatMode: 240
; IeeeMode: 1
; LDSByteSize: 0 bytes/workgroup (compile time only)
; SGPRBlocks: 5
; VGPRBlocks: 2
; NumSGPRsForWavesPerEU: 48
; NumVGPRsForWavesPerEU: 24
; AccumOffset: 24
; Occupancy: 8
; WaveLimiterHint : 0
; COMPUTE_PGM_RSRC2:SCRATCH_EN: 0
; COMPUTE_PGM_RSRC2:USER_SGPR: 2
; COMPUTE_PGM_RSRC2:TRAP_HANDLER: 0
; COMPUTE_PGM_RSRC2:TGID_X_EN: 1
; COMPUTE_PGM_RSRC2:TGID_Y_EN: 0
; COMPUTE_PGM_RSRC2:TGID_Z_EN: 0
; COMPUTE_PGM_RSRC2:TIDIG_COMP_CNT: 0
; COMPUTE_PGM_RSRC3_GFX90A:ACCUM_OFFSET: 5
; COMPUTE_PGM_RSRC3_GFX90A:TG_SPLIT: 0
	.section	.text._ZN5aiter23act_and_mul_bias_kernelIttifTnPFfRKT2_EXadL_ZNS_11gelu_kernelIfEEfRKT_EELi2EEEvPT0_PS8_PKT1_PS2_il,"axG",@progbits,_ZN5aiter23act_and_mul_bias_kernelIttifTnPFfRKT2_EXadL_ZNS_11gelu_kernelIfEEfRKT_EELi2EEEvPT0_PS8_PKT1_PS2_il,comdat
	.protected	_ZN5aiter23act_and_mul_bias_kernelIttifTnPFfRKT2_EXadL_ZNS_11gelu_kernelIfEEfRKT_EELi2EEEvPT0_PS8_PKT1_PS2_il ; -- Begin function _ZN5aiter23act_and_mul_bias_kernelIttifTnPFfRKT2_EXadL_ZNS_11gelu_kernelIfEEfRKT_EELi2EEEvPT0_PS8_PKT1_PS2_il
	.globl	_ZN5aiter23act_and_mul_bias_kernelIttifTnPFfRKT2_EXadL_ZNS_11gelu_kernelIfEEfRKT_EELi2EEEvPT0_PS8_PKT1_PS2_il
	.p2align	8
	.type	_ZN5aiter23act_and_mul_bias_kernelIttifTnPFfRKT2_EXadL_ZNS_11gelu_kernelIfEEfRKT_EELi2EEEvPT0_PS8_PKT1_PS2_il,@function
_ZN5aiter23act_and_mul_bias_kernelIttifTnPFfRKT2_EXadL_ZNS_11gelu_kernelIfEEfRKT_EELi2EEEvPT0_PS8_PKT1_PS2_il: ; @_ZN5aiter23act_and_mul_bias_kernelIttifTnPFfRKT2_EXadL_ZNS_11gelu_kernelIfEEfRKT_EELi2EEEvPT0_PS8_PKT1_PS2_il
; %bb.0:
	s_load_dword s24, s[0:1], 0x20
	s_load_dwordx2 s[4:5], s[0:1], 0x10
	s_load_dwordx2 s[12:13], s[0:1], 0x28
	s_mov_b32 s3, 0
	s_lshl_b64 s[6:7], s[2:3], 2
	s_waitcnt lgkmcnt(0)
	s_ashr_i32 s25, s24, 31
	s_add_u32 s4, s4, s6
	s_addc_u32 s5, s5, s7
	s_add_i32 s3, s24, 1
	s_load_dword s8, s[4:5], 0x0
	s_load_dwordx2 s[14:15], s[0:1], 0x0
	s_lshr_b32 s4, s3, 31
	s_add_i32 s3, s3, s4
	s_lshl_b32 s3, s3, 1
	s_and_b32 s6, s3, -4
	s_mul_hi_u32 s3, s24, s2
	s_mul_i32 s4, s25, s2
	s_add_i32 s5, s3, s4
	s_mul_i32 s4, s24, s2
	s_waitcnt lgkmcnt(0)
	s_ashr_i32 s9, s8, 31
	s_lshl_b64 s[4:5], s[4:5], 1
	v_mov_b64_e32 v[2:3], s[12:13]
	v_cmp_gt_i64_e64 s[16:17], s[8:9], -1
	s_add_u32 s4, s14, s4
	v_cmp_lt_i64_e32 vcc, s[8:9], v[2:3]
	s_addc_u32 s3, s15, s5
	s_and_b64 s[12:13], s[16:17], vcc
	s_mov_b64 s[10:11], -1
	s_and_b32 s5, s3, 0xffff
	s_and_b64 vcc, exec, s[12:13]
	v_lshlrev_b32_e32 v2, 1, v0
	s_cbranch_vccnz .LBB458_5
; %bb.1:
	v_cmp_gt_i32_e32 vcc, s24, v2
	s_and_saveexec_b64 s[10:11], vcc
	s_cbranch_execz .LBB458_4
; %bb.2:
	s_load_dword s3, s[0:1], 0x3c
	v_mov_b32_e32 v3, 0
	s_mov_b32 s13, 0
	v_lshlrev_b32_e32 v4, 2, v0
	s_mov_b64 s[14:15], 0
	s_waitcnt lgkmcnt(0)
	s_and_b32 s3, s3, 0xffff
	s_lshl_b32 s12, s3, 1
	s_lshl_b32 s3, s3, 2
	s_mov_b32 s7, 0x20000
	v_mov_b64_e32 v[0:1], v[2:3]
.LBB458_3:                              ; =>This Inner Loop Header: Depth=1
	v_lshl_add_u64 v[0:1], s[12:13], 0, v[0:1]
	v_cmp_le_i64_e32 vcc, s[24:25], v[0:1]
	buffer_store_dword v3, v4, s[4:7], 0 offen
	s_or_b64 s[14:15], vcc, s[14:15]
	v_add_u32_e32 v4, s3, v4
	s_andn2_b64 exec, exec, s[14:15]
	s_cbranch_execnz .LBB458_3
.LBB458_4:
	s_or_b64 exec, exec, s[10:11]
	s_mov_b64 s[10:11], 0
.LBB458_5:
	s_andn2_b64 vcc, exec, s[10:11]
	s_cbranch_vccnz .LBB458_13
; %bb.6:
	v_cmp_gt_i32_e32 vcc, s24, v2
	s_and_saveexec_b64 s[10:11], vcc
	s_cbranch_execz .LBB458_13
; %bb.7:
	s_load_dwordx2 s[10:11], s[0:1], 0x18
	s_load_dwordx2 s[14:15], s[0:1], 0x8
	s_mul_hi_i32 s9, s24, s8
	s_mul_i32 s8, s24, s8
	s_lshl_b64 s[8:9], s[8:9], 3
	s_waitcnt lgkmcnt(0)
	s_add_u32 s8, s10, s8
	s_addc_u32 s3, s11, s9
	s_lshl_b64 s[10:11], s[24:25], 2
	s_add_u32 s12, s8, s10
	s_addc_u32 s13, s3, s11
	s_and_b32 s9, s3, 0xffff
	s_mul_i32 s3, s2, s25
	s_mul_hi_u32 s16, s2, s24
	s_add_i32 s3, s16, s3
	s_mul_i32 s2, s2, s24
	s_lshl_b32 s10, s24, 2
	s_and_b32 s13, s13, 0xffff
	s_lshl_b64 s[2:3], s[2:3], 2
	s_add_u32 s16, s14, s2
	s_addc_u32 s14, s15, s3
	s_lshl_b64 s[2:3], s[24:25], 1
	s_add_u32 s20, s16, s2
	s_addc_u32 s2, s14, s3
	s_and_b32 s17, s14, 0xffff
	s_and_b32 s21, s2, 0xffff
	s_mov_b32 s7, 0x20000
	s_add_u32 s0, s0, 48
	s_mov_b32 s11, s7
	s_mov_b64 s[22:23], s[6:7]
	v_mov_b32_e32 v3, 0
	s_addc_u32 s1, s1, 0
	s_mov_b64 s[2:3], 0
	s_mov_b32 s18, s6
	s_mov_b32 s19, s7
	s_mov_b32 s27, 0
	s_mov_b32 s28, 0x3f3504f3
	s_mov_b32 s29, 0x378e98ab
	s_mov_b32 s30, 0x3b7cd369
	s_mov_b32 s31, 0xbcc618b2
	s_mov_b32 s33, 0x3dda74e4
	s_mov_b32 s34, 0x3f228afd
	s_mov_b32 s35, 0x3e03c728
	s_mov_b32 s36, 0xbfb8aa3b
	s_mov_b32 s37, 0x42ce8ed0
	s_mov_b32 s38, 0xc2b17218
	v_mov_b32_e32 v10, 0x3ba10414
	v_mov_b32_e32 v11, 0xb9c68948
	;; [unrolled: 1-line block ×3, first 2 shown]
	s_brev_b32 s39, -2
	s_mov_b32 s40, 0x7060302
                                        ; implicit-def: $vgpr0
                                        ; implicit-def: $vgpr0
                                        ; implicit-def: $vgpr0
                                        ; implicit-def: $vgpr0
	s_branch .LBB458_9
.LBB458_8:                              ;   in Loop: Header=BB458_9 Depth=1
	s_or_b64 exec, exec, s[14:15]
	v_fma_f32 v8, |v1|, s29, v11
	v_fma_f32 v8, |v1|, v8, s30
	;; [unrolled: 1-line block ×6, first 2 shown]
	v_fma_f32 v8, |v1|, v8, |v1|
	v_mul_f32_e32 v16, 0xbfb8aa3b, v8
	v_fma_f32 v17, v8, s36, -v16
	v_rndne_f32_e32 v18, v16
	v_fmac_f32_e32 v17, 0xb2a5705f, v8
	v_sub_f32_e32 v16, v16, v18
	v_add_f32_e32 v16, v16, v17
	v_exp_f32_e32 v19, v16
	v_cvt_i32_f32_e32 v18, v18
	v_and_b32_e32 v17, 0xffff0000, v14
	v_lshlrev_b32_e32 v16, 16, v14
	v_cmp_nlt_f32_e32 vcc, s37, v8
	v_ldexp_f32 v14, v19, v18
	v_bfi_b32 v0, s39, v15, v0
	v_cndmask_b32_e32 v14, 0, v14, vcc
	v_cmp_ngt_f32_e32 vcc, s38, v8
	v_mul_f32_e32 v5, 0.5, v5
	v_mul_f32_e32 v4, 0.5, v4
	v_cndmask_b32_e32 v8, v12, v14, vcc
	v_fmamk_f32 v14, v9, 0xba1345e1, v10
	v_fmaak_f32 v14, v9, v14, 0xbcdac9b8
	v_fmaak_f32 v14, v9, v14, 0x3de703be
	;; [unrolled: 1-line block ×4, first 2 shown]
	v_sub_f32_e32 v8, 1.0, v8
	v_fma_f32 v9, |v1|, v9, |v1|
	v_cmp_lt_f32_e64 vcc, |v1|, 1.0
	s_waitcnt vmcnt(0)
	v_pk_add_f32 v[6:7], v[6:7], v[16:17]
	v_cndmask_b32_e32 v8, v8, v9, vcc
	v_bfi_b32 v1, s39, v8, v1
	v_pk_add_f32 v[0:1], v[0:1], 1.0 op_sel_hi:[1,0]
	s_nop 0
	v_pk_mul_f32 v[0:1], v[4:5], v[0:1]
	s_nop 0
	;;#ASMSTART
	v_pk_mul_f32 v[0:1], v[0:1], v[6:7]
	;;#ASMEND
	s_load_dword s14, s[0:1], 0xc
	v_perm_b32 v0, v1, v0, s40
	buffer_store_dword v0, v13, s[4:7], 0 offen
	s_waitcnt lgkmcnt(0)
	s_and_b32 s14, s14, 0xffff
	s_lshl_b32 s26, s14, 1
	v_lshl_add_u64 v[2:3], s[26:27], 0, v[2:3]
	v_cmp_le_i64_e32 vcc, s[24:25], v[2:3]
	s_or_b64 s[2:3], vcc, s[2:3]
	s_andn2_b64 exec, exec, s[2:3]
	s_cbranch_execz .LBB458_13
.LBB458_9:                              ; =>This Inner Loop Header: Depth=1
	v_lshlrev_b32_e32 v13, 1, v2
	v_lshlrev_b32_e32 v5, 2, v2
	buffer_load_dword v4, v13, s[16:19], 0 offen
	buffer_load_dword v14, v13, s[20:23], 0 offen
	buffer_load_dwordx2 v[0:1], v5, s[8:11], 0 offen
	s_mov_b32 s14, s10
	s_mov_b32 s15, s11
	buffer_load_dwordx2 v[6:7], v5, s[12:15], 0 offen
                                        ; implicit-def: $vgpr15
	s_waitcnt vmcnt(3)
	v_and_b32_e32 v5, 0xffff0000, v4
	v_lshlrev_b32_e32 v4, 16, v4
	s_waitcnt vmcnt(1)
	v_pk_add_f32 v[4:5], v[0:1], v[4:5]
	s_nop 0
	v_pk_mul_f32 v[0:1], v[4:5], s[28:29] op_sel_hi:[1,0]
	s_nop 0
	v_cmp_nlt_f32_e64 s[14:15], |v0|, 1.0
	s_and_saveexec_b64 s[42:43], s[14:15]
	s_xor_b64 s[14:15], exec, s[42:43]
	s_cbranch_execz .LBB458_11
; %bb.10:                               ;   in Loop: Header=BB458_9 Depth=1
	v_fma_f32 v8, |v0|, s29, v11
	v_fma_f32 v8, |v0|, v8, s30
	;; [unrolled: 1-line block ×6, first 2 shown]
	v_fma_f32 v8, |v0|, v8, |v0|
	v_mul_f32_e32 v9, 0xbfb8aa3b, v8
	v_fma_f32 v15, v8, s36, -v9
	v_rndne_f32_e32 v16, v9
	v_fmac_f32_e32 v15, 0xb2a5705f, v8
	v_sub_f32_e32 v9, v9, v16
	v_add_f32_e32 v9, v9, v15
	v_cvt_i32_f32_e32 v15, v16
	v_exp_f32_e32 v9, v9
	v_cmp_nlt_f32_e32 vcc, s37, v8
	v_ldexp_f32 v9, v9, v15
	s_nop 0
	v_cndmask_b32_e32 v9, 0, v9, vcc
	v_cmp_ngt_f32_e32 vcc, s38, v8
	s_nop 1
	v_cndmask_b32_e32 v8, v12, v9, vcc
	v_sub_f32_e32 v15, 1.0, v8
.LBB458_11:                             ;   in Loop: Header=BB458_9 Depth=1
	s_or_saveexec_b64 s[14:15], s[14:15]
	v_pk_mul_f32 v[8:9], v[0:1], v[0:1]
	s_xor_b64 exec, exec, s[14:15]
	s_cbranch_execz .LBB458_8
; %bb.12:                               ;   in Loop: Header=BB458_9 Depth=1
	v_fmamk_f32 v15, v8, 0xba1345e1, v10
	v_fmaak_f32 v15, v8, v15, 0xbcdac9b8
	v_fmaak_f32 v15, v8, v15, 0x3de703be
	v_fmaak_f32 v15, v8, v15, 0xbec09330
	v_fmaak_f32 v8, v8, v15, 0x3e0375d0
	v_fma_f32 v15, |v0|, v8, |v0|
	s_branch .LBB458_8
.LBB458_13:
	s_endpgm
	.section	.rodata,"a",@progbits
	.p2align	6, 0x0
	.amdhsa_kernel _ZN5aiter23act_and_mul_bias_kernelIttifTnPFfRKT2_EXadL_ZNS_11gelu_kernelIfEEfRKT_EELi2EEEvPT0_PS8_PKT1_PS2_il
		.amdhsa_group_segment_fixed_size 0
		.amdhsa_private_segment_fixed_size 0
		.amdhsa_kernarg_size 304
		.amdhsa_user_sgpr_count 2
		.amdhsa_user_sgpr_dispatch_ptr 0
		.amdhsa_user_sgpr_queue_ptr 0
		.amdhsa_user_sgpr_kernarg_segment_ptr 1
		.amdhsa_user_sgpr_dispatch_id 0
		.amdhsa_user_sgpr_kernarg_preload_length 0
		.amdhsa_user_sgpr_kernarg_preload_offset 0
		.amdhsa_user_sgpr_private_segment_size 0
		.amdhsa_uses_dynamic_stack 0
		.amdhsa_enable_private_segment 0
		.amdhsa_system_sgpr_workgroup_id_x 1
		.amdhsa_system_sgpr_workgroup_id_y 0
		.amdhsa_system_sgpr_workgroup_id_z 0
		.amdhsa_system_sgpr_workgroup_info 0
		.amdhsa_system_vgpr_workitem_id 0
		.amdhsa_next_free_vgpr 20
		.amdhsa_next_free_sgpr 44
		.amdhsa_accum_offset 20
		.amdhsa_reserve_vcc 1
		.amdhsa_float_round_mode_32 0
		.amdhsa_float_round_mode_16_64 0
		.amdhsa_float_denorm_mode_32 3
		.amdhsa_float_denorm_mode_16_64 3
		.amdhsa_dx10_clamp 1
		.amdhsa_ieee_mode 1
		.amdhsa_fp16_overflow 0
		.amdhsa_tg_split 0
		.amdhsa_exception_fp_ieee_invalid_op 0
		.amdhsa_exception_fp_denorm_src 0
		.amdhsa_exception_fp_ieee_div_zero 0
		.amdhsa_exception_fp_ieee_overflow 0
		.amdhsa_exception_fp_ieee_underflow 0
		.amdhsa_exception_fp_ieee_inexact 0
		.amdhsa_exception_int_div_zero 0
	.end_amdhsa_kernel
	.section	.text._ZN5aiter23act_and_mul_bias_kernelIttifTnPFfRKT2_EXadL_ZNS_11gelu_kernelIfEEfRKT_EELi2EEEvPT0_PS8_PKT1_PS2_il,"axG",@progbits,_ZN5aiter23act_and_mul_bias_kernelIttifTnPFfRKT2_EXadL_ZNS_11gelu_kernelIfEEfRKT_EELi2EEEvPT0_PS8_PKT1_PS2_il,comdat
.Lfunc_end458:
	.size	_ZN5aiter23act_and_mul_bias_kernelIttifTnPFfRKT2_EXadL_ZNS_11gelu_kernelIfEEfRKT_EELi2EEEvPT0_PS8_PKT1_PS2_il, .Lfunc_end458-_ZN5aiter23act_and_mul_bias_kernelIttifTnPFfRKT2_EXadL_ZNS_11gelu_kernelIfEEfRKT_EELi2EEEvPT0_PS8_PKT1_PS2_il
                                        ; -- End function
	.section	.AMDGPU.csdata,"",@progbits
; Kernel info:
; codeLenInByte = 1248
; NumSgprs: 50
; NumVgprs: 20
; NumAgprs: 0
; TotalNumVgprs: 20
; ScratchSize: 0
; MemoryBound: 0
; FloatMode: 240
; IeeeMode: 1
; LDSByteSize: 0 bytes/workgroup (compile time only)
; SGPRBlocks: 6
; VGPRBlocks: 2
; NumSGPRsForWavesPerEU: 50
; NumVGPRsForWavesPerEU: 20
; AccumOffset: 20
; Occupancy: 8
; WaveLimiterHint : 0
; COMPUTE_PGM_RSRC2:SCRATCH_EN: 0
; COMPUTE_PGM_RSRC2:USER_SGPR: 2
; COMPUTE_PGM_RSRC2:TRAP_HANDLER: 0
; COMPUTE_PGM_RSRC2:TGID_X_EN: 1
; COMPUTE_PGM_RSRC2:TGID_Y_EN: 0
; COMPUTE_PGM_RSRC2:TGID_Z_EN: 0
; COMPUTE_PGM_RSRC2:TIDIG_COMP_CNT: 0
; COMPUTE_PGM_RSRC3_GFX90A:ACCUM_OFFSET: 4
; COMPUTE_PGM_RSRC3_GFX90A:TG_SPLIT: 0
	.section	.text._ZN5aiter23act_and_mul_bias_kernelIttifTnPFfRKT2_EXadL_ZNS_11gelu_kernelIfEEfRKT_EELi1EEEvPT0_PS8_PKT1_PS2_il,"axG",@progbits,_ZN5aiter23act_and_mul_bias_kernelIttifTnPFfRKT2_EXadL_ZNS_11gelu_kernelIfEEfRKT_EELi1EEEvPT0_PS8_PKT1_PS2_il,comdat
	.protected	_ZN5aiter23act_and_mul_bias_kernelIttifTnPFfRKT2_EXadL_ZNS_11gelu_kernelIfEEfRKT_EELi1EEEvPT0_PS8_PKT1_PS2_il ; -- Begin function _ZN5aiter23act_and_mul_bias_kernelIttifTnPFfRKT2_EXadL_ZNS_11gelu_kernelIfEEfRKT_EELi1EEEvPT0_PS8_PKT1_PS2_il
	.globl	_ZN5aiter23act_and_mul_bias_kernelIttifTnPFfRKT2_EXadL_ZNS_11gelu_kernelIfEEfRKT_EELi1EEEvPT0_PS8_PKT1_PS2_il
	.p2align	8
	.type	_ZN5aiter23act_and_mul_bias_kernelIttifTnPFfRKT2_EXadL_ZNS_11gelu_kernelIfEEfRKT_EELi1EEEvPT0_PS8_PKT1_PS2_il,@function
_ZN5aiter23act_and_mul_bias_kernelIttifTnPFfRKT2_EXadL_ZNS_11gelu_kernelIfEEfRKT_EELi1EEEvPT0_PS8_PKT1_PS2_il: ; @_ZN5aiter23act_and_mul_bias_kernelIttifTnPFfRKT2_EXadL_ZNS_11gelu_kernelIfEEfRKT_EELi1EEEvPT0_PS8_PKT1_PS2_il
; %bb.0:
	s_load_dword s20, s[0:1], 0x20
	s_load_dwordx2 s[4:5], s[0:1], 0x10
	s_load_dwordx2 s[14:15], s[0:1], 0x28
	s_mov_b32 s3, 0
	s_lshl_b64 s[6:7], s[2:3], 2
	s_waitcnt lgkmcnt(0)
	s_ashr_i32 s21, s20, 31
	s_add_u32 s4, s4, s6
	s_addc_u32 s5, s5, s7
	s_add_i32 s3, s20, 1
	s_lshr_b32 s10, s3, 31
	s_load_dword s6, s[4:5], 0x0
	s_load_dwordx2 s[8:9], s[0:1], 0x0
	s_add_i32 s3, s3, s10
	s_lshl_b32 s3, s3, 1
	s_and_b32 s10, s3, -4
	s_mul_hi_u32 s3, s20, s2
	s_mul_i32 s11, s21, s2
	s_add_i32 s17, s3, s11
	s_mul_i32 s16, s20, s2
	s_waitcnt lgkmcnt(0)
	s_ashr_i32 s7, s6, 31
	s_lshl_b64 s[16:17], s[16:17], 1
	v_mov_b64_e32 v[2:3], s[14:15]
	v_cmp_gt_i64_e64 s[4:5], s[6:7], -1
	s_add_u32 s8, s8, s16
	v_cmp_lt_i64_e32 vcc, s[6:7], v[2:3]
	s_addc_u32 s3, s9, s17
	s_and_b64 s[4:5], s[4:5], vcc
	s_mov_b64 s[12:13], -1
	s_and_b32 s9, s3, 0xffff
	s_and_b64 vcc, exec, s[4:5]
	v_cmp_gt_i32_e64 s[4:5], s20, v0
	s_cbranch_vccnz .LBB459_5
; %bb.1:
	s_and_saveexec_b64 s[12:13], s[4:5]
	s_cbranch_execz .LBB459_4
; %bb.2:
	s_load_dword s3, s[0:1], 0x3c
	v_mov_b32_e32 v1, 0
	s_mov_b32 s5, 0
	v_lshlrev_b32_e32 v4, 1, v0
	s_mov_b64 s[14:15], 0
	s_waitcnt lgkmcnt(0)
	s_and_b32 s4, s3, 0xffff
	s_lshl_b32 s3, s4, 1
	s_mov_b32 s11, 0x20000
	v_mov_b64_e32 v[2:3], v[0:1]
.LBB459_3:                              ; =>This Inner Loop Header: Depth=1
	v_lshl_add_u64 v[2:3], v[2:3], 0, s[4:5]
	v_cmp_le_i64_e32 vcc, s[20:21], v[2:3]
	buffer_store_short v1, v4, s[8:11], 0 offen
	s_or_b64 s[14:15], vcc, s[14:15]
	v_add_u32_e32 v4, s3, v4
	s_andn2_b64 exec, exec, s[14:15]
	s_cbranch_execnz .LBB459_3
.LBB459_4:
	s_or_b64 exec, exec, s[12:13]
	s_mov_b64 s[12:13], 0
.LBB459_5:
	s_andn2_b64 vcc, exec, s[12:13]
	s_cbranch_vccnz .LBB459_13
; %bb.6:
	v_cmp_gt_i32_e32 vcc, s20, v0
	s_and_saveexec_b64 s[4:5], vcc
	s_cbranch_execz .LBB459_13
; %bb.7:
	s_load_dwordx2 s[12:13], s[0:1], 0x8
	s_load_dwordx2 s[4:5], s[0:1], 0x18
	s_mul_hi_i32 s7, s20, s6
	s_mul_i32 s6, s20, s6
	s_lshl_b64 s[6:7], s[6:7], 3
	s_load_dword s14, s[0:1], 0x3c
	s_waitcnt lgkmcnt(0)
	s_add_u32 s4, s4, s6
	s_addc_u32 s3, s5, s7
	s_lshl_b64 s[0:1], s[20:21], 2
	s_add_u32 s0, s4, s0
	s_addc_u32 s1, s3, s1
	s_and_b32 s5, s3, 0xffff
	s_mul_i32 s3, s2, s21
	s_mul_hi_u32 s15, s2, s20
	s_add_i32 s3, s15, s3
	s_mul_i32 s2, s2, s20
	s_lshl_b32 s6, s20, 2
	s_and_b32 s1, s1, 0xffff
	s_lshl_b64 s[2:3], s[2:3], 2
	s_add_u32 s12, s12, s2
	s_addc_u32 s13, s13, s3
	s_lshl_b64 s[2:3], s[20:21], 1
	s_add_u32 s16, s12, s2
	s_mov_b32 s11, 0x20000
	s_addc_u32 s2, s13, s3
	s_and_b32 s22, s14, 0xffff
                                        ; implicit-def: $vgpr5
                                        ; implicit-def: $vgpr5
	;; [unrolled: 1-line block ×4, first 2 shown]
	s_mov_b32 s7, s11
	s_and_b32 s13, s13, 0xffff
	s_mov_b64 s[18:19], s[10:11]
	s_and_b32 s17, s2, 0xffff
	s_mov_b32 s23, 0
	v_mov_b32_e32 v1, 0
	v_lshlrev_b32_e32 v2, 2, v0
	s_lshl_b32 s26, s22, 2
	v_lshlrev_b32_e32 v3, 1, v0
	s_lshl_b32 s27, s22, 1
	s_mov_b64 s[24:25], 0
	s_mov_b32 s14, s10
	s_mov_b32 s15, s11
	;; [unrolled: 1-line block ×11, first 2 shown]
	v_mov_b32_e32 v4, 0x3ba10414
	s_brev_b32 s38, -2
	v_mov_b32_e32 v5, 0xb9c68948
	v_mov_b32_e32 v6, 0x7f800000
	s_branch .LBB459_9
.LBB459_8:                              ;   in Loop: Header=BB459_9 Depth=1
	s_or_b64 exec, exec, s[2:3]
	v_lshlrev_b32_e32 v7, 16, v7
	s_waitcnt vmcnt(0)
	v_add_f32_e32 v7, v7, v8
	v_mul_f32_e32 v8, 0.5, v9
	v_bfi_b32 v9, s38, v11, v10
	v_add_f32_e32 v9, 1.0, v9
	v_mul_f32_e32 v8, v8, v9
	v_mul_f32_e32 v7, v7, v8
	v_lshl_add_u64 v[0:1], v[0:1], 0, s[22:23]
	v_lshrrev_b32_e32 v7, 16, v7
	v_cmp_le_i64_e32 vcc, s[20:21], v[0:1]
	buffer_store_short v7, v3, s[8:11], 0 offen
	v_add_u32_e32 v2, s26, v2
	s_or_b64 s[24:25], vcc, s[24:25]
	v_add_u32_e32 v3, s27, v3
	s_andn2_b64 exec, exec, s[24:25]
	s_cbranch_execz .LBB459_13
.LBB459_9:                              ; =>This Inner Loop Header: Depth=1
	buffer_load_ushort v9, v3, s[12:15], 0 offen
	buffer_load_ushort v7, v3, s[16:19], 0 offen
	buffer_load_dword v10, v2, s[4:7], 0 offen
	s_mov_b32 s2, s6
	s_mov_b32 s3, s7
	buffer_load_dword v8, v2, s[0:3], 0 offen
                                        ; implicit-def: $vgpr11
	s_waitcnt vmcnt(3)
	v_lshlrev_b32_e32 v9, 16, v9
	s_waitcnt vmcnt(1)
	v_add_f32_e32 v9, v9, v10
	v_mul_f32_e32 v10, 0x3f3504f3, v9
	v_cmp_nlt_f32_e64 s[2:3], |v10|, 1.0
	s_and_saveexec_b64 s[40:41], s[2:3]
	s_xor_b64 s[2:3], exec, s[40:41]
	s_cbranch_execz .LBB459_11
; %bb.10:                               ;   in Loop: Header=BB459_9 Depth=1
	v_fma_f32 v11, |v10|, s28, v5
	v_fma_f32 v11, |v10|, v11, s29
	;; [unrolled: 1-line block ×6, first 2 shown]
	v_fma_f32 v11, |v10|, v11, |v10|
	v_mul_f32_e32 v12, 0xbfb8aa3b, v11
	v_fma_f32 v13, v11, s35, -v12
	v_rndne_f32_e32 v14, v12
	v_fmac_f32_e32 v13, 0xb2a5705f, v11
	v_sub_f32_e32 v12, v12, v14
	v_add_f32_e32 v12, v12, v13
	v_cvt_i32_f32_e32 v13, v14
	v_exp_f32_e32 v12, v12
	v_cmp_nlt_f32_e32 vcc, s36, v11
	v_ldexp_f32 v12, v12, v13
	s_nop 0
	v_cndmask_b32_e32 v12, 0, v12, vcc
	v_cmp_ngt_f32_e32 vcc, s37, v11
	s_nop 1
	v_cndmask_b32_e32 v11, v6, v12, vcc
	v_sub_f32_e32 v11, 1.0, v11
.LBB459_11:                             ;   in Loop: Header=BB459_9 Depth=1
	s_andn2_saveexec_b64 s[2:3], s[2:3]
	s_cbranch_execz .LBB459_8
; %bb.12:                               ;   in Loop: Header=BB459_9 Depth=1
	v_mul_f32_e32 v11, v10, v10
	v_fmamk_f32 v12, v11, 0xba1345e1, v4
	v_fmaak_f32 v12, v11, v12, 0xbcdac9b8
	v_fmaak_f32 v12, v11, v12, 0x3de703be
	;; [unrolled: 1-line block ×4, first 2 shown]
	v_fma_f32 v11, |v10|, v11, |v10|
	s_branch .LBB459_8
.LBB459_13:
	s_endpgm
	.section	.rodata,"a",@progbits
	.p2align	6, 0x0
	.amdhsa_kernel _ZN5aiter23act_and_mul_bias_kernelIttifTnPFfRKT2_EXadL_ZNS_11gelu_kernelIfEEfRKT_EELi1EEEvPT0_PS8_PKT1_PS2_il
		.amdhsa_group_segment_fixed_size 0
		.amdhsa_private_segment_fixed_size 0
		.amdhsa_kernarg_size 304
		.amdhsa_user_sgpr_count 2
		.amdhsa_user_sgpr_dispatch_ptr 0
		.amdhsa_user_sgpr_queue_ptr 0
		.amdhsa_user_sgpr_kernarg_segment_ptr 1
		.amdhsa_user_sgpr_dispatch_id 0
		.amdhsa_user_sgpr_kernarg_preload_length 0
		.amdhsa_user_sgpr_kernarg_preload_offset 0
		.amdhsa_user_sgpr_private_segment_size 0
		.amdhsa_uses_dynamic_stack 0
		.amdhsa_enable_private_segment 0
		.amdhsa_system_sgpr_workgroup_id_x 1
		.amdhsa_system_sgpr_workgroup_id_y 0
		.amdhsa_system_sgpr_workgroup_id_z 0
		.amdhsa_system_sgpr_workgroup_info 0
		.amdhsa_system_vgpr_workitem_id 0
		.amdhsa_next_free_vgpr 15
		.amdhsa_next_free_sgpr 42
		.amdhsa_accum_offset 16
		.amdhsa_reserve_vcc 1
		.amdhsa_float_round_mode_32 0
		.amdhsa_float_round_mode_16_64 0
		.amdhsa_float_denorm_mode_32 3
		.amdhsa_float_denorm_mode_16_64 3
		.amdhsa_dx10_clamp 1
		.amdhsa_ieee_mode 1
		.amdhsa_fp16_overflow 0
		.amdhsa_tg_split 0
		.amdhsa_exception_fp_ieee_invalid_op 0
		.amdhsa_exception_fp_denorm_src 0
		.amdhsa_exception_fp_ieee_div_zero 0
		.amdhsa_exception_fp_ieee_overflow 0
		.amdhsa_exception_fp_ieee_underflow 0
		.amdhsa_exception_fp_ieee_inexact 0
		.amdhsa_exception_int_div_zero 0
	.end_amdhsa_kernel
	.section	.text._ZN5aiter23act_and_mul_bias_kernelIttifTnPFfRKT2_EXadL_ZNS_11gelu_kernelIfEEfRKT_EELi1EEEvPT0_PS8_PKT1_PS2_il,"axG",@progbits,_ZN5aiter23act_and_mul_bias_kernelIttifTnPFfRKT2_EXadL_ZNS_11gelu_kernelIfEEfRKT_EELi1EEEvPT0_PS8_PKT1_PS2_il,comdat
.Lfunc_end459:
	.size	_ZN5aiter23act_and_mul_bias_kernelIttifTnPFfRKT2_EXadL_ZNS_11gelu_kernelIfEEfRKT_EELi1EEEvPT0_PS8_PKT1_PS2_il, .Lfunc_end459-_ZN5aiter23act_and_mul_bias_kernelIttifTnPFfRKT2_EXadL_ZNS_11gelu_kernelIfEEfRKT_EELi1EEEvPT0_PS8_PKT1_PS2_il
                                        ; -- End function
	.section	.AMDGPU.csdata,"",@progbits
; Kernel info:
; codeLenInByte = 964
; NumSgprs: 48
; NumVgprs: 15
; NumAgprs: 0
; TotalNumVgprs: 15
; ScratchSize: 0
; MemoryBound: 0
; FloatMode: 240
; IeeeMode: 1
; LDSByteSize: 0 bytes/workgroup (compile time only)
; SGPRBlocks: 5
; VGPRBlocks: 1
; NumSGPRsForWavesPerEU: 48
; NumVGPRsForWavesPerEU: 15
; AccumOffset: 16
; Occupancy: 8
; WaveLimiterHint : 0
; COMPUTE_PGM_RSRC2:SCRATCH_EN: 0
; COMPUTE_PGM_RSRC2:USER_SGPR: 2
; COMPUTE_PGM_RSRC2:TRAP_HANDLER: 0
; COMPUTE_PGM_RSRC2:TGID_X_EN: 1
; COMPUTE_PGM_RSRC2:TGID_Y_EN: 0
; COMPUTE_PGM_RSRC2:TGID_Z_EN: 0
; COMPUTE_PGM_RSRC2:TIDIG_COMP_CNT: 0
; COMPUTE_PGM_RSRC3_GFX90A:ACCUM_OFFSET: 3
; COMPUTE_PGM_RSRC3_GFX90A:TG_SPLIT: 0
	.section	.text._ZN5aiter23act_and_mul_bias_kernelIftlfTnPFfRKT2_EXadL_ZNS_11gelu_kernelIfEEfRKT_EELi16EEEvPT0_PS8_PKT1_PS2_il,"axG",@progbits,_ZN5aiter23act_and_mul_bias_kernelIftlfTnPFfRKT2_EXadL_ZNS_11gelu_kernelIfEEfRKT_EELi16EEEvPT0_PS8_PKT1_PS2_il,comdat
	.protected	_ZN5aiter23act_and_mul_bias_kernelIftlfTnPFfRKT2_EXadL_ZNS_11gelu_kernelIfEEfRKT_EELi16EEEvPT0_PS8_PKT1_PS2_il ; -- Begin function _ZN5aiter23act_and_mul_bias_kernelIftlfTnPFfRKT2_EXadL_ZNS_11gelu_kernelIfEEfRKT_EELi16EEEvPT0_PS8_PKT1_PS2_il
	.globl	_ZN5aiter23act_and_mul_bias_kernelIftlfTnPFfRKT2_EXadL_ZNS_11gelu_kernelIfEEfRKT_EELi16EEEvPT0_PS8_PKT1_PS2_il
	.p2align	8
	.type	_ZN5aiter23act_and_mul_bias_kernelIftlfTnPFfRKT2_EXadL_ZNS_11gelu_kernelIfEEfRKT_EELi16EEEvPT0_PS8_PKT1_PS2_il,@function
_ZN5aiter23act_and_mul_bias_kernelIftlfTnPFfRKT2_EXadL_ZNS_11gelu_kernelIfEEfRKT_EELi16EEEvPT0_PS8_PKT1_PS2_il: ; @_ZN5aiter23act_and_mul_bias_kernelIftlfTnPFfRKT2_EXadL_ZNS_11gelu_kernelIfEEfRKT_EELi16EEEvPT0_PS8_PKT1_PS2_il
; %bb.0:
	s_load_dwordx2 s[4:5], s[0:1], 0x0
	s_load_dwordx2 s[6:7], s[0:1], 0x10
	s_load_dword s24, s[0:1], 0x20
	s_load_dwordx2 s[12:13], s[0:1], 0x28
	s_mov_b32 s3, 0
	s_lshl_b64 s[8:9], s[2:3], 3
	s_waitcnt lgkmcnt(0)
	s_add_u32 s6, s6, s8
	s_addc_u32 s7, s7, s9
	s_ashr_i32 s25, s24, 31
	s_load_dwordx2 s[8:9], s[6:7], 0x0
	s_mul_hi_u32 s3, s24, s2
	s_mul_i32 s6, s25, s2
	s_add_i32 s7, s3, s6
	s_mul_i32 s6, s24, s2
	s_lshl_b64 s[6:7], s[6:7], 1
	s_add_u32 s4, s4, s6
	s_addc_u32 s3, s5, s7
	s_add_i32 s5, s24, 1
	s_lshr_b32 s6, s5, 31
	v_mov_b64_e32 v[2:3], s[12:13]
	s_add_i32 s5, s5, s6
	s_waitcnt lgkmcnt(0)
	v_cmp_gt_i64_e64 s[14:15], s[8:9], -1
	v_cmp_lt_i64_e32 vcc, s[8:9], v[2:3]
	s_lshl_b32 s5, s5, 1
	s_and_b64 s[12:13], s[14:15], vcc
	s_and_b32 s6, s5, -4
	s_and_b32 s5, s3, 0xffff
	s_mov_b64 s[10:11], -1
	s_and_b64 vcc, exec, s[12:13]
	v_lshlrev_b32_e32 v64, 4, v0
	s_cbranch_vccnz .LBB460_5
; %bb.1:
	v_cmp_gt_i32_e32 vcc, s24, v64
	s_and_saveexec_b64 s[10:11], vcc
	s_cbranch_execz .LBB460_4
; %bb.2:
	s_load_dword s3, s[0:1], 0x3c
	s_mov_b32 s13, 0
	s_mov_b32 s16, s13
	;; [unrolled: 1-line block ×3, first 2 shown]
	v_mov_b32_e32 v65, 0
	v_lshlrev_b32_e32 v6, 5, v0
	s_waitcnt lgkmcnt(0)
	s_and_b32 s3, s3, 0xffff
	s_mov_b32 s18, s13
	s_mov_b32 s19, s13
	v_mov_b64_e32 v[0:1], s[16:17]
	s_lshl_b32 s12, s3, 4
	s_lshl_b32 s3, s3, 5
	s_mov_b64 s[14:15], 0
	s_mov_b32 s7, 0x20000
	v_mov_b64_e32 v[2:3], s[18:19]
	v_mov_b64_e32 v[4:5], v[64:65]
.LBB460_3:                              ; =>This Inner Loop Header: Depth=1
	v_lshl_add_u64 v[4:5], s[12:13], 0, v[4:5]
	v_cmp_le_i64_e32 vcc, s[24:25], v[4:5]
	buffer_store_dwordx4 v[0:3], v6, s[4:7], 0 offen
	buffer_store_dwordx4 v[0:3], v6, s[4:7], 16 offen
	s_or_b64 s[14:15], vcc, s[14:15]
	v_add_u32_e32 v6, s3, v6
	s_andn2_b64 exec, exec, s[14:15]
	s_cbranch_execnz .LBB460_3
.LBB460_4:
	s_or_b64 exec, exec, s[10:11]
	s_mov_b64 s[10:11], 0
.LBB460_5:
	s_andn2_b64 vcc, exec, s[10:11]
	s_cbranch_vccnz .LBB460_73
; %bb.6:
	v_cmp_gt_i32_e32 vcc, s24, v64
	s_and_saveexec_b64 s[10:11], vcc
	s_cbranch_execz .LBB460_73
; %bb.7:
	s_load_dwordx2 s[14:15], s[0:1], 0x8
	s_load_dwordx2 s[12:13], s[0:1], 0x18
	s_mul_i32 s3, s24, s9
	s_mul_hi_u32 s7, s24, s8
	s_add_i32 s3, s7, s3
	s_mul_i32 s7, s25, s8
	s_add_i32 s9, s3, s7
	s_mul_i32 s8, s24, s8
	s_lshl_b32 s10, s24, 2
	s_lshl_b64 s[8:9], s[8:9], 3
	s_waitcnt lgkmcnt(0)
	s_add_u32 s12, s12, s8
	s_addc_u32 s3, s13, s9
	s_lshl_b64 s[8:9], s[24:25], 2
	s_add_u32 s16, s12, s8
	s_addc_u32 s17, s3, s9
	s_and_b32 s13, s3, 0xffff
	s_mul_i32 s3, s2, s25
	s_mul_hi_u32 s18, s2, s24
	s_add_i32 s3, s18, s3
	s_mul_i32 s2, s2, s24
	s_and_b32 s17, s17, 0xffff
	s_lshl_b64 s[2:3], s[2:3], 3
	s_add_u32 s20, s14, s2
	s_addc_u32 s2, s15, s3
	s_add_u32 s8, s20, s8
	s_addc_u32 s3, s2, s9
	s_and_b32 s21, s2, 0xffff
	s_and_b32 s9, s3, 0xffff
	s_mov_b32 s7, 0x20000
	s_add_u32 s0, s0, 48
	s_mov_b32 s11, s7
	v_mov_b32_e32 v65, 0
	s_addc_u32 s1, s1, 0
	s_mov_b64 s[2:3], 0
	s_mov_b32 s22, s10
	s_mov_b32 s23, s7
	;; [unrolled: 1-line block ×12, first 2 shown]
	v_mov_b32_e32 v66, 0x3ba10414
	s_brev_b32 s38, -2
	s_mov_b32 s39, 0x7060302
	v_mov_b32_e32 v67, 0xb9c68948
	v_mov_b32_e32 v68, 0x7f800000
                                        ; implicit-def: $vgpr0
                                        ; implicit-def: $vgpr0
	;; [unrolled: 1-line block ×4, first 2 shown]
	s_branch .LBB460_9
.LBB460_8:                              ;   in Loop: Header=BB460_9 Depth=1
	s_or_b64 exec, exec, s[14:15]
	v_bfi_b32 v5, s38, v8, v5
	v_mul_f32_e32 v4, 0.5, v4
	v_add_f32_e32 v5, 1.0, v5
	v_add_f32_e32 v2, v2, v6
	v_bfi_b32 v6, s38, v11, v10
	v_mul_f32_e32 v4, v4, v5
	v_mul_f32_e32 v5, 0.5, v9
	v_add_f32_e32 v6, 1.0, v6
	v_add_f32_e32 v3, v3, v7
	v_mul_f32_e32 v5, v5, v6
	;;#ASMSTART
	v_pk_mul_f32 v[6:7], v[4:5], v[2:3]
	;;#ASMEND
	s_load_dword s14, s[0:1], 0xc
	v_lshlrev_b32_e32 v8, 1, v64
	v_perm_b32 v5, v35, v34, s39
	v_perm_b32 v4, v33, v32, s39
	;; [unrolled: 1-line block ×3, first 2 shown]
	s_waitcnt lgkmcnt(0)
	s_and_b32 s14, s14, 0xffff
	s_lshl_b32 s26, s14, 4
	v_lshl_add_u64 v[64:65], s[26:27], 0, v[64:65]
	v_perm_b32 v2, v49, v48, s39
	v_cmp_le_i64_e32 vcc, s[24:25], v[64:65]
	buffer_store_dwordx4 v[2:5], v8, s[4:7], 0 offen
	s_or_b64 s[2:3], vcc, s[2:3]
	s_nop 0
	v_perm_b32 v3, v7, v6, s39
	v_perm_b32 v2, v1, v0, s39
	;; [unrolled: 1-line block ×4, first 2 shown]
	buffer_store_dwordx4 v[0:3], v8, s[4:7], 16 offen
	s_andn2_b64 exec, exec, s[2:3]
	s_cbranch_execz .LBB460_73
.LBB460_9:                              ; =>This Inner Loop Header: Depth=1
	v_lshlrev_b32_e32 v4, 2, v64
	s_mov_b32 s14, s10
	s_mov_b32 s15, s11
	;; [unrolled: 1-line block ×4, first 2 shown]
	buffer_load_dwordx4 v[56:59], v4, s[20:23], 0 offen
	buffer_load_dwordx4 v[40:43], v4, s[20:23], 16 offen
	buffer_load_dwordx4 v[24:27], v4, s[20:23], 32 offen
	buffer_load_dwordx4 v[8:11], v4, s[20:23], 48 offen
	buffer_load_dwordx4 v[48:51], v4, s[8:11], 0 offen
	buffer_load_dwordx4 v[32:35], v4, s[8:11], 16 offen
	buffer_load_dwordx4 v[16:19], v4, s[8:11], 32 offen
	buffer_load_dwordx4 v[0:3], v4, s[8:11], 48 offen
	buffer_load_dwordx4 v[60:63], v4, s[12:15], 0 offen
	buffer_load_dwordx4 v[44:47], v4, s[12:15], 16 offen
	buffer_load_dwordx4 v[28:31], v4, s[12:15], 32 offen
	buffer_load_dwordx4 v[12:15], v4, s[12:15], 48 offen
	buffer_load_dwordx4 v[52:55], v4, s[16:19], 0 offen
	buffer_load_dwordx4 v[36:39], v4, s[16:19], 16 offen
	buffer_load_dwordx4 v[20:23], v4, s[16:19], 32 offen
	s_nop 0
	buffer_load_dwordx4 v[4:7], v4, s[16:19], 48 offen
                                        ; implicit-def: $vgpr69
	s_waitcnt vmcnt(7)
	v_add_f32_e32 v56, v56, v60
	v_mul_f32_e32 v60, 0x3f3504f3, v56
	v_cmp_nlt_f32_e64 s[14:15], |v60|, 1.0
	s_and_saveexec_b64 s[18:19], s[14:15]
	s_xor_b64 s[14:15], exec, s[18:19]
	s_cbranch_execz .LBB460_11
; %bb.10:                               ;   in Loop: Header=BB460_9 Depth=1
	v_fma_f32 v69, |v60|, s28, v67
	v_fma_f32 v69, |v60|, v69, s29
	;; [unrolled: 1-line block ×6, first 2 shown]
	v_fma_f32 v69, |v60|, v69, |v60|
	v_mul_f32_e32 v70, 0xbfb8aa3b, v69
	v_fma_f32 v71, v69, s35, -v70
	v_rndne_f32_e32 v72, v70
	v_fmac_f32_e32 v71, 0xb2a5705f, v69
	v_sub_f32_e32 v70, v70, v72
	v_add_f32_e32 v70, v70, v71
	v_cvt_i32_f32_e32 v71, v72
	v_exp_f32_e32 v70, v70
	v_cmp_nlt_f32_e32 vcc, s36, v69
	v_ldexp_f32 v70, v70, v71
	s_nop 0
	v_cndmask_b32_e32 v70, 0, v70, vcc
	v_cmp_ngt_f32_e32 vcc, s37, v69
	s_nop 1
	v_cndmask_b32_e32 v69, v68, v70, vcc
	v_sub_f32_e32 v69, 1.0, v69
.LBB460_11:                             ;   in Loop: Header=BB460_9 Depth=1
	s_andn2_saveexec_b64 s[14:15], s[14:15]
; %bb.12:                               ;   in Loop: Header=BB460_9 Depth=1
	v_mul_f32_e32 v69, v60, v60
	v_fmamk_f32 v70, v69, 0xba1345e1, v66
	v_fmaak_f32 v70, v69, v70, 0xbcdac9b8
	v_fmaak_f32 v70, v69, v70, 0x3de703be
	v_fmaak_f32 v70, v69, v70, 0xbec09330
	v_fmaak_f32 v69, v69, v70, 0x3e0375d0
	v_fma_f32 v69, |v60|, v69, |v60|
; %bb.13:                               ;   in Loop: Header=BB460_9 Depth=1
	s_or_b64 exec, exec, s[14:15]
	v_add_f32_e32 v57, v57, v61
	v_mul_f32_e32 v61, 0x3f3504f3, v57
	v_cmp_nlt_f32_e64 s[14:15], |v61|, 1.0
                                        ; implicit-def: $vgpr70
	s_and_saveexec_b64 s[18:19], s[14:15]
	s_xor_b64 s[14:15], exec, s[18:19]
	s_cbranch_execz .LBB460_15
; %bb.14:                               ;   in Loop: Header=BB460_9 Depth=1
	v_fma_f32 v70, |v61|, s28, v67
	v_fma_f32 v70, |v61|, v70, s29
	;; [unrolled: 1-line block ×6, first 2 shown]
	v_fma_f32 v70, |v61|, v70, |v61|
	v_mul_f32_e32 v71, 0xbfb8aa3b, v70
	v_fma_f32 v72, v70, s35, -v71
	v_rndne_f32_e32 v73, v71
	v_fmac_f32_e32 v72, 0xb2a5705f, v70
	v_sub_f32_e32 v71, v71, v73
	v_add_f32_e32 v71, v71, v72
	v_cvt_i32_f32_e32 v72, v73
	v_exp_f32_e32 v71, v71
	v_cmp_nlt_f32_e32 vcc, s36, v70
	v_ldexp_f32 v71, v71, v72
	s_nop 0
	v_cndmask_b32_e32 v71, 0, v71, vcc
	v_cmp_ngt_f32_e32 vcc, s37, v70
	s_nop 1
	v_cndmask_b32_e32 v70, v68, v71, vcc
	v_sub_f32_e32 v70, 1.0, v70
.LBB460_15:                             ;   in Loop: Header=BB460_9 Depth=1
	s_andn2_saveexec_b64 s[14:15], s[14:15]
; %bb.16:                               ;   in Loop: Header=BB460_9 Depth=1
	v_mul_f32_e32 v70, v61, v61
	v_fmamk_f32 v71, v70, 0xba1345e1, v66
	v_fmaak_f32 v71, v70, v71, 0xbcdac9b8
	v_fmaak_f32 v71, v70, v71, 0x3de703be
	;; [unrolled: 1-line block ×4, first 2 shown]
	v_fma_f32 v70, |v61|, v70, |v61|
; %bb.17:                               ;   in Loop: Header=BB460_9 Depth=1
	s_or_b64 exec, exec, s[14:15]
	s_waitcnt vmcnt(3)
	v_add_f32_e32 v49, v49, v53
	v_bfi_b32 v53, s38, v70, v61
	v_add_f32_e32 v48, v48, v52
	v_mul_f32_e32 v52, 0.5, v57
	v_add_f32_e32 v53, 1.0, v53
	v_bfi_b32 v60, s38, v69, v60
	v_mul_f32_e32 v57, v52, v53
	v_add_f32_e32 v52, v58, v62
	v_mul_f32_e32 v56, 0.5, v56
	v_add_f32_e32 v60, 1.0, v60
	v_mul_f32_e32 v53, 0x3f3504f3, v52
	v_mul_f32_e32 v56, v56, v60
	v_cmp_nlt_f32_e64 s[14:15], |v53|, 1.0
	;;#ASMSTART
	v_pk_mul_f32 v[48:49], v[56:57], v[48:49]
	;;#ASMEND
                                        ; implicit-def: $vgpr56
	s_and_saveexec_b64 s[18:19], s[14:15]
	s_xor_b64 s[14:15], exec, s[18:19]
	s_cbranch_execz .LBB460_19
; %bb.18:                               ;   in Loop: Header=BB460_9 Depth=1
	v_fma_f32 v56, |v53|, s28, v67
	v_fma_f32 v56, |v53|, v56, s29
	;; [unrolled: 1-line block ×6, first 2 shown]
	v_fma_f32 v56, |v53|, v56, |v53|
	v_mul_f32_e32 v57, 0xbfb8aa3b, v56
	v_fma_f32 v58, v56, s35, -v57
	v_rndne_f32_e32 v60, v57
	v_fmac_f32_e32 v58, 0xb2a5705f, v56
	v_sub_f32_e32 v57, v57, v60
	v_add_f32_e32 v57, v57, v58
	v_cvt_i32_f32_e32 v58, v60
	v_exp_f32_e32 v57, v57
	v_cmp_nlt_f32_e32 vcc, s36, v56
	v_ldexp_f32 v57, v57, v58
	s_nop 0
	v_cndmask_b32_e32 v57, 0, v57, vcc
	v_cmp_ngt_f32_e32 vcc, s37, v56
	s_nop 1
	v_cndmask_b32_e32 v56, v68, v57, vcc
	v_sub_f32_e32 v56, 1.0, v56
.LBB460_19:                             ;   in Loop: Header=BB460_9 Depth=1
	s_andn2_saveexec_b64 s[14:15], s[14:15]
; %bb.20:                               ;   in Loop: Header=BB460_9 Depth=1
	v_mul_f32_e32 v56, v53, v53
	v_fmamk_f32 v57, v56, 0xba1345e1, v66
	v_fmaak_f32 v57, v56, v57, 0xbcdac9b8
	v_fmaak_f32 v57, v56, v57, 0x3de703be
	;; [unrolled: 1-line block ×4, first 2 shown]
	v_fma_f32 v56, |v53|, v56, |v53|
; %bb.21:                               ;   in Loop: Header=BB460_9 Depth=1
	s_or_b64 exec, exec, s[14:15]
	v_add_f32_e32 v57, v59, v63
	v_mul_f32_e32 v58, 0x3f3504f3, v57
	v_cmp_nlt_f32_e64 s[14:15], |v58|, 1.0
                                        ; implicit-def: $vgpr59
	s_and_saveexec_b64 s[18:19], s[14:15]
	s_xor_b64 s[14:15], exec, s[18:19]
	s_cbranch_execz .LBB460_23
; %bb.22:                               ;   in Loop: Header=BB460_9 Depth=1
	v_fma_f32 v59, |v58|, s28, v67
	v_fma_f32 v59, |v58|, v59, s29
	;; [unrolled: 1-line block ×6, first 2 shown]
	v_fma_f32 v59, |v58|, v59, |v58|
	v_mul_f32_e32 v60, 0xbfb8aa3b, v59
	v_fma_f32 v61, v59, s35, -v60
	v_rndne_f32_e32 v62, v60
	v_fmac_f32_e32 v61, 0xb2a5705f, v59
	v_sub_f32_e32 v60, v60, v62
	v_add_f32_e32 v60, v60, v61
	v_cvt_i32_f32_e32 v61, v62
	v_exp_f32_e32 v60, v60
	v_cmp_nlt_f32_e32 vcc, s36, v59
	v_ldexp_f32 v60, v60, v61
	s_nop 0
	v_cndmask_b32_e32 v60, 0, v60, vcc
	v_cmp_ngt_f32_e32 vcc, s37, v59
	s_nop 1
	v_cndmask_b32_e32 v59, v68, v60, vcc
	v_sub_f32_e32 v59, 1.0, v59
.LBB460_23:                             ;   in Loop: Header=BB460_9 Depth=1
	s_andn2_saveexec_b64 s[14:15], s[14:15]
; %bb.24:                               ;   in Loop: Header=BB460_9 Depth=1
	v_mul_f32_e32 v59, v58, v58
	v_fmamk_f32 v60, v59, 0xba1345e1, v66
	v_fmaak_f32 v60, v59, v60, 0xbcdac9b8
	v_fmaak_f32 v60, v59, v60, 0x3de703be
	;; [unrolled: 1-line block ×4, first 2 shown]
	v_fma_f32 v59, |v58|, v59, |v58|
; %bb.25:                               ;   in Loop: Header=BB460_9 Depth=1
	s_or_b64 exec, exec, s[14:15]
	v_bfi_b32 v53, s38, v56, v53
	v_add_f32_e32 v40, v40, v44
	v_mul_f32_e32 v52, 0.5, v52
	v_add_f32_e32 v53, 1.0, v53
	v_add_f32_e32 v50, v50, v54
	v_bfi_b32 v54, s38, v59, v58
	v_mul_f32_e32 v44, 0x3f3504f3, v40
	v_mul_f32_e32 v52, v52, v53
	v_add_f32_e32 v51, v51, v55
	v_mul_f32_e32 v53, 0.5, v57
	v_add_f32_e32 v54, 1.0, v54
	v_cmp_nlt_f32_e64 s[14:15], |v44|, 1.0
	v_mul_f32_e32 v53, v53, v54
	;;#ASMSTART
	v_pk_mul_f32 v[50:51], v[52:53], v[50:51]
	;;#ASMEND
                                        ; implicit-def: $vgpr52
	s_and_saveexec_b64 s[18:19], s[14:15]
	s_xor_b64 s[14:15], exec, s[18:19]
	s_cbranch_execz .LBB460_27
; %bb.26:                               ;   in Loop: Header=BB460_9 Depth=1
	v_fma_f32 v52, |v44|, s28, v67
	v_fma_f32 v52, |v44|, v52, s29
	;; [unrolled: 1-line block ×6, first 2 shown]
	v_fma_f32 v52, |v44|, v52, |v44|
	v_mul_f32_e32 v53, 0xbfb8aa3b, v52
	v_fma_f32 v54, v52, s35, -v53
	v_rndne_f32_e32 v55, v53
	v_fmac_f32_e32 v54, 0xb2a5705f, v52
	v_sub_f32_e32 v53, v53, v55
	v_add_f32_e32 v53, v53, v54
	v_cvt_i32_f32_e32 v54, v55
	v_exp_f32_e32 v53, v53
	v_cmp_nlt_f32_e32 vcc, s36, v52
	v_ldexp_f32 v53, v53, v54
	s_nop 0
	v_cndmask_b32_e32 v53, 0, v53, vcc
	v_cmp_ngt_f32_e32 vcc, s37, v52
	s_nop 1
	v_cndmask_b32_e32 v52, v68, v53, vcc
	v_sub_f32_e32 v52, 1.0, v52
.LBB460_27:                             ;   in Loop: Header=BB460_9 Depth=1
	s_andn2_saveexec_b64 s[14:15], s[14:15]
; %bb.28:                               ;   in Loop: Header=BB460_9 Depth=1
	v_mul_f32_e32 v52, v44, v44
	v_fmamk_f32 v53, v52, 0xba1345e1, v66
	v_fmaak_f32 v53, v52, v53, 0xbcdac9b8
	v_fmaak_f32 v53, v52, v53, 0x3de703be
	;; [unrolled: 1-line block ×4, first 2 shown]
	v_fma_f32 v52, |v44|, v52, |v44|
; %bb.29:                               ;   in Loop: Header=BB460_9 Depth=1
	s_or_b64 exec, exec, s[14:15]
	v_add_f32_e32 v41, v41, v45
	v_mul_f32_e32 v45, 0x3f3504f3, v41
	v_cmp_nlt_f32_e64 s[14:15], |v45|, 1.0
                                        ; implicit-def: $vgpr53
	s_and_saveexec_b64 s[18:19], s[14:15]
	s_xor_b64 s[14:15], exec, s[18:19]
	s_cbranch_execz .LBB460_31
; %bb.30:                               ;   in Loop: Header=BB460_9 Depth=1
	v_fma_f32 v53, |v45|, s28, v67
	v_fma_f32 v53, |v45|, v53, s29
	v_fma_f32 v53, |v45|, v53, s30
	v_fma_f32 v53, |v45|, v53, s31
	v_fma_f32 v53, |v45|, v53, s33
	v_fma_f32 v53, |v45|, v53, s34
	v_fma_f32 v53, |v45|, v53, |v45|
	v_mul_f32_e32 v54, 0xbfb8aa3b, v53
	v_fma_f32 v55, v53, s35, -v54
	v_rndne_f32_e32 v56, v54
	v_fmac_f32_e32 v55, 0xb2a5705f, v53
	v_sub_f32_e32 v54, v54, v56
	v_add_f32_e32 v54, v54, v55
	v_cvt_i32_f32_e32 v55, v56
	v_exp_f32_e32 v54, v54
	v_cmp_nlt_f32_e32 vcc, s36, v53
	v_ldexp_f32 v54, v54, v55
	s_nop 0
	v_cndmask_b32_e32 v54, 0, v54, vcc
	v_cmp_ngt_f32_e32 vcc, s37, v53
	s_nop 1
	v_cndmask_b32_e32 v53, v68, v54, vcc
	v_sub_f32_e32 v53, 1.0, v53
.LBB460_31:                             ;   in Loop: Header=BB460_9 Depth=1
	s_andn2_saveexec_b64 s[14:15], s[14:15]
; %bb.32:                               ;   in Loop: Header=BB460_9 Depth=1
	v_mul_f32_e32 v53, v45, v45
	v_fmamk_f32 v54, v53, 0xba1345e1, v66
	v_fmaak_f32 v54, v53, v54, 0xbcdac9b8
	v_fmaak_f32 v54, v53, v54, 0x3de703be
	;; [unrolled: 1-line block ×4, first 2 shown]
	v_fma_f32 v53, |v45|, v53, |v45|
; %bb.33:                               ;   in Loop: Header=BB460_9 Depth=1
	s_or_b64 exec, exec, s[14:15]
	s_waitcnt vmcnt(2)
	v_add_f32_e32 v33, v33, v37
	v_bfi_b32 v37, s38, v53, v45
	v_add_f32_e32 v32, v32, v36
	v_mul_f32_e32 v36, 0.5, v41
	v_add_f32_e32 v37, 1.0, v37
	v_bfi_b32 v44, s38, v52, v44
	v_mul_f32_e32 v41, v36, v37
	v_add_f32_e32 v36, v42, v46
	v_mul_f32_e32 v40, 0.5, v40
	v_add_f32_e32 v44, 1.0, v44
	v_mul_f32_e32 v37, 0x3f3504f3, v36
	v_mul_f32_e32 v40, v40, v44
	v_cmp_nlt_f32_e64 s[14:15], |v37|, 1.0
	;;#ASMSTART
	v_pk_mul_f32 v[32:33], v[40:41], v[32:33]
	;;#ASMEND
                                        ; implicit-def: $vgpr40
	s_and_saveexec_b64 s[18:19], s[14:15]
	s_xor_b64 s[14:15], exec, s[18:19]
	s_cbranch_execz .LBB460_35
; %bb.34:                               ;   in Loop: Header=BB460_9 Depth=1
	v_fma_f32 v40, |v37|, s28, v67
	v_fma_f32 v40, |v37|, v40, s29
	;; [unrolled: 1-line block ×6, first 2 shown]
	v_fma_f32 v40, |v37|, v40, |v37|
	v_mul_f32_e32 v41, 0xbfb8aa3b, v40
	v_fma_f32 v42, v40, s35, -v41
	v_rndne_f32_e32 v44, v41
	v_fmac_f32_e32 v42, 0xb2a5705f, v40
	v_sub_f32_e32 v41, v41, v44
	v_add_f32_e32 v41, v41, v42
	v_cvt_i32_f32_e32 v42, v44
	v_exp_f32_e32 v41, v41
	v_cmp_nlt_f32_e32 vcc, s36, v40
	v_ldexp_f32 v41, v41, v42
	s_nop 0
	v_cndmask_b32_e32 v41, 0, v41, vcc
	v_cmp_ngt_f32_e32 vcc, s37, v40
	s_nop 1
	v_cndmask_b32_e32 v40, v68, v41, vcc
	v_sub_f32_e32 v40, 1.0, v40
.LBB460_35:                             ;   in Loop: Header=BB460_9 Depth=1
	s_andn2_saveexec_b64 s[14:15], s[14:15]
; %bb.36:                               ;   in Loop: Header=BB460_9 Depth=1
	v_mul_f32_e32 v40, v37, v37
	v_fmamk_f32 v41, v40, 0xba1345e1, v66
	v_fmaak_f32 v41, v40, v41, 0xbcdac9b8
	v_fmaak_f32 v41, v40, v41, 0x3de703be
	;; [unrolled: 1-line block ×4, first 2 shown]
	v_fma_f32 v40, |v37|, v40, |v37|
; %bb.37:                               ;   in Loop: Header=BB460_9 Depth=1
	s_or_b64 exec, exec, s[14:15]
	v_add_f32_e32 v41, v43, v47
	v_mul_f32_e32 v42, 0x3f3504f3, v41
	v_cmp_nlt_f32_e64 s[14:15], |v42|, 1.0
                                        ; implicit-def: $vgpr43
	s_and_saveexec_b64 s[18:19], s[14:15]
	s_xor_b64 s[14:15], exec, s[18:19]
	s_cbranch_execz .LBB460_39
; %bb.38:                               ;   in Loop: Header=BB460_9 Depth=1
	v_fma_f32 v43, |v42|, s28, v67
	v_fma_f32 v43, |v42|, v43, s29
	;; [unrolled: 1-line block ×6, first 2 shown]
	v_fma_f32 v43, |v42|, v43, |v42|
	v_mul_f32_e32 v44, 0xbfb8aa3b, v43
	v_fma_f32 v45, v43, s35, -v44
	v_rndne_f32_e32 v46, v44
	v_fmac_f32_e32 v45, 0xb2a5705f, v43
	v_sub_f32_e32 v44, v44, v46
	v_add_f32_e32 v44, v44, v45
	v_cvt_i32_f32_e32 v45, v46
	v_exp_f32_e32 v44, v44
	v_cmp_nlt_f32_e32 vcc, s36, v43
	v_ldexp_f32 v44, v44, v45
	s_nop 0
	v_cndmask_b32_e32 v44, 0, v44, vcc
	v_cmp_ngt_f32_e32 vcc, s37, v43
	s_nop 1
	v_cndmask_b32_e32 v43, v68, v44, vcc
	v_sub_f32_e32 v43, 1.0, v43
.LBB460_39:                             ;   in Loop: Header=BB460_9 Depth=1
	s_andn2_saveexec_b64 s[14:15], s[14:15]
; %bb.40:                               ;   in Loop: Header=BB460_9 Depth=1
	v_mul_f32_e32 v43, v42, v42
	v_fmamk_f32 v44, v43, 0xba1345e1, v66
	v_fmaak_f32 v44, v43, v44, 0xbcdac9b8
	v_fmaak_f32 v44, v43, v44, 0x3de703be
	;; [unrolled: 1-line block ×4, first 2 shown]
	v_fma_f32 v43, |v42|, v43, |v42|
; %bb.41:                               ;   in Loop: Header=BB460_9 Depth=1
	s_or_b64 exec, exec, s[14:15]
	v_bfi_b32 v37, s38, v40, v37
	v_add_f32_e32 v24, v24, v28
	v_mul_f32_e32 v36, 0.5, v36
	v_add_f32_e32 v37, 1.0, v37
	v_add_f32_e32 v34, v34, v38
	v_bfi_b32 v38, s38, v43, v42
	v_mul_f32_e32 v28, 0x3f3504f3, v24
	v_mul_f32_e32 v36, v36, v37
	v_add_f32_e32 v35, v35, v39
	v_mul_f32_e32 v37, 0.5, v41
	v_add_f32_e32 v38, 1.0, v38
	v_cmp_nlt_f32_e64 s[14:15], |v28|, 1.0
	v_mul_f32_e32 v37, v37, v38
	;;#ASMSTART
	v_pk_mul_f32 v[34:35], v[36:37], v[34:35]
	;;#ASMEND
                                        ; implicit-def: $vgpr36
	s_and_saveexec_b64 s[18:19], s[14:15]
	s_xor_b64 s[14:15], exec, s[18:19]
	s_cbranch_execz .LBB460_43
; %bb.42:                               ;   in Loop: Header=BB460_9 Depth=1
	v_fma_f32 v36, |v28|, s28, v67
	v_fma_f32 v36, |v28|, v36, s29
	;; [unrolled: 1-line block ×6, first 2 shown]
	v_fma_f32 v36, |v28|, v36, |v28|
	v_mul_f32_e32 v37, 0xbfb8aa3b, v36
	v_fma_f32 v38, v36, s35, -v37
	v_rndne_f32_e32 v39, v37
	v_fmac_f32_e32 v38, 0xb2a5705f, v36
	v_sub_f32_e32 v37, v37, v39
	v_add_f32_e32 v37, v37, v38
	v_cvt_i32_f32_e32 v38, v39
	v_exp_f32_e32 v37, v37
	v_cmp_nlt_f32_e32 vcc, s36, v36
	v_ldexp_f32 v37, v37, v38
	s_nop 0
	v_cndmask_b32_e32 v37, 0, v37, vcc
	v_cmp_ngt_f32_e32 vcc, s37, v36
	s_nop 1
	v_cndmask_b32_e32 v36, v68, v37, vcc
	v_sub_f32_e32 v36, 1.0, v36
.LBB460_43:                             ;   in Loop: Header=BB460_9 Depth=1
	s_andn2_saveexec_b64 s[14:15], s[14:15]
; %bb.44:                               ;   in Loop: Header=BB460_9 Depth=1
	v_mul_f32_e32 v36, v28, v28
	v_fmamk_f32 v37, v36, 0xba1345e1, v66
	v_fmaak_f32 v37, v36, v37, 0xbcdac9b8
	v_fmaak_f32 v37, v36, v37, 0x3de703be
	v_fmaak_f32 v37, v36, v37, 0xbec09330
	v_fmaak_f32 v36, v36, v37, 0x3e0375d0
	v_fma_f32 v36, |v28|, v36, |v28|
; %bb.45:                               ;   in Loop: Header=BB460_9 Depth=1
	s_or_b64 exec, exec, s[14:15]
	v_add_f32_e32 v25, v25, v29
	v_mul_f32_e32 v29, 0x3f3504f3, v25
	v_cmp_nlt_f32_e64 s[14:15], |v29|, 1.0
                                        ; implicit-def: $vgpr37
	s_and_saveexec_b64 s[18:19], s[14:15]
	s_xor_b64 s[14:15], exec, s[18:19]
	s_cbranch_execz .LBB460_47
; %bb.46:                               ;   in Loop: Header=BB460_9 Depth=1
	v_fma_f32 v37, |v29|, s28, v67
	v_fma_f32 v37, |v29|, v37, s29
	;; [unrolled: 1-line block ×6, first 2 shown]
	v_fma_f32 v37, |v29|, v37, |v29|
	v_mul_f32_e32 v38, 0xbfb8aa3b, v37
	v_fma_f32 v39, v37, s35, -v38
	v_rndne_f32_e32 v40, v38
	v_fmac_f32_e32 v39, 0xb2a5705f, v37
	v_sub_f32_e32 v38, v38, v40
	v_add_f32_e32 v38, v38, v39
	v_cvt_i32_f32_e32 v39, v40
	v_exp_f32_e32 v38, v38
	v_cmp_nlt_f32_e32 vcc, s36, v37
	v_ldexp_f32 v38, v38, v39
	s_nop 0
	v_cndmask_b32_e32 v38, 0, v38, vcc
	v_cmp_ngt_f32_e32 vcc, s37, v37
	s_nop 1
	v_cndmask_b32_e32 v37, v68, v38, vcc
	v_sub_f32_e32 v37, 1.0, v37
.LBB460_47:                             ;   in Loop: Header=BB460_9 Depth=1
	s_andn2_saveexec_b64 s[14:15], s[14:15]
; %bb.48:                               ;   in Loop: Header=BB460_9 Depth=1
	v_mul_f32_e32 v37, v29, v29
	v_fmamk_f32 v38, v37, 0xba1345e1, v66
	v_fmaak_f32 v38, v37, v38, 0xbcdac9b8
	v_fmaak_f32 v38, v37, v38, 0x3de703be
	;; [unrolled: 1-line block ×4, first 2 shown]
	v_fma_f32 v37, |v29|, v37, |v29|
; %bb.49:                               ;   in Loop: Header=BB460_9 Depth=1
	s_or_b64 exec, exec, s[14:15]
	s_waitcnt vmcnt(1)
	v_add_f32_e32 v17, v17, v21
	v_bfi_b32 v21, s38, v37, v29
	v_add_f32_e32 v16, v16, v20
	v_mul_f32_e32 v20, 0.5, v25
	v_add_f32_e32 v21, 1.0, v21
	v_bfi_b32 v28, s38, v36, v28
	v_mul_f32_e32 v25, v20, v21
	v_add_f32_e32 v20, v26, v30
	v_mul_f32_e32 v24, 0.5, v24
	v_add_f32_e32 v28, 1.0, v28
	v_mul_f32_e32 v21, 0x3f3504f3, v20
	v_mul_f32_e32 v24, v24, v28
	v_cmp_nlt_f32_e64 s[14:15], |v21|, 1.0
	;;#ASMSTART
	v_pk_mul_f32 v[16:17], v[24:25], v[16:17]
	;;#ASMEND
                                        ; implicit-def: $vgpr24
	s_and_saveexec_b64 s[18:19], s[14:15]
	s_xor_b64 s[14:15], exec, s[18:19]
	s_cbranch_execz .LBB460_51
; %bb.50:                               ;   in Loop: Header=BB460_9 Depth=1
	v_fma_f32 v24, |v21|, s28, v67
	v_fma_f32 v24, |v21|, v24, s29
	;; [unrolled: 1-line block ×6, first 2 shown]
	v_fma_f32 v24, |v21|, v24, |v21|
	v_mul_f32_e32 v25, 0xbfb8aa3b, v24
	v_fma_f32 v26, v24, s35, -v25
	v_rndne_f32_e32 v28, v25
	v_fmac_f32_e32 v26, 0xb2a5705f, v24
	v_sub_f32_e32 v25, v25, v28
	v_add_f32_e32 v25, v25, v26
	v_cvt_i32_f32_e32 v26, v28
	v_exp_f32_e32 v25, v25
	v_cmp_nlt_f32_e32 vcc, s36, v24
	v_ldexp_f32 v25, v25, v26
	s_nop 0
	v_cndmask_b32_e32 v25, 0, v25, vcc
	v_cmp_ngt_f32_e32 vcc, s37, v24
	s_nop 1
	v_cndmask_b32_e32 v24, v68, v25, vcc
	v_sub_f32_e32 v24, 1.0, v24
.LBB460_51:                             ;   in Loop: Header=BB460_9 Depth=1
	s_andn2_saveexec_b64 s[14:15], s[14:15]
; %bb.52:                               ;   in Loop: Header=BB460_9 Depth=1
	v_mul_f32_e32 v24, v21, v21
	v_fmamk_f32 v25, v24, 0xba1345e1, v66
	v_fmaak_f32 v25, v24, v25, 0xbcdac9b8
	v_fmaak_f32 v25, v24, v25, 0x3de703be
	;; [unrolled: 1-line block ×4, first 2 shown]
	v_fma_f32 v24, |v21|, v24, |v21|
; %bb.53:                               ;   in Loop: Header=BB460_9 Depth=1
	s_or_b64 exec, exec, s[14:15]
	v_add_f32_e32 v25, v27, v31
	v_mul_f32_e32 v26, 0x3f3504f3, v25
	v_cmp_nlt_f32_e64 s[14:15], |v26|, 1.0
                                        ; implicit-def: $vgpr27
	s_and_saveexec_b64 s[18:19], s[14:15]
	s_xor_b64 s[14:15], exec, s[18:19]
	s_cbranch_execz .LBB460_55
; %bb.54:                               ;   in Loop: Header=BB460_9 Depth=1
	v_fma_f32 v27, |v26|, s28, v67
	v_fma_f32 v27, |v26|, v27, s29
	;; [unrolled: 1-line block ×6, first 2 shown]
	v_fma_f32 v27, |v26|, v27, |v26|
	v_mul_f32_e32 v28, 0xbfb8aa3b, v27
	v_fma_f32 v29, v27, s35, -v28
	v_rndne_f32_e32 v30, v28
	v_fmac_f32_e32 v29, 0xb2a5705f, v27
	v_sub_f32_e32 v28, v28, v30
	v_add_f32_e32 v28, v28, v29
	v_cvt_i32_f32_e32 v29, v30
	v_exp_f32_e32 v28, v28
	v_cmp_nlt_f32_e32 vcc, s36, v27
	v_ldexp_f32 v28, v28, v29
	s_nop 0
	v_cndmask_b32_e32 v28, 0, v28, vcc
	v_cmp_ngt_f32_e32 vcc, s37, v27
	s_nop 1
	v_cndmask_b32_e32 v27, v68, v28, vcc
	v_sub_f32_e32 v27, 1.0, v27
.LBB460_55:                             ;   in Loop: Header=BB460_9 Depth=1
	s_andn2_saveexec_b64 s[14:15], s[14:15]
; %bb.56:                               ;   in Loop: Header=BB460_9 Depth=1
	v_mul_f32_e32 v27, v26, v26
	v_fmamk_f32 v28, v27, 0xba1345e1, v66
	v_fmaak_f32 v28, v27, v28, 0xbcdac9b8
	v_fmaak_f32 v28, v27, v28, 0x3de703be
	;; [unrolled: 1-line block ×4, first 2 shown]
	v_fma_f32 v27, |v26|, v27, |v26|
; %bb.57:                               ;   in Loop: Header=BB460_9 Depth=1
	s_or_b64 exec, exec, s[14:15]
	v_bfi_b32 v21, s38, v24, v21
	v_add_f32_e32 v8, v8, v12
	v_mul_f32_e32 v20, 0.5, v20
	v_add_f32_e32 v21, 1.0, v21
	v_add_f32_e32 v18, v18, v22
	v_bfi_b32 v22, s38, v27, v26
	v_mul_f32_e32 v12, 0x3f3504f3, v8
	v_mul_f32_e32 v20, v20, v21
	v_add_f32_e32 v19, v19, v23
	v_mul_f32_e32 v21, 0.5, v25
	v_add_f32_e32 v22, 1.0, v22
	v_cmp_nlt_f32_e64 s[14:15], |v12|, 1.0
	v_mul_f32_e32 v21, v21, v22
	;;#ASMSTART
	v_pk_mul_f32 v[18:19], v[20:21], v[18:19]
	;;#ASMEND
                                        ; implicit-def: $vgpr20
	s_and_saveexec_b64 s[18:19], s[14:15]
	s_xor_b64 s[14:15], exec, s[18:19]
	s_cbranch_execz .LBB460_59
; %bb.58:                               ;   in Loop: Header=BB460_9 Depth=1
	v_fma_f32 v20, |v12|, s28, v67
	v_fma_f32 v20, |v12|, v20, s29
	;; [unrolled: 1-line block ×6, first 2 shown]
	v_fma_f32 v20, |v12|, v20, |v12|
	v_mul_f32_e32 v21, 0xbfb8aa3b, v20
	v_fma_f32 v22, v20, s35, -v21
	v_rndne_f32_e32 v23, v21
	v_fmac_f32_e32 v22, 0xb2a5705f, v20
	v_sub_f32_e32 v21, v21, v23
	v_add_f32_e32 v21, v21, v22
	v_cvt_i32_f32_e32 v22, v23
	v_exp_f32_e32 v21, v21
	v_cmp_nlt_f32_e32 vcc, s36, v20
	v_ldexp_f32 v21, v21, v22
	s_nop 0
	v_cndmask_b32_e32 v21, 0, v21, vcc
	v_cmp_ngt_f32_e32 vcc, s37, v20
	s_nop 1
	v_cndmask_b32_e32 v20, v68, v21, vcc
	v_sub_f32_e32 v20, 1.0, v20
.LBB460_59:                             ;   in Loop: Header=BB460_9 Depth=1
	s_andn2_saveexec_b64 s[14:15], s[14:15]
; %bb.60:                               ;   in Loop: Header=BB460_9 Depth=1
	v_mul_f32_e32 v20, v12, v12
	v_fmamk_f32 v21, v20, 0xba1345e1, v66
	v_fmaak_f32 v21, v20, v21, 0xbcdac9b8
	v_fmaak_f32 v21, v20, v21, 0x3de703be
	v_fmaak_f32 v21, v20, v21, 0xbec09330
	v_fmaak_f32 v20, v20, v21, 0x3e0375d0
	v_fma_f32 v20, |v12|, v20, |v12|
; %bb.61:                               ;   in Loop: Header=BB460_9 Depth=1
	s_or_b64 exec, exec, s[14:15]
	v_add_f32_e32 v9, v9, v13
	v_mul_f32_e32 v13, 0x3f3504f3, v9
	v_cmp_nlt_f32_e64 s[14:15], |v13|, 1.0
                                        ; implicit-def: $vgpr21
	s_and_saveexec_b64 s[18:19], s[14:15]
	s_xor_b64 s[14:15], exec, s[18:19]
	s_cbranch_execz .LBB460_63
; %bb.62:                               ;   in Loop: Header=BB460_9 Depth=1
	v_fma_f32 v21, |v13|, s28, v67
	v_fma_f32 v21, |v13|, v21, s29
	;; [unrolled: 1-line block ×6, first 2 shown]
	v_fma_f32 v21, |v13|, v21, |v13|
	v_mul_f32_e32 v22, 0xbfb8aa3b, v21
	v_fma_f32 v23, v21, s35, -v22
	v_rndne_f32_e32 v24, v22
	v_fmac_f32_e32 v23, 0xb2a5705f, v21
	v_sub_f32_e32 v22, v22, v24
	v_add_f32_e32 v22, v22, v23
	v_cvt_i32_f32_e32 v23, v24
	v_exp_f32_e32 v22, v22
	v_cmp_nlt_f32_e32 vcc, s36, v21
	v_ldexp_f32 v22, v22, v23
	s_nop 0
	v_cndmask_b32_e32 v22, 0, v22, vcc
	v_cmp_ngt_f32_e32 vcc, s37, v21
	s_nop 1
	v_cndmask_b32_e32 v21, v68, v22, vcc
	v_sub_f32_e32 v21, 1.0, v21
.LBB460_63:                             ;   in Loop: Header=BB460_9 Depth=1
	s_andn2_saveexec_b64 s[14:15], s[14:15]
; %bb.64:                               ;   in Loop: Header=BB460_9 Depth=1
	v_mul_f32_e32 v21, v13, v13
	v_fmamk_f32 v22, v21, 0xba1345e1, v66
	v_fmaak_f32 v22, v21, v22, 0xbcdac9b8
	v_fmaak_f32 v22, v21, v22, 0x3de703be
	;; [unrolled: 1-line block ×4, first 2 shown]
	v_fma_f32 v21, |v13|, v21, |v13|
; %bb.65:                               ;   in Loop: Header=BB460_9 Depth=1
	s_or_b64 exec, exec, s[14:15]
	s_waitcnt vmcnt(0)
	v_add_f32_e32 v1, v1, v5
	v_bfi_b32 v5, s38, v21, v13
	v_add_f32_e32 v0, v0, v4
	v_mul_f32_e32 v4, 0.5, v9
	v_add_f32_e32 v5, 1.0, v5
	v_bfi_b32 v12, s38, v20, v12
	v_mul_f32_e32 v9, v4, v5
	v_add_f32_e32 v4, v10, v14
	v_mul_f32_e32 v8, 0.5, v8
	v_add_f32_e32 v12, 1.0, v12
	v_mul_f32_e32 v5, 0x3f3504f3, v4
	v_mul_f32_e32 v8, v8, v12
	v_cmp_nlt_f32_e64 s[14:15], |v5|, 1.0
	;;#ASMSTART
	v_pk_mul_f32 v[0:1], v[8:9], v[0:1]
	;;#ASMEND
                                        ; implicit-def: $vgpr8
	s_and_saveexec_b64 s[18:19], s[14:15]
	s_xor_b64 s[14:15], exec, s[18:19]
	s_cbranch_execz .LBB460_67
; %bb.66:                               ;   in Loop: Header=BB460_9 Depth=1
	v_fma_f32 v8, |v5|, s28, v67
	v_fma_f32 v8, |v5|, v8, s29
	;; [unrolled: 1-line block ×6, first 2 shown]
	v_fma_f32 v8, |v5|, v8, |v5|
	v_mul_f32_e32 v9, 0xbfb8aa3b, v8
	v_fma_f32 v10, v8, s35, -v9
	v_rndne_f32_e32 v12, v9
	v_fmac_f32_e32 v10, 0xb2a5705f, v8
	v_sub_f32_e32 v9, v9, v12
	v_add_f32_e32 v9, v9, v10
	v_cvt_i32_f32_e32 v10, v12
	v_exp_f32_e32 v9, v9
	v_cmp_nlt_f32_e32 vcc, s36, v8
	v_ldexp_f32 v9, v9, v10
	s_nop 0
	v_cndmask_b32_e32 v9, 0, v9, vcc
	v_cmp_ngt_f32_e32 vcc, s37, v8
	s_nop 1
	v_cndmask_b32_e32 v8, v68, v9, vcc
	v_sub_f32_e32 v8, 1.0, v8
.LBB460_67:                             ;   in Loop: Header=BB460_9 Depth=1
	s_andn2_saveexec_b64 s[14:15], s[14:15]
; %bb.68:                               ;   in Loop: Header=BB460_9 Depth=1
	v_mul_f32_e32 v8, v5, v5
	v_fmamk_f32 v9, v8, 0xba1345e1, v66
	v_fmaak_f32 v9, v8, v9, 0xbcdac9b8
	v_fmaak_f32 v9, v8, v9, 0x3de703be
	;; [unrolled: 1-line block ×4, first 2 shown]
	v_fma_f32 v8, |v5|, v8, |v5|
; %bb.69:                               ;   in Loop: Header=BB460_9 Depth=1
	s_or_b64 exec, exec, s[14:15]
	v_add_f32_e32 v9, v11, v15
	v_mul_f32_e32 v10, 0x3f3504f3, v9
	v_cmp_nlt_f32_e64 s[14:15], |v10|, 1.0
                                        ; implicit-def: $vgpr11
	s_and_saveexec_b64 s[18:19], s[14:15]
	s_xor_b64 s[14:15], exec, s[18:19]
	s_cbranch_execz .LBB460_71
; %bb.70:                               ;   in Loop: Header=BB460_9 Depth=1
	v_fma_f32 v11, |v10|, s28, v67
	v_fma_f32 v11, |v10|, v11, s29
	;; [unrolled: 1-line block ×6, first 2 shown]
	v_fma_f32 v11, |v10|, v11, |v10|
	v_mul_f32_e32 v12, 0xbfb8aa3b, v11
	v_fma_f32 v13, v11, s35, -v12
	v_rndne_f32_e32 v14, v12
	v_fmac_f32_e32 v13, 0xb2a5705f, v11
	v_sub_f32_e32 v12, v12, v14
	v_add_f32_e32 v12, v12, v13
	v_cvt_i32_f32_e32 v13, v14
	v_exp_f32_e32 v12, v12
	v_cmp_nlt_f32_e32 vcc, s36, v11
	v_ldexp_f32 v12, v12, v13
	s_nop 0
	v_cndmask_b32_e32 v12, 0, v12, vcc
	v_cmp_ngt_f32_e32 vcc, s37, v11
	s_nop 1
	v_cndmask_b32_e32 v11, v68, v12, vcc
	v_sub_f32_e32 v11, 1.0, v11
.LBB460_71:                             ;   in Loop: Header=BB460_9 Depth=1
	s_andn2_saveexec_b64 s[14:15], s[14:15]
	s_cbranch_execz .LBB460_8
; %bb.72:                               ;   in Loop: Header=BB460_9 Depth=1
	v_mul_f32_e32 v11, v10, v10
	v_fmamk_f32 v12, v11, 0xba1345e1, v66
	v_fmaak_f32 v12, v11, v12, 0xbcdac9b8
	v_fmaak_f32 v12, v11, v12, 0x3de703be
	;; [unrolled: 1-line block ×4, first 2 shown]
	v_fma_f32 v11, |v10|, v11, |v10|
	s_branch .LBB460_8
.LBB460_73:
	s_endpgm
	.section	.rodata,"a",@progbits
	.p2align	6, 0x0
	.amdhsa_kernel _ZN5aiter23act_and_mul_bias_kernelIftlfTnPFfRKT2_EXadL_ZNS_11gelu_kernelIfEEfRKT_EELi16EEEvPT0_PS8_PKT1_PS2_il
		.amdhsa_group_segment_fixed_size 0
		.amdhsa_private_segment_fixed_size 0
		.amdhsa_kernarg_size 304
		.amdhsa_user_sgpr_count 2
		.amdhsa_user_sgpr_dispatch_ptr 0
		.amdhsa_user_sgpr_queue_ptr 0
		.amdhsa_user_sgpr_kernarg_segment_ptr 1
		.amdhsa_user_sgpr_dispatch_id 0
		.amdhsa_user_sgpr_kernarg_preload_length 0
		.amdhsa_user_sgpr_kernarg_preload_offset 0
		.amdhsa_user_sgpr_private_segment_size 0
		.amdhsa_uses_dynamic_stack 0
		.amdhsa_enable_private_segment 0
		.amdhsa_system_sgpr_workgroup_id_x 1
		.amdhsa_system_sgpr_workgroup_id_y 0
		.amdhsa_system_sgpr_workgroup_id_z 0
		.amdhsa_system_sgpr_workgroup_info 0
		.amdhsa_system_vgpr_workitem_id 0
		.amdhsa_next_free_vgpr 74
		.amdhsa_next_free_sgpr 40
		.amdhsa_accum_offset 76
		.amdhsa_reserve_vcc 1
		.amdhsa_float_round_mode_32 0
		.amdhsa_float_round_mode_16_64 0
		.amdhsa_float_denorm_mode_32 3
		.amdhsa_float_denorm_mode_16_64 3
		.amdhsa_dx10_clamp 1
		.amdhsa_ieee_mode 1
		.amdhsa_fp16_overflow 0
		.amdhsa_tg_split 0
		.amdhsa_exception_fp_ieee_invalid_op 0
		.amdhsa_exception_fp_denorm_src 0
		.amdhsa_exception_fp_ieee_div_zero 0
		.amdhsa_exception_fp_ieee_overflow 0
		.amdhsa_exception_fp_ieee_underflow 0
		.amdhsa_exception_fp_ieee_inexact 0
		.amdhsa_exception_int_div_zero 0
	.end_amdhsa_kernel
	.section	.text._ZN5aiter23act_and_mul_bias_kernelIftlfTnPFfRKT2_EXadL_ZNS_11gelu_kernelIfEEfRKT_EELi16EEEvPT0_PS8_PKT1_PS2_il,"axG",@progbits,_ZN5aiter23act_and_mul_bias_kernelIftlfTnPFfRKT2_EXadL_ZNS_11gelu_kernelIfEEfRKT_EELi16EEEvPT0_PS8_PKT1_PS2_il,comdat
.Lfunc_end460:
	.size	_ZN5aiter23act_and_mul_bias_kernelIftlfTnPFfRKT2_EXadL_ZNS_11gelu_kernelIfEEfRKT_EELi16EEEvPT0_PS8_PKT1_PS2_il, .Lfunc_end460-_ZN5aiter23act_and_mul_bias_kernelIftlfTnPFfRKT2_EXadL_ZNS_11gelu_kernelIfEEfRKT_EELi16EEEvPT0_PS8_PKT1_PS2_il
                                        ; -- End function
	.section	.AMDGPU.csdata,"",@progbits
; Kernel info:
; codeLenInByte = 5032
; NumSgprs: 46
; NumVgprs: 74
; NumAgprs: 0
; TotalNumVgprs: 74
; ScratchSize: 0
; MemoryBound: 0
; FloatMode: 240
; IeeeMode: 1
; LDSByteSize: 0 bytes/workgroup (compile time only)
; SGPRBlocks: 5
; VGPRBlocks: 9
; NumSGPRsForWavesPerEU: 46
; NumVGPRsForWavesPerEU: 74
; AccumOffset: 76
; Occupancy: 6
; WaveLimiterHint : 0
; COMPUTE_PGM_RSRC2:SCRATCH_EN: 0
; COMPUTE_PGM_RSRC2:USER_SGPR: 2
; COMPUTE_PGM_RSRC2:TRAP_HANDLER: 0
; COMPUTE_PGM_RSRC2:TGID_X_EN: 1
; COMPUTE_PGM_RSRC2:TGID_Y_EN: 0
; COMPUTE_PGM_RSRC2:TGID_Z_EN: 0
; COMPUTE_PGM_RSRC2:TIDIG_COMP_CNT: 0
; COMPUTE_PGM_RSRC3_GFX90A:ACCUM_OFFSET: 18
; COMPUTE_PGM_RSRC3_GFX90A:TG_SPLIT: 0
	.section	.text._ZN5aiter23act_and_mul_bias_kernelIftlfTnPFfRKT2_EXadL_ZNS_11gelu_kernelIfEEfRKT_EELi8EEEvPT0_PS8_PKT1_PS2_il,"axG",@progbits,_ZN5aiter23act_and_mul_bias_kernelIftlfTnPFfRKT2_EXadL_ZNS_11gelu_kernelIfEEfRKT_EELi8EEEvPT0_PS8_PKT1_PS2_il,comdat
	.protected	_ZN5aiter23act_and_mul_bias_kernelIftlfTnPFfRKT2_EXadL_ZNS_11gelu_kernelIfEEfRKT_EELi8EEEvPT0_PS8_PKT1_PS2_il ; -- Begin function _ZN5aiter23act_and_mul_bias_kernelIftlfTnPFfRKT2_EXadL_ZNS_11gelu_kernelIfEEfRKT_EELi8EEEvPT0_PS8_PKT1_PS2_il
	.globl	_ZN5aiter23act_and_mul_bias_kernelIftlfTnPFfRKT2_EXadL_ZNS_11gelu_kernelIfEEfRKT_EELi8EEEvPT0_PS8_PKT1_PS2_il
	.p2align	8
	.type	_ZN5aiter23act_and_mul_bias_kernelIftlfTnPFfRKT2_EXadL_ZNS_11gelu_kernelIfEEfRKT_EELi8EEEvPT0_PS8_PKT1_PS2_il,@function
_ZN5aiter23act_and_mul_bias_kernelIftlfTnPFfRKT2_EXadL_ZNS_11gelu_kernelIfEEfRKT_EELi8EEEvPT0_PS8_PKT1_PS2_il: ; @_ZN5aiter23act_and_mul_bias_kernelIftlfTnPFfRKT2_EXadL_ZNS_11gelu_kernelIfEEfRKT_EELi8EEEvPT0_PS8_PKT1_PS2_il
; %bb.0:
	s_load_dwordx2 s[4:5], s[0:1], 0x0
	s_load_dwordx2 s[6:7], s[0:1], 0x10
	s_load_dword s24, s[0:1], 0x20
	s_load_dwordx2 s[12:13], s[0:1], 0x28
	s_mov_b32 s3, 0
	s_lshl_b64 s[8:9], s[2:3], 3
	s_waitcnt lgkmcnt(0)
	s_add_u32 s6, s6, s8
	s_addc_u32 s7, s7, s9
	s_ashr_i32 s25, s24, 31
	s_load_dwordx2 s[8:9], s[6:7], 0x0
	s_mul_hi_u32 s3, s24, s2
	s_mul_i32 s6, s25, s2
	s_add_i32 s7, s3, s6
	s_mul_i32 s6, s24, s2
	s_lshl_b64 s[6:7], s[6:7], 1
	s_add_u32 s4, s4, s6
	s_addc_u32 s3, s5, s7
	s_add_i32 s5, s24, 1
	s_lshr_b32 s6, s5, 31
	v_mov_b64_e32 v[2:3], s[12:13]
	s_add_i32 s5, s5, s6
	s_waitcnt lgkmcnt(0)
	v_cmp_gt_i64_e64 s[14:15], s[8:9], -1
	v_cmp_lt_i64_e32 vcc, s[8:9], v[2:3]
	s_lshl_b32 s5, s5, 1
	s_and_b64 s[12:13], s[14:15], vcc
	s_and_b32 s6, s5, -4
	s_and_b32 s5, s3, 0xffff
	s_mov_b64 s[10:11], -1
	s_and_b64 vcc, exec, s[12:13]
	v_lshlrev_b32_e32 v32, 3, v0
	s_cbranch_vccnz .LBB461_5
; %bb.1:
	v_cmp_gt_i32_e32 vcc, s24, v32
	s_and_saveexec_b64 s[10:11], vcc
	s_cbranch_execz .LBB461_4
; %bb.2:
	s_load_dword s3, s[0:1], 0x3c
	v_mov_b32_e32 v33, 0
	s_mov_b32 s13, 0
	v_lshlrev_b32_e32 v6, 4, v0
	s_mov_b64 s[14:15], 0
	s_waitcnt lgkmcnt(0)
	s_and_b32 s3, s3, 0xffff
	s_lshl_b32 s12, s3, 3
	s_lshl_b32 s3, s3, 4
	s_mov_b32 s7, 0x20000
	v_mov_b32_e32 v0, v33
	v_mov_b32_e32 v1, v33
	;; [unrolled: 1-line block ×4, first 2 shown]
	v_mov_b64_e32 v[4:5], v[32:33]
.LBB461_3:                              ; =>This Inner Loop Header: Depth=1
	v_lshl_add_u64 v[4:5], s[12:13], 0, v[4:5]
	v_cmp_le_i64_e32 vcc, s[24:25], v[4:5]
	buffer_store_dwordx4 v[0:3], v6, s[4:7], 0 offen
	s_or_b64 s[14:15], vcc, s[14:15]
	v_add_u32_e32 v6, s3, v6
	s_andn2_b64 exec, exec, s[14:15]
	s_cbranch_execnz .LBB461_3
.LBB461_4:
	s_or_b64 exec, exec, s[10:11]
	s_mov_b64 s[10:11], 0
.LBB461_5:
	s_andn2_b64 vcc, exec, s[10:11]
	s_cbranch_vccnz .LBB461_41
; %bb.6:
	v_cmp_gt_i32_e32 vcc, s24, v32
	s_and_saveexec_b64 s[10:11], vcc
	s_cbranch_execz .LBB461_41
; %bb.7:
	s_load_dwordx2 s[14:15], s[0:1], 0x8
	s_load_dwordx2 s[12:13], s[0:1], 0x18
	s_mul_i32 s3, s24, s9
	s_mul_hi_u32 s7, s24, s8
	s_add_i32 s3, s7, s3
	s_mul_i32 s7, s25, s8
	s_add_i32 s9, s3, s7
	s_mul_i32 s8, s24, s8
	s_lshl_b32 s10, s24, 2
	s_lshl_b64 s[8:9], s[8:9], 3
	s_waitcnt lgkmcnt(0)
	s_add_u32 s12, s12, s8
	s_addc_u32 s3, s13, s9
	s_lshl_b64 s[8:9], s[24:25], 2
	s_add_u32 s16, s12, s8
	s_addc_u32 s17, s3, s9
	s_and_b32 s13, s3, 0xffff
	s_mul_i32 s3, s2, s25
	s_mul_hi_u32 s18, s2, s24
	s_add_i32 s3, s18, s3
	s_mul_i32 s2, s2, s24
	s_and_b32 s17, s17, 0xffff
	s_lshl_b64 s[2:3], s[2:3], 3
	s_add_u32 s20, s14, s2
	s_addc_u32 s2, s15, s3
	s_add_u32 s8, s20, s8
	s_addc_u32 s3, s2, s9
	s_and_b32 s21, s2, 0xffff
	s_and_b32 s9, s3, 0xffff
	s_mov_b32 s7, 0x20000
	s_add_u32 s0, s0, 48
	s_mov_b32 s11, s7
	v_mov_b32_e32 v33, 0
	s_addc_u32 s1, s1, 0
	s_mov_b64 s[2:3], 0
	s_mov_b32 s22, s10
	s_mov_b32 s23, s7
	;; [unrolled: 1-line block ×12, first 2 shown]
	v_mov_b32_e32 v34, 0x3ba10414
	s_brev_b32 s38, -2
	s_mov_b32 s39, 0x7060302
	v_mov_b32_e32 v35, 0xb9c68948
	v_mov_b32_e32 v36, 0x7f800000
                                        ; implicit-def: $vgpr0
                                        ; implicit-def: $vgpr0
                                        ; implicit-def: $vgpr0
                                        ; implicit-def: $vgpr0
	s_branch .LBB461_9
.LBB461_8:                              ;   in Loop: Header=BB461_9 Depth=1
	s_or_b64 exec, exec, s[14:15]
	v_bfi_b32 v5, s38, v8, v5
	v_mul_f32_e32 v4, 0.5, v4
	v_add_f32_e32 v5, 1.0, v5
	v_add_f32_e32 v2, v2, v6
	v_bfi_b32 v6, s38, v11, v10
	v_mul_f32_e32 v4, v4, v5
	v_add_f32_e32 v3, v3, v7
	v_mul_f32_e32 v5, 0.5, v9
	v_add_f32_e32 v6, 1.0, v6
	v_mul_f32_e32 v5, v5, v6
	;;#ASMSTART
	v_pk_mul_f32 v[2:3], v[4:5], v[2:3]
	;;#ASMEND
	s_load_dword s14, s[0:1], 0xc
	v_lshlrev_b32_e32 v4, 1, v32
	v_perm_b32 v3, v3, v2, s39
	v_perm_b32 v2, v1, v0, s39
	;; [unrolled: 1-line block ×3, first 2 shown]
	s_waitcnt lgkmcnt(0)
	s_and_b32 s14, s14, 0xffff
	s_lshl_b32 s26, s14, 3
	v_lshl_add_u64 v[32:33], s[26:27], 0, v[32:33]
	v_cmp_le_i64_e32 vcc, s[24:25], v[32:33]
	v_perm_b32 v0, v17, v16, s39
	s_or_b64 s[2:3], vcc, s[2:3]
	buffer_store_dwordx4 v[0:3], v4, s[4:7], 0 offen
	s_andn2_b64 exec, exec, s[2:3]
	s_cbranch_execz .LBB461_41
.LBB461_9:                              ; =>This Inner Loop Header: Depth=1
	v_lshlrev_b32_e32 v37, 2, v32
	s_mov_b32 s14, s10
	s_mov_b32 s15, s11
	buffer_load_dwordx4 v[24:27], v37, s[20:23], 0 offen
	buffer_load_dwordx4 v[8:11], v37, s[20:23], 16 offen
	buffer_load_dwordx4 v[16:19], v37, s[8:11], 0 offen
	buffer_load_dwordx4 v[0:3], v37, s[8:11], 16 offen
	buffer_load_dwordx4 v[28:31], v37, s[12:15], 0 offen
	buffer_load_dwordx4 v[12:15], v37, s[12:15], 16 offen
	s_mov_b32 s18, s10
	s_mov_b32 s19, s11
	buffer_load_dwordx4 v[20:23], v37, s[16:19], 0 offen
	buffer_load_dwordx4 v[4:7], v37, s[16:19], 16 offen
                                        ; implicit-def: $vgpr37
	s_waitcnt vmcnt(3)
	v_add_f32_e32 v24, v24, v28
	v_mul_f32_e32 v28, 0x3f3504f3, v24
	v_cmp_nlt_f32_e64 s[14:15], |v28|, 1.0
	s_and_saveexec_b64 s[18:19], s[14:15]
	s_xor_b64 s[14:15], exec, s[18:19]
	s_cbranch_execz .LBB461_11
; %bb.10:                               ;   in Loop: Header=BB461_9 Depth=1
	v_fma_f32 v37, |v28|, s28, v35
	v_fma_f32 v37, |v28|, v37, s29
	;; [unrolled: 1-line block ×6, first 2 shown]
	v_fma_f32 v37, |v28|, v37, |v28|
	v_mul_f32_e32 v38, 0xbfb8aa3b, v37
	v_fma_f32 v39, v37, s35, -v38
	v_rndne_f32_e32 v40, v38
	v_fmac_f32_e32 v39, 0xb2a5705f, v37
	v_sub_f32_e32 v38, v38, v40
	v_add_f32_e32 v38, v38, v39
	v_cvt_i32_f32_e32 v39, v40
	v_exp_f32_e32 v38, v38
	v_cmp_nlt_f32_e32 vcc, s36, v37
	v_ldexp_f32 v38, v38, v39
	s_nop 0
	v_cndmask_b32_e32 v38, 0, v38, vcc
	v_cmp_ngt_f32_e32 vcc, s37, v37
	s_nop 1
	v_cndmask_b32_e32 v37, v36, v38, vcc
	v_sub_f32_e32 v37, 1.0, v37
.LBB461_11:                             ;   in Loop: Header=BB461_9 Depth=1
	s_andn2_saveexec_b64 s[14:15], s[14:15]
; %bb.12:                               ;   in Loop: Header=BB461_9 Depth=1
	v_mul_f32_e32 v37, v28, v28
	v_fmamk_f32 v38, v37, 0xba1345e1, v34
	v_fmaak_f32 v38, v37, v38, 0xbcdac9b8
	v_fmaak_f32 v38, v37, v38, 0x3de703be
	v_fmaak_f32 v38, v37, v38, 0xbec09330
	v_fmaak_f32 v37, v37, v38, 0x3e0375d0
	v_fma_f32 v37, |v28|, v37, |v28|
; %bb.13:                               ;   in Loop: Header=BB461_9 Depth=1
	s_or_b64 exec, exec, s[14:15]
	v_add_f32_e32 v25, v25, v29
	v_mul_f32_e32 v29, 0x3f3504f3, v25
	v_cmp_nlt_f32_e64 s[14:15], |v29|, 1.0
                                        ; implicit-def: $vgpr38
	s_and_saveexec_b64 s[18:19], s[14:15]
	s_xor_b64 s[14:15], exec, s[18:19]
	s_cbranch_execz .LBB461_15
; %bb.14:                               ;   in Loop: Header=BB461_9 Depth=1
	v_fma_f32 v38, |v29|, s28, v35
	v_fma_f32 v38, |v29|, v38, s29
	;; [unrolled: 1-line block ×6, first 2 shown]
	v_fma_f32 v38, |v29|, v38, |v29|
	v_mul_f32_e32 v39, 0xbfb8aa3b, v38
	v_fma_f32 v40, v38, s35, -v39
	v_rndne_f32_e32 v41, v39
	v_fmac_f32_e32 v40, 0xb2a5705f, v38
	v_sub_f32_e32 v39, v39, v41
	v_add_f32_e32 v39, v39, v40
	v_cvt_i32_f32_e32 v40, v41
	v_exp_f32_e32 v39, v39
	v_cmp_nlt_f32_e32 vcc, s36, v38
	v_ldexp_f32 v39, v39, v40
	s_nop 0
	v_cndmask_b32_e32 v39, 0, v39, vcc
	v_cmp_ngt_f32_e32 vcc, s37, v38
	s_nop 1
	v_cndmask_b32_e32 v38, v36, v39, vcc
	v_sub_f32_e32 v38, 1.0, v38
.LBB461_15:                             ;   in Loop: Header=BB461_9 Depth=1
	s_andn2_saveexec_b64 s[14:15], s[14:15]
; %bb.16:                               ;   in Loop: Header=BB461_9 Depth=1
	v_mul_f32_e32 v38, v29, v29
	v_fmamk_f32 v39, v38, 0xba1345e1, v34
	v_fmaak_f32 v39, v38, v39, 0xbcdac9b8
	v_fmaak_f32 v39, v38, v39, 0x3de703be
	;; [unrolled: 1-line block ×4, first 2 shown]
	v_fma_f32 v38, |v29|, v38, |v29|
; %bb.17:                               ;   in Loop: Header=BB461_9 Depth=1
	s_or_b64 exec, exec, s[14:15]
	s_waitcnt vmcnt(1)
	v_add_f32_e32 v17, v17, v21
	v_bfi_b32 v21, s38, v38, v29
	v_add_f32_e32 v16, v16, v20
	v_mul_f32_e32 v20, 0.5, v25
	v_add_f32_e32 v21, 1.0, v21
	v_bfi_b32 v28, s38, v37, v28
	v_mul_f32_e32 v25, v20, v21
	v_add_f32_e32 v20, v26, v30
	v_mul_f32_e32 v24, 0.5, v24
	v_add_f32_e32 v28, 1.0, v28
	v_mul_f32_e32 v21, 0x3f3504f3, v20
	v_mul_f32_e32 v24, v24, v28
	v_cmp_nlt_f32_e64 s[14:15], |v21|, 1.0
	;;#ASMSTART
	v_pk_mul_f32 v[16:17], v[24:25], v[16:17]
	;;#ASMEND
                                        ; implicit-def: $vgpr24
	s_and_saveexec_b64 s[18:19], s[14:15]
	s_xor_b64 s[14:15], exec, s[18:19]
	s_cbranch_execz .LBB461_19
; %bb.18:                               ;   in Loop: Header=BB461_9 Depth=1
	v_fma_f32 v24, |v21|, s28, v35
	v_fma_f32 v24, |v21|, v24, s29
	;; [unrolled: 1-line block ×6, first 2 shown]
	v_fma_f32 v24, |v21|, v24, |v21|
	v_mul_f32_e32 v25, 0xbfb8aa3b, v24
	v_fma_f32 v26, v24, s35, -v25
	v_rndne_f32_e32 v28, v25
	v_fmac_f32_e32 v26, 0xb2a5705f, v24
	v_sub_f32_e32 v25, v25, v28
	v_add_f32_e32 v25, v25, v26
	v_cvt_i32_f32_e32 v26, v28
	v_exp_f32_e32 v25, v25
	v_cmp_nlt_f32_e32 vcc, s36, v24
	v_ldexp_f32 v25, v25, v26
	s_nop 0
	v_cndmask_b32_e32 v25, 0, v25, vcc
	v_cmp_ngt_f32_e32 vcc, s37, v24
	s_nop 1
	v_cndmask_b32_e32 v24, v36, v25, vcc
	v_sub_f32_e32 v24, 1.0, v24
.LBB461_19:                             ;   in Loop: Header=BB461_9 Depth=1
	s_andn2_saveexec_b64 s[14:15], s[14:15]
; %bb.20:                               ;   in Loop: Header=BB461_9 Depth=1
	v_mul_f32_e32 v24, v21, v21
	v_fmamk_f32 v25, v24, 0xba1345e1, v34
	v_fmaak_f32 v25, v24, v25, 0xbcdac9b8
	v_fmaak_f32 v25, v24, v25, 0x3de703be
	;; [unrolled: 1-line block ×4, first 2 shown]
	v_fma_f32 v24, |v21|, v24, |v21|
; %bb.21:                               ;   in Loop: Header=BB461_9 Depth=1
	s_or_b64 exec, exec, s[14:15]
	v_add_f32_e32 v25, v27, v31
	v_mul_f32_e32 v26, 0x3f3504f3, v25
	v_cmp_nlt_f32_e64 s[14:15], |v26|, 1.0
                                        ; implicit-def: $vgpr27
	s_and_saveexec_b64 s[18:19], s[14:15]
	s_xor_b64 s[14:15], exec, s[18:19]
	s_cbranch_execz .LBB461_23
; %bb.22:                               ;   in Loop: Header=BB461_9 Depth=1
	v_fma_f32 v27, |v26|, s28, v35
	v_fma_f32 v27, |v26|, v27, s29
	;; [unrolled: 1-line block ×6, first 2 shown]
	v_fma_f32 v27, |v26|, v27, |v26|
	v_mul_f32_e32 v28, 0xbfb8aa3b, v27
	v_fma_f32 v29, v27, s35, -v28
	v_rndne_f32_e32 v30, v28
	v_fmac_f32_e32 v29, 0xb2a5705f, v27
	v_sub_f32_e32 v28, v28, v30
	v_add_f32_e32 v28, v28, v29
	v_cvt_i32_f32_e32 v29, v30
	v_exp_f32_e32 v28, v28
	v_cmp_nlt_f32_e32 vcc, s36, v27
	v_ldexp_f32 v28, v28, v29
	s_nop 0
	v_cndmask_b32_e32 v28, 0, v28, vcc
	v_cmp_ngt_f32_e32 vcc, s37, v27
	s_nop 1
	v_cndmask_b32_e32 v27, v36, v28, vcc
	v_sub_f32_e32 v27, 1.0, v27
.LBB461_23:                             ;   in Loop: Header=BB461_9 Depth=1
	s_andn2_saveexec_b64 s[14:15], s[14:15]
; %bb.24:                               ;   in Loop: Header=BB461_9 Depth=1
	v_mul_f32_e32 v27, v26, v26
	v_fmamk_f32 v28, v27, 0xba1345e1, v34
	v_fmaak_f32 v28, v27, v28, 0xbcdac9b8
	v_fmaak_f32 v28, v27, v28, 0x3de703be
	;; [unrolled: 1-line block ×4, first 2 shown]
	v_fma_f32 v27, |v26|, v27, |v26|
; %bb.25:                               ;   in Loop: Header=BB461_9 Depth=1
	s_or_b64 exec, exec, s[14:15]
	v_bfi_b32 v21, s38, v24, v21
	v_add_f32_e32 v8, v8, v12
	v_mul_f32_e32 v20, 0.5, v20
	v_add_f32_e32 v21, 1.0, v21
	v_add_f32_e32 v18, v18, v22
	v_bfi_b32 v22, s38, v27, v26
	v_mul_f32_e32 v12, 0x3f3504f3, v8
	v_mul_f32_e32 v20, v20, v21
	v_add_f32_e32 v19, v19, v23
	v_mul_f32_e32 v21, 0.5, v25
	v_add_f32_e32 v22, 1.0, v22
	v_cmp_nlt_f32_e64 s[14:15], |v12|, 1.0
	v_mul_f32_e32 v21, v21, v22
	;;#ASMSTART
	v_pk_mul_f32 v[18:19], v[20:21], v[18:19]
	;;#ASMEND
                                        ; implicit-def: $vgpr20
	s_and_saveexec_b64 s[18:19], s[14:15]
	s_xor_b64 s[14:15], exec, s[18:19]
	s_cbranch_execz .LBB461_27
; %bb.26:                               ;   in Loop: Header=BB461_9 Depth=1
	v_fma_f32 v20, |v12|, s28, v35
	v_fma_f32 v20, |v12|, v20, s29
	;; [unrolled: 1-line block ×6, first 2 shown]
	v_fma_f32 v20, |v12|, v20, |v12|
	v_mul_f32_e32 v21, 0xbfb8aa3b, v20
	v_fma_f32 v22, v20, s35, -v21
	v_rndne_f32_e32 v23, v21
	v_fmac_f32_e32 v22, 0xb2a5705f, v20
	v_sub_f32_e32 v21, v21, v23
	v_add_f32_e32 v21, v21, v22
	v_cvt_i32_f32_e32 v22, v23
	v_exp_f32_e32 v21, v21
	v_cmp_nlt_f32_e32 vcc, s36, v20
	v_ldexp_f32 v21, v21, v22
	s_nop 0
	v_cndmask_b32_e32 v21, 0, v21, vcc
	v_cmp_ngt_f32_e32 vcc, s37, v20
	s_nop 1
	v_cndmask_b32_e32 v20, v36, v21, vcc
	v_sub_f32_e32 v20, 1.0, v20
.LBB461_27:                             ;   in Loop: Header=BB461_9 Depth=1
	s_andn2_saveexec_b64 s[14:15], s[14:15]
; %bb.28:                               ;   in Loop: Header=BB461_9 Depth=1
	v_mul_f32_e32 v20, v12, v12
	v_fmamk_f32 v21, v20, 0xba1345e1, v34
	v_fmaak_f32 v21, v20, v21, 0xbcdac9b8
	v_fmaak_f32 v21, v20, v21, 0x3de703be
	;; [unrolled: 1-line block ×4, first 2 shown]
	v_fma_f32 v20, |v12|, v20, |v12|
; %bb.29:                               ;   in Loop: Header=BB461_9 Depth=1
	s_or_b64 exec, exec, s[14:15]
	v_add_f32_e32 v9, v9, v13
	v_mul_f32_e32 v13, 0x3f3504f3, v9
	v_cmp_nlt_f32_e64 s[14:15], |v13|, 1.0
                                        ; implicit-def: $vgpr21
	s_and_saveexec_b64 s[18:19], s[14:15]
	s_xor_b64 s[14:15], exec, s[18:19]
	s_cbranch_execz .LBB461_31
; %bb.30:                               ;   in Loop: Header=BB461_9 Depth=1
	v_fma_f32 v21, |v13|, s28, v35
	v_fma_f32 v21, |v13|, v21, s29
	;; [unrolled: 1-line block ×6, first 2 shown]
	v_fma_f32 v21, |v13|, v21, |v13|
	v_mul_f32_e32 v22, 0xbfb8aa3b, v21
	v_fma_f32 v23, v21, s35, -v22
	v_rndne_f32_e32 v24, v22
	v_fmac_f32_e32 v23, 0xb2a5705f, v21
	v_sub_f32_e32 v22, v22, v24
	v_add_f32_e32 v22, v22, v23
	v_cvt_i32_f32_e32 v23, v24
	v_exp_f32_e32 v22, v22
	v_cmp_nlt_f32_e32 vcc, s36, v21
	v_ldexp_f32 v22, v22, v23
	s_nop 0
	v_cndmask_b32_e32 v22, 0, v22, vcc
	v_cmp_ngt_f32_e32 vcc, s37, v21
	s_nop 1
	v_cndmask_b32_e32 v21, v36, v22, vcc
	v_sub_f32_e32 v21, 1.0, v21
.LBB461_31:                             ;   in Loop: Header=BB461_9 Depth=1
	s_andn2_saveexec_b64 s[14:15], s[14:15]
; %bb.32:                               ;   in Loop: Header=BB461_9 Depth=1
	v_mul_f32_e32 v21, v13, v13
	v_fmamk_f32 v22, v21, 0xba1345e1, v34
	v_fmaak_f32 v22, v21, v22, 0xbcdac9b8
	v_fmaak_f32 v22, v21, v22, 0x3de703be
	;; [unrolled: 1-line block ×4, first 2 shown]
	v_fma_f32 v21, |v13|, v21, |v13|
; %bb.33:                               ;   in Loop: Header=BB461_9 Depth=1
	s_or_b64 exec, exec, s[14:15]
	s_waitcnt vmcnt(0)
	v_add_f32_e32 v1, v1, v5
	v_bfi_b32 v5, s38, v21, v13
	v_add_f32_e32 v0, v0, v4
	v_mul_f32_e32 v4, 0.5, v9
	v_add_f32_e32 v5, 1.0, v5
	v_bfi_b32 v12, s38, v20, v12
	v_mul_f32_e32 v9, v4, v5
	v_add_f32_e32 v4, v10, v14
	v_mul_f32_e32 v8, 0.5, v8
	v_add_f32_e32 v12, 1.0, v12
	v_mul_f32_e32 v5, 0x3f3504f3, v4
	v_mul_f32_e32 v8, v8, v12
	v_cmp_nlt_f32_e64 s[14:15], |v5|, 1.0
	;;#ASMSTART
	v_pk_mul_f32 v[0:1], v[8:9], v[0:1]
	;;#ASMEND
                                        ; implicit-def: $vgpr8
	s_and_saveexec_b64 s[18:19], s[14:15]
	s_xor_b64 s[14:15], exec, s[18:19]
	s_cbranch_execz .LBB461_35
; %bb.34:                               ;   in Loop: Header=BB461_9 Depth=1
	v_fma_f32 v8, |v5|, s28, v35
	v_fma_f32 v8, |v5|, v8, s29
	;; [unrolled: 1-line block ×6, first 2 shown]
	v_fma_f32 v8, |v5|, v8, |v5|
	v_mul_f32_e32 v9, 0xbfb8aa3b, v8
	v_fma_f32 v10, v8, s35, -v9
	v_rndne_f32_e32 v12, v9
	v_fmac_f32_e32 v10, 0xb2a5705f, v8
	v_sub_f32_e32 v9, v9, v12
	v_add_f32_e32 v9, v9, v10
	v_cvt_i32_f32_e32 v10, v12
	v_exp_f32_e32 v9, v9
	v_cmp_nlt_f32_e32 vcc, s36, v8
	v_ldexp_f32 v9, v9, v10
	s_nop 0
	v_cndmask_b32_e32 v9, 0, v9, vcc
	v_cmp_ngt_f32_e32 vcc, s37, v8
	s_nop 1
	v_cndmask_b32_e32 v8, v36, v9, vcc
	v_sub_f32_e32 v8, 1.0, v8
.LBB461_35:                             ;   in Loop: Header=BB461_9 Depth=1
	s_andn2_saveexec_b64 s[14:15], s[14:15]
; %bb.36:                               ;   in Loop: Header=BB461_9 Depth=1
	v_mul_f32_e32 v8, v5, v5
	v_fmamk_f32 v9, v8, 0xba1345e1, v34
	v_fmaak_f32 v9, v8, v9, 0xbcdac9b8
	v_fmaak_f32 v9, v8, v9, 0x3de703be
	;; [unrolled: 1-line block ×4, first 2 shown]
	v_fma_f32 v8, |v5|, v8, |v5|
; %bb.37:                               ;   in Loop: Header=BB461_9 Depth=1
	s_or_b64 exec, exec, s[14:15]
	v_add_f32_e32 v9, v11, v15
	v_mul_f32_e32 v10, 0x3f3504f3, v9
	v_cmp_nlt_f32_e64 s[14:15], |v10|, 1.0
                                        ; implicit-def: $vgpr11
	s_and_saveexec_b64 s[18:19], s[14:15]
	s_xor_b64 s[14:15], exec, s[18:19]
	s_cbranch_execz .LBB461_39
; %bb.38:                               ;   in Loop: Header=BB461_9 Depth=1
	v_fma_f32 v11, |v10|, s28, v35
	v_fma_f32 v11, |v10|, v11, s29
	;; [unrolled: 1-line block ×6, first 2 shown]
	v_fma_f32 v11, |v10|, v11, |v10|
	v_mul_f32_e32 v12, 0xbfb8aa3b, v11
	v_fma_f32 v13, v11, s35, -v12
	v_rndne_f32_e32 v14, v12
	v_fmac_f32_e32 v13, 0xb2a5705f, v11
	v_sub_f32_e32 v12, v12, v14
	v_add_f32_e32 v12, v12, v13
	v_cvt_i32_f32_e32 v13, v14
	v_exp_f32_e32 v12, v12
	v_cmp_nlt_f32_e32 vcc, s36, v11
	v_ldexp_f32 v12, v12, v13
	s_nop 0
	v_cndmask_b32_e32 v12, 0, v12, vcc
	v_cmp_ngt_f32_e32 vcc, s37, v11
	s_nop 1
	v_cndmask_b32_e32 v11, v36, v12, vcc
	v_sub_f32_e32 v11, 1.0, v11
.LBB461_39:                             ;   in Loop: Header=BB461_9 Depth=1
	s_andn2_saveexec_b64 s[14:15], s[14:15]
	s_cbranch_execz .LBB461_8
; %bb.40:                               ;   in Loop: Header=BB461_9 Depth=1
	v_mul_f32_e32 v11, v10, v10
	v_fmamk_f32 v12, v11, 0xba1345e1, v34
	v_fmaak_f32 v12, v11, v12, 0xbcdac9b8
	v_fmaak_f32 v12, v11, v12, 0x3de703be
	;; [unrolled: 1-line block ×4, first 2 shown]
	v_fma_f32 v11, |v10|, v11, |v10|
	s_branch .LBB461_8
.LBB461_41:
	s_endpgm
	.section	.rodata,"a",@progbits
	.p2align	6, 0x0
	.amdhsa_kernel _ZN5aiter23act_and_mul_bias_kernelIftlfTnPFfRKT2_EXadL_ZNS_11gelu_kernelIfEEfRKT_EELi8EEEvPT0_PS8_PKT1_PS2_il
		.amdhsa_group_segment_fixed_size 0
		.amdhsa_private_segment_fixed_size 0
		.amdhsa_kernarg_size 304
		.amdhsa_user_sgpr_count 2
		.amdhsa_user_sgpr_dispatch_ptr 0
		.amdhsa_user_sgpr_queue_ptr 0
		.amdhsa_user_sgpr_kernarg_segment_ptr 1
		.amdhsa_user_sgpr_dispatch_id 0
		.amdhsa_user_sgpr_kernarg_preload_length 0
		.amdhsa_user_sgpr_kernarg_preload_offset 0
		.amdhsa_user_sgpr_private_segment_size 0
		.amdhsa_uses_dynamic_stack 0
		.amdhsa_enable_private_segment 0
		.amdhsa_system_sgpr_workgroup_id_x 1
		.amdhsa_system_sgpr_workgroup_id_y 0
		.amdhsa_system_sgpr_workgroup_id_z 0
		.amdhsa_system_sgpr_workgroup_info 0
		.amdhsa_system_vgpr_workitem_id 0
		.amdhsa_next_free_vgpr 42
		.amdhsa_next_free_sgpr 40
		.amdhsa_accum_offset 44
		.amdhsa_reserve_vcc 1
		.amdhsa_float_round_mode_32 0
		.amdhsa_float_round_mode_16_64 0
		.amdhsa_float_denorm_mode_32 3
		.amdhsa_float_denorm_mode_16_64 3
		.amdhsa_dx10_clamp 1
		.amdhsa_ieee_mode 1
		.amdhsa_fp16_overflow 0
		.amdhsa_tg_split 0
		.amdhsa_exception_fp_ieee_invalid_op 0
		.amdhsa_exception_fp_denorm_src 0
		.amdhsa_exception_fp_ieee_div_zero 0
		.amdhsa_exception_fp_ieee_overflow 0
		.amdhsa_exception_fp_ieee_underflow 0
		.amdhsa_exception_fp_ieee_inexact 0
		.amdhsa_exception_int_div_zero 0
	.end_amdhsa_kernel
	.section	.text._ZN5aiter23act_and_mul_bias_kernelIftlfTnPFfRKT2_EXadL_ZNS_11gelu_kernelIfEEfRKT_EELi8EEEvPT0_PS8_PKT1_PS2_il,"axG",@progbits,_ZN5aiter23act_and_mul_bias_kernelIftlfTnPFfRKT2_EXadL_ZNS_11gelu_kernelIfEEfRKT_EELi8EEEvPT0_PS8_PKT1_PS2_il,comdat
.Lfunc_end461:
	.size	_ZN5aiter23act_and_mul_bias_kernelIftlfTnPFfRKT2_EXadL_ZNS_11gelu_kernelIfEEfRKT_EELi8EEEvPT0_PS8_PKT1_PS2_il, .Lfunc_end461-_ZN5aiter23act_and_mul_bias_kernelIftlfTnPFfRKT2_EXadL_ZNS_11gelu_kernelIfEEfRKT_EELi8EEEvPT0_PS8_PKT1_PS2_il
                                        ; -- End function
	.section	.AMDGPU.csdata,"",@progbits
; Kernel info:
; codeLenInByte = 2848
; NumSgprs: 46
; NumVgprs: 42
; NumAgprs: 0
; TotalNumVgprs: 42
; ScratchSize: 0
; MemoryBound: 0
; FloatMode: 240
; IeeeMode: 1
; LDSByteSize: 0 bytes/workgroup (compile time only)
; SGPRBlocks: 5
; VGPRBlocks: 5
; NumSGPRsForWavesPerEU: 46
; NumVGPRsForWavesPerEU: 42
; AccumOffset: 44
; Occupancy: 8
; WaveLimiterHint : 0
; COMPUTE_PGM_RSRC2:SCRATCH_EN: 0
; COMPUTE_PGM_RSRC2:USER_SGPR: 2
; COMPUTE_PGM_RSRC2:TRAP_HANDLER: 0
; COMPUTE_PGM_RSRC2:TGID_X_EN: 1
; COMPUTE_PGM_RSRC2:TGID_Y_EN: 0
; COMPUTE_PGM_RSRC2:TGID_Z_EN: 0
; COMPUTE_PGM_RSRC2:TIDIG_COMP_CNT: 0
; COMPUTE_PGM_RSRC3_GFX90A:ACCUM_OFFSET: 10
; COMPUTE_PGM_RSRC3_GFX90A:TG_SPLIT: 0
	.section	.text._ZN5aiter23act_and_mul_bias_kernelIftlfTnPFfRKT2_EXadL_ZNS_11gelu_kernelIfEEfRKT_EELi4EEEvPT0_PS8_PKT1_PS2_il,"axG",@progbits,_ZN5aiter23act_and_mul_bias_kernelIftlfTnPFfRKT2_EXadL_ZNS_11gelu_kernelIfEEfRKT_EELi4EEEvPT0_PS8_PKT1_PS2_il,comdat
	.protected	_ZN5aiter23act_and_mul_bias_kernelIftlfTnPFfRKT2_EXadL_ZNS_11gelu_kernelIfEEfRKT_EELi4EEEvPT0_PS8_PKT1_PS2_il ; -- Begin function _ZN5aiter23act_and_mul_bias_kernelIftlfTnPFfRKT2_EXadL_ZNS_11gelu_kernelIfEEfRKT_EELi4EEEvPT0_PS8_PKT1_PS2_il
	.globl	_ZN5aiter23act_and_mul_bias_kernelIftlfTnPFfRKT2_EXadL_ZNS_11gelu_kernelIfEEfRKT_EELi4EEEvPT0_PS8_PKT1_PS2_il
	.p2align	8
	.type	_ZN5aiter23act_and_mul_bias_kernelIftlfTnPFfRKT2_EXadL_ZNS_11gelu_kernelIfEEfRKT_EELi4EEEvPT0_PS8_PKT1_PS2_il,@function
_ZN5aiter23act_and_mul_bias_kernelIftlfTnPFfRKT2_EXadL_ZNS_11gelu_kernelIfEEfRKT_EELi4EEEvPT0_PS8_PKT1_PS2_il: ; @_ZN5aiter23act_and_mul_bias_kernelIftlfTnPFfRKT2_EXadL_ZNS_11gelu_kernelIfEEfRKT_EELi4EEEvPT0_PS8_PKT1_PS2_il
; %bb.0:
	s_load_dwordx2 s[4:5], s[0:1], 0x0
	s_load_dwordx2 s[6:7], s[0:1], 0x10
	s_load_dword s24, s[0:1], 0x20
	s_load_dwordx2 s[12:13], s[0:1], 0x28
	s_mov_b32 s3, 0
	s_lshl_b64 s[8:9], s[2:3], 3
	s_waitcnt lgkmcnt(0)
	s_add_u32 s6, s6, s8
	s_addc_u32 s7, s7, s9
	s_ashr_i32 s25, s24, 31
	s_load_dwordx2 s[8:9], s[6:7], 0x0
	s_mul_hi_u32 s3, s24, s2
	s_mul_i32 s6, s25, s2
	s_add_i32 s7, s3, s6
	s_mul_i32 s6, s24, s2
	s_lshl_b64 s[6:7], s[6:7], 1
	s_add_u32 s4, s4, s6
	s_addc_u32 s3, s5, s7
	s_add_i32 s5, s24, 1
	s_lshr_b32 s6, s5, 31
	v_mov_b64_e32 v[2:3], s[12:13]
	s_add_i32 s5, s5, s6
	s_waitcnt lgkmcnt(0)
	v_cmp_gt_i64_e64 s[14:15], s[8:9], -1
	v_cmp_lt_i64_e32 vcc, s[8:9], v[2:3]
	s_lshl_b32 s5, s5, 1
	s_and_b64 s[12:13], s[14:15], vcc
	s_and_b32 s6, s5, -4
	s_and_b32 s5, s3, 0xffff
	s_mov_b64 s[10:11], -1
	s_and_b64 vcc, exec, s[12:13]
	v_lshlrev_b32_e32 v16, 2, v0
	s_cbranch_vccnz .LBB462_5
; %bb.1:
	v_cmp_gt_i32_e32 vcc, s24, v16
	s_and_saveexec_b64 s[10:11], vcc
	s_cbranch_execz .LBB462_4
; %bb.2:
	s_load_dword s3, s[0:1], 0x3c
	v_mov_b32_e32 v17, 0
	s_mov_b32 s13, 0
	v_lshlrev_b32_e32 v4, 3, v0
	s_mov_b64 s[14:15], 0
	s_waitcnt lgkmcnt(0)
	s_and_b32 s3, s3, 0xffff
	s_lshl_b32 s12, s3, 2
	s_lshl_b32 s3, s3, 3
	s_mov_b32 s7, 0x20000
	v_mov_b32_e32 v0, v17
	v_mov_b32_e32 v1, v17
	v_mov_b64_e32 v[2:3], v[16:17]
.LBB462_3:                              ; =>This Inner Loop Header: Depth=1
	v_lshl_add_u64 v[2:3], s[12:13], 0, v[2:3]
	v_cmp_le_i64_e32 vcc, s[24:25], v[2:3]
	buffer_store_dwordx2 v[0:1], v4, s[4:7], 0 offen
	s_or_b64 s[14:15], vcc, s[14:15]
	v_add_u32_e32 v4, s3, v4
	s_andn2_b64 exec, exec, s[14:15]
	s_cbranch_execnz .LBB462_3
.LBB462_4:
	s_or_b64 exec, exec, s[10:11]
	s_mov_b64 s[10:11], 0
.LBB462_5:
	s_andn2_b64 vcc, exec, s[10:11]
	s_cbranch_vccnz .LBB462_25
; %bb.6:
	v_cmp_gt_i32_e32 vcc, s24, v16
	s_and_saveexec_b64 s[10:11], vcc
	s_cbranch_execz .LBB462_25
; %bb.7:
	s_load_dwordx2 s[14:15], s[0:1], 0x8
	s_load_dwordx2 s[12:13], s[0:1], 0x18
	s_mul_i32 s3, s24, s9
	s_mul_hi_u32 s7, s24, s8
	s_add_i32 s3, s7, s3
	s_mul_i32 s7, s25, s8
	s_add_i32 s9, s3, s7
	s_mul_i32 s8, s24, s8
	s_lshl_b32 s10, s24, 2
	s_lshl_b64 s[8:9], s[8:9], 3
	s_waitcnt lgkmcnt(0)
	s_add_u32 s12, s12, s8
	s_addc_u32 s3, s13, s9
	s_lshl_b64 s[8:9], s[24:25], 2
	s_add_u32 s16, s12, s8
	s_addc_u32 s17, s3, s9
	s_and_b32 s13, s3, 0xffff
	s_mul_i32 s3, s2, s25
	s_mul_hi_u32 s18, s2, s24
	s_add_i32 s3, s18, s3
	s_mul_i32 s2, s2, s24
	s_and_b32 s17, s17, 0xffff
	s_lshl_b64 s[2:3], s[2:3], 3
	s_add_u32 s20, s14, s2
	s_addc_u32 s2, s15, s3
	s_add_u32 s8, s20, s8
	s_addc_u32 s3, s2, s9
	s_and_b32 s21, s2, 0xffff
	s_and_b32 s9, s3, 0xffff
	s_mov_b32 s7, 0x20000
	s_add_u32 s0, s0, 48
	s_mov_b32 s11, s7
	v_mov_b32_e32 v17, 0
	s_addc_u32 s1, s1, 0
	s_mov_b64 s[2:3], 0
	s_mov_b32 s22, s10
	s_mov_b32 s23, s7
	;; [unrolled: 1-line block ×12, first 2 shown]
	v_mov_b32_e32 v18, 0x3ba10414
	s_brev_b32 s38, -2
	s_mov_b32 s39, 0x7060302
	v_mov_b32_e32 v19, 0xb9c68948
	v_mov_b32_e32 v20, 0x7f800000
                                        ; implicit-def: $vgpr0
                                        ; implicit-def: $vgpr0
	;; [unrolled: 1-line block ×4, first 2 shown]
	s_branch .LBB462_9
.LBB462_8:                              ;   in Loop: Header=BB462_9 Depth=1
	s_or_b64 exec, exec, s[14:15]
	v_bfi_b32 v5, s38, v8, v5
	v_mul_f32_e32 v4, 0.5, v4
	v_add_f32_e32 v5, 1.0, v5
	v_add_f32_e32 v2, v2, v6
	v_bfi_b32 v6, s38, v11, v10
	v_mul_f32_e32 v4, v4, v5
	v_add_f32_e32 v3, v3, v7
	v_mul_f32_e32 v5, 0.5, v9
	v_add_f32_e32 v6, 1.0, v6
	v_mul_f32_e32 v5, v5, v6
	;;#ASMSTART
	v_pk_mul_f32 v[2:3], v[4:5], v[2:3]
	;;#ASMEND
	s_load_dword s14, s[0:1], 0xc
	v_perm_b32 v3, v3, v2, s39
	v_perm_b32 v2, v1, v0, s39
	v_lshlrev_b32_e32 v0, 1, v16
	buffer_store_dwordx2 v[2:3], v0, s[4:7], 0 offen
	s_waitcnt lgkmcnt(0)
	s_and_b32 s14, s14, 0xffff
	s_lshl_b32 s26, s14, 2
	v_lshl_add_u64 v[16:17], s[26:27], 0, v[16:17]
	v_cmp_le_i64_e32 vcc, s[24:25], v[16:17]
	s_or_b64 s[2:3], vcc, s[2:3]
	s_andn2_b64 exec, exec, s[2:3]
	s_cbranch_execz .LBB462_25
.LBB462_9:                              ; =>This Inner Loop Header: Depth=1
	v_lshlrev_b32_e32 v4, 2, v16
	s_mov_b32 s14, s10
	s_mov_b32 s15, s11
	buffer_load_dwordx4 v[8:11], v4, s[20:23], 0 offen
	buffer_load_dwordx4 v[0:3], v4, s[8:11], 0 offen
	;; [unrolled: 1-line block ×3, first 2 shown]
	s_mov_b32 s18, s10
	s_mov_b32 s19, s11
	buffer_load_dwordx4 v[4:7], v4, s[16:19], 0 offen
                                        ; implicit-def: $vgpr21
	s_waitcnt vmcnt(1)
	v_add_f32_e32 v8, v8, v12
	v_mul_f32_e32 v12, 0x3f3504f3, v8
	v_cmp_nlt_f32_e64 s[14:15], |v12|, 1.0
	s_and_saveexec_b64 s[18:19], s[14:15]
	s_xor_b64 s[14:15], exec, s[18:19]
	s_cbranch_execz .LBB462_11
; %bb.10:                               ;   in Loop: Header=BB462_9 Depth=1
	v_fma_f32 v21, |v12|, s28, v19
	v_fma_f32 v21, |v12|, v21, s29
	v_fma_f32 v21, |v12|, v21, s30
	v_fma_f32 v21, |v12|, v21, s31
	v_fma_f32 v21, |v12|, v21, s33
	v_fma_f32 v21, |v12|, v21, s34
	v_fma_f32 v21, |v12|, v21, |v12|
	v_mul_f32_e32 v22, 0xbfb8aa3b, v21
	v_fma_f32 v23, v21, s35, -v22
	v_rndne_f32_e32 v24, v22
	v_fmac_f32_e32 v23, 0xb2a5705f, v21
	v_sub_f32_e32 v22, v22, v24
	v_add_f32_e32 v22, v22, v23
	v_cvt_i32_f32_e32 v23, v24
	v_exp_f32_e32 v22, v22
	v_cmp_nlt_f32_e32 vcc, s36, v21
	v_ldexp_f32 v22, v22, v23
	s_nop 0
	v_cndmask_b32_e32 v22, 0, v22, vcc
	v_cmp_ngt_f32_e32 vcc, s37, v21
	s_nop 1
	v_cndmask_b32_e32 v21, v20, v22, vcc
	v_sub_f32_e32 v21, 1.0, v21
.LBB462_11:                             ;   in Loop: Header=BB462_9 Depth=1
	s_andn2_saveexec_b64 s[14:15], s[14:15]
; %bb.12:                               ;   in Loop: Header=BB462_9 Depth=1
	v_mul_f32_e32 v21, v12, v12
	v_fmamk_f32 v22, v21, 0xba1345e1, v18
	v_fmaak_f32 v22, v21, v22, 0xbcdac9b8
	v_fmaak_f32 v22, v21, v22, 0x3de703be
	;; [unrolled: 1-line block ×4, first 2 shown]
	v_fma_f32 v21, |v12|, v21, |v12|
; %bb.13:                               ;   in Loop: Header=BB462_9 Depth=1
	s_or_b64 exec, exec, s[14:15]
	v_add_f32_e32 v9, v9, v13
	v_mul_f32_e32 v13, 0x3f3504f3, v9
	v_cmp_nlt_f32_e64 s[14:15], |v13|, 1.0
                                        ; implicit-def: $vgpr22
	s_and_saveexec_b64 s[18:19], s[14:15]
	s_xor_b64 s[14:15], exec, s[18:19]
	s_cbranch_execz .LBB462_15
; %bb.14:                               ;   in Loop: Header=BB462_9 Depth=1
	v_fma_f32 v22, |v13|, s28, v19
	v_fma_f32 v22, |v13|, v22, s29
	;; [unrolled: 1-line block ×6, first 2 shown]
	v_fma_f32 v22, |v13|, v22, |v13|
	v_mul_f32_e32 v23, 0xbfb8aa3b, v22
	v_fma_f32 v24, v22, s35, -v23
	v_rndne_f32_e32 v25, v23
	v_fmac_f32_e32 v24, 0xb2a5705f, v22
	v_sub_f32_e32 v23, v23, v25
	v_add_f32_e32 v23, v23, v24
	v_cvt_i32_f32_e32 v24, v25
	v_exp_f32_e32 v23, v23
	v_cmp_nlt_f32_e32 vcc, s36, v22
	v_ldexp_f32 v23, v23, v24
	s_nop 0
	v_cndmask_b32_e32 v23, 0, v23, vcc
	v_cmp_ngt_f32_e32 vcc, s37, v22
	s_nop 1
	v_cndmask_b32_e32 v22, v20, v23, vcc
	v_sub_f32_e32 v22, 1.0, v22
.LBB462_15:                             ;   in Loop: Header=BB462_9 Depth=1
	s_andn2_saveexec_b64 s[14:15], s[14:15]
; %bb.16:                               ;   in Loop: Header=BB462_9 Depth=1
	v_mul_f32_e32 v22, v13, v13
	v_fmamk_f32 v23, v22, 0xba1345e1, v18
	v_fmaak_f32 v23, v22, v23, 0xbcdac9b8
	v_fmaak_f32 v23, v22, v23, 0x3de703be
	;; [unrolled: 1-line block ×4, first 2 shown]
	v_fma_f32 v22, |v13|, v22, |v13|
; %bb.17:                               ;   in Loop: Header=BB462_9 Depth=1
	s_or_b64 exec, exec, s[14:15]
	s_waitcnt vmcnt(0)
	v_add_f32_e32 v1, v1, v5
	v_bfi_b32 v5, s38, v22, v13
	v_add_f32_e32 v0, v0, v4
	v_mul_f32_e32 v4, 0.5, v9
	v_add_f32_e32 v5, 1.0, v5
	v_bfi_b32 v12, s38, v21, v12
	v_mul_f32_e32 v9, v4, v5
	v_add_f32_e32 v4, v10, v14
	v_mul_f32_e32 v8, 0.5, v8
	v_add_f32_e32 v12, 1.0, v12
	v_mul_f32_e32 v5, 0x3f3504f3, v4
	v_mul_f32_e32 v8, v8, v12
	v_cmp_nlt_f32_e64 s[14:15], |v5|, 1.0
	;;#ASMSTART
	v_pk_mul_f32 v[0:1], v[8:9], v[0:1]
	;;#ASMEND
                                        ; implicit-def: $vgpr8
	s_and_saveexec_b64 s[18:19], s[14:15]
	s_xor_b64 s[14:15], exec, s[18:19]
	s_cbranch_execz .LBB462_19
; %bb.18:                               ;   in Loop: Header=BB462_9 Depth=1
	v_fma_f32 v8, |v5|, s28, v19
	v_fma_f32 v8, |v5|, v8, s29
	;; [unrolled: 1-line block ×6, first 2 shown]
	v_fma_f32 v8, |v5|, v8, |v5|
	v_mul_f32_e32 v9, 0xbfb8aa3b, v8
	v_fma_f32 v10, v8, s35, -v9
	v_rndne_f32_e32 v12, v9
	v_fmac_f32_e32 v10, 0xb2a5705f, v8
	v_sub_f32_e32 v9, v9, v12
	v_add_f32_e32 v9, v9, v10
	v_cvt_i32_f32_e32 v10, v12
	v_exp_f32_e32 v9, v9
	v_cmp_nlt_f32_e32 vcc, s36, v8
	v_ldexp_f32 v9, v9, v10
	s_nop 0
	v_cndmask_b32_e32 v9, 0, v9, vcc
	v_cmp_ngt_f32_e32 vcc, s37, v8
	s_nop 1
	v_cndmask_b32_e32 v8, v20, v9, vcc
	v_sub_f32_e32 v8, 1.0, v8
.LBB462_19:                             ;   in Loop: Header=BB462_9 Depth=1
	s_andn2_saveexec_b64 s[14:15], s[14:15]
; %bb.20:                               ;   in Loop: Header=BB462_9 Depth=1
	v_mul_f32_e32 v8, v5, v5
	v_fmamk_f32 v9, v8, 0xba1345e1, v18
	v_fmaak_f32 v9, v8, v9, 0xbcdac9b8
	v_fmaak_f32 v9, v8, v9, 0x3de703be
	;; [unrolled: 1-line block ×4, first 2 shown]
	v_fma_f32 v8, |v5|, v8, |v5|
; %bb.21:                               ;   in Loop: Header=BB462_9 Depth=1
	s_or_b64 exec, exec, s[14:15]
	v_add_f32_e32 v9, v11, v15
	v_mul_f32_e32 v10, 0x3f3504f3, v9
	v_cmp_nlt_f32_e64 s[14:15], |v10|, 1.0
                                        ; implicit-def: $vgpr11
	s_and_saveexec_b64 s[18:19], s[14:15]
	s_xor_b64 s[14:15], exec, s[18:19]
	s_cbranch_execz .LBB462_23
; %bb.22:                               ;   in Loop: Header=BB462_9 Depth=1
	v_fma_f32 v11, |v10|, s28, v19
	v_fma_f32 v11, |v10|, v11, s29
	;; [unrolled: 1-line block ×6, first 2 shown]
	v_fma_f32 v11, |v10|, v11, |v10|
	v_mul_f32_e32 v12, 0xbfb8aa3b, v11
	v_fma_f32 v13, v11, s35, -v12
	v_rndne_f32_e32 v14, v12
	v_fmac_f32_e32 v13, 0xb2a5705f, v11
	v_sub_f32_e32 v12, v12, v14
	v_add_f32_e32 v12, v12, v13
	v_cvt_i32_f32_e32 v13, v14
	v_exp_f32_e32 v12, v12
	v_cmp_nlt_f32_e32 vcc, s36, v11
	v_ldexp_f32 v12, v12, v13
	s_nop 0
	v_cndmask_b32_e32 v12, 0, v12, vcc
	v_cmp_ngt_f32_e32 vcc, s37, v11
	s_nop 1
	v_cndmask_b32_e32 v11, v20, v12, vcc
	v_sub_f32_e32 v11, 1.0, v11
.LBB462_23:                             ;   in Loop: Header=BB462_9 Depth=1
	s_andn2_saveexec_b64 s[14:15], s[14:15]
	s_cbranch_execz .LBB462_8
; %bb.24:                               ;   in Loop: Header=BB462_9 Depth=1
	v_mul_f32_e32 v11, v10, v10
	v_fmamk_f32 v12, v11, 0xba1345e1, v18
	v_fmaak_f32 v12, v11, v12, 0xbcdac9b8
	v_fmaak_f32 v12, v11, v12, 0x3de703be
	;; [unrolled: 1-line block ×4, first 2 shown]
	v_fma_f32 v11, |v10|, v11, |v10|
	s_branch .LBB462_8
.LBB462_25:
	s_endpgm
	.section	.rodata,"a",@progbits
	.p2align	6, 0x0
	.amdhsa_kernel _ZN5aiter23act_and_mul_bias_kernelIftlfTnPFfRKT2_EXadL_ZNS_11gelu_kernelIfEEfRKT_EELi4EEEvPT0_PS8_PKT1_PS2_il
		.amdhsa_group_segment_fixed_size 0
		.amdhsa_private_segment_fixed_size 0
		.amdhsa_kernarg_size 304
		.amdhsa_user_sgpr_count 2
		.amdhsa_user_sgpr_dispatch_ptr 0
		.amdhsa_user_sgpr_queue_ptr 0
		.amdhsa_user_sgpr_kernarg_segment_ptr 1
		.amdhsa_user_sgpr_dispatch_id 0
		.amdhsa_user_sgpr_kernarg_preload_length 0
		.amdhsa_user_sgpr_kernarg_preload_offset 0
		.amdhsa_user_sgpr_private_segment_size 0
		.amdhsa_uses_dynamic_stack 0
		.amdhsa_enable_private_segment 0
		.amdhsa_system_sgpr_workgroup_id_x 1
		.amdhsa_system_sgpr_workgroup_id_y 0
		.amdhsa_system_sgpr_workgroup_id_z 0
		.amdhsa_system_sgpr_workgroup_info 0
		.amdhsa_system_vgpr_workitem_id 0
		.amdhsa_next_free_vgpr 26
		.amdhsa_next_free_sgpr 40
		.amdhsa_accum_offset 28
		.amdhsa_reserve_vcc 1
		.amdhsa_float_round_mode_32 0
		.amdhsa_float_round_mode_16_64 0
		.amdhsa_float_denorm_mode_32 3
		.amdhsa_float_denorm_mode_16_64 3
		.amdhsa_dx10_clamp 1
		.amdhsa_ieee_mode 1
		.amdhsa_fp16_overflow 0
		.amdhsa_tg_split 0
		.amdhsa_exception_fp_ieee_invalid_op 0
		.amdhsa_exception_fp_denorm_src 0
		.amdhsa_exception_fp_ieee_div_zero 0
		.amdhsa_exception_fp_ieee_overflow 0
		.amdhsa_exception_fp_ieee_underflow 0
		.amdhsa_exception_fp_ieee_inexact 0
		.amdhsa_exception_int_div_zero 0
	.end_amdhsa_kernel
	.section	.text._ZN5aiter23act_and_mul_bias_kernelIftlfTnPFfRKT2_EXadL_ZNS_11gelu_kernelIfEEfRKT_EELi4EEEvPT0_PS8_PKT1_PS2_il,"axG",@progbits,_ZN5aiter23act_and_mul_bias_kernelIftlfTnPFfRKT2_EXadL_ZNS_11gelu_kernelIfEEfRKT_EELi4EEEvPT0_PS8_PKT1_PS2_il,comdat
.Lfunc_end462:
	.size	_ZN5aiter23act_and_mul_bias_kernelIftlfTnPFfRKT2_EXadL_ZNS_11gelu_kernelIfEEfRKT_EELi4EEEvPT0_PS8_PKT1_PS2_il, .Lfunc_end462-_ZN5aiter23act_and_mul_bias_kernelIftlfTnPFfRKT2_EXadL_ZNS_11gelu_kernelIfEEfRKT_EELi4EEEvPT0_PS8_PKT1_PS2_il
                                        ; -- End function
	.section	.AMDGPU.csdata,"",@progbits
; Kernel info:
; codeLenInByte = 1764
; NumSgprs: 46
; NumVgprs: 26
; NumAgprs: 0
; TotalNumVgprs: 26
; ScratchSize: 0
; MemoryBound: 0
; FloatMode: 240
; IeeeMode: 1
; LDSByteSize: 0 bytes/workgroup (compile time only)
; SGPRBlocks: 5
; VGPRBlocks: 3
; NumSGPRsForWavesPerEU: 46
; NumVGPRsForWavesPerEU: 26
; AccumOffset: 28
; Occupancy: 8
; WaveLimiterHint : 0
; COMPUTE_PGM_RSRC2:SCRATCH_EN: 0
; COMPUTE_PGM_RSRC2:USER_SGPR: 2
; COMPUTE_PGM_RSRC2:TRAP_HANDLER: 0
; COMPUTE_PGM_RSRC2:TGID_X_EN: 1
; COMPUTE_PGM_RSRC2:TGID_Y_EN: 0
; COMPUTE_PGM_RSRC2:TGID_Z_EN: 0
; COMPUTE_PGM_RSRC2:TIDIG_COMP_CNT: 0
; COMPUTE_PGM_RSRC3_GFX90A:ACCUM_OFFSET: 6
; COMPUTE_PGM_RSRC3_GFX90A:TG_SPLIT: 0
	.section	.text._ZN5aiter23act_and_mul_bias_kernelIftlfTnPFfRKT2_EXadL_ZNS_11gelu_kernelIfEEfRKT_EELi2EEEvPT0_PS8_PKT1_PS2_il,"axG",@progbits,_ZN5aiter23act_and_mul_bias_kernelIftlfTnPFfRKT2_EXadL_ZNS_11gelu_kernelIfEEfRKT_EELi2EEEvPT0_PS8_PKT1_PS2_il,comdat
	.protected	_ZN5aiter23act_and_mul_bias_kernelIftlfTnPFfRKT2_EXadL_ZNS_11gelu_kernelIfEEfRKT_EELi2EEEvPT0_PS8_PKT1_PS2_il ; -- Begin function _ZN5aiter23act_and_mul_bias_kernelIftlfTnPFfRKT2_EXadL_ZNS_11gelu_kernelIfEEfRKT_EELi2EEEvPT0_PS8_PKT1_PS2_il
	.globl	_ZN5aiter23act_and_mul_bias_kernelIftlfTnPFfRKT2_EXadL_ZNS_11gelu_kernelIfEEfRKT_EELi2EEEvPT0_PS8_PKT1_PS2_il
	.p2align	8
	.type	_ZN5aiter23act_and_mul_bias_kernelIftlfTnPFfRKT2_EXadL_ZNS_11gelu_kernelIfEEfRKT_EELi2EEEvPT0_PS8_PKT1_PS2_il,@function
_ZN5aiter23act_and_mul_bias_kernelIftlfTnPFfRKT2_EXadL_ZNS_11gelu_kernelIfEEfRKT_EELi2EEEvPT0_PS8_PKT1_PS2_il: ; @_ZN5aiter23act_and_mul_bias_kernelIftlfTnPFfRKT2_EXadL_ZNS_11gelu_kernelIfEEfRKT_EELi2EEEvPT0_PS8_PKT1_PS2_il
; %bb.0:
	s_load_dwordx2 s[4:5], s[0:1], 0x0
	s_load_dwordx2 s[6:7], s[0:1], 0x10
	s_load_dword s24, s[0:1], 0x20
	s_load_dwordx2 s[12:13], s[0:1], 0x28
	s_mov_b32 s3, 0
	s_lshl_b64 s[8:9], s[2:3], 3
	s_waitcnt lgkmcnt(0)
	s_add_u32 s6, s6, s8
	s_addc_u32 s7, s7, s9
	s_ashr_i32 s25, s24, 31
	s_load_dwordx2 s[8:9], s[6:7], 0x0
	s_mul_hi_u32 s3, s24, s2
	s_mul_i32 s6, s25, s2
	s_add_i32 s7, s3, s6
	s_mul_i32 s6, s24, s2
	s_lshl_b64 s[6:7], s[6:7], 1
	s_add_u32 s4, s4, s6
	s_addc_u32 s3, s5, s7
	s_add_i32 s5, s24, 1
	s_lshr_b32 s6, s5, 31
	v_mov_b64_e32 v[2:3], s[12:13]
	s_add_i32 s5, s5, s6
	s_waitcnt lgkmcnt(0)
	v_cmp_gt_i64_e64 s[14:15], s[8:9], -1
	v_cmp_lt_i64_e32 vcc, s[8:9], v[2:3]
	s_lshl_b32 s5, s5, 1
	s_and_b64 s[12:13], s[14:15], vcc
	s_and_b32 s6, s5, -4
	s_and_b32 s5, s3, 0xffff
	s_mov_b64 s[10:11], -1
	s_and_b64 vcc, exec, s[12:13]
	v_lshlrev_b32_e32 v2, 1, v0
	s_cbranch_vccnz .LBB463_5
; %bb.1:
	v_cmp_gt_i32_e32 vcc, s24, v2
	s_and_saveexec_b64 s[10:11], vcc
	s_cbranch_execz .LBB463_4
; %bb.2:
	s_load_dword s3, s[0:1], 0x3c
	v_mov_b32_e32 v3, 0
	s_mov_b32 s13, 0
	v_lshlrev_b32_e32 v4, 2, v0
	s_mov_b64 s[14:15], 0
	s_waitcnt lgkmcnt(0)
	s_and_b32 s3, s3, 0xffff
	s_lshl_b32 s12, s3, 1
	s_lshl_b32 s3, s3, 2
	s_mov_b32 s7, 0x20000
	v_mov_b64_e32 v[0:1], v[2:3]
.LBB463_3:                              ; =>This Inner Loop Header: Depth=1
	v_lshl_add_u64 v[0:1], s[12:13], 0, v[0:1]
	v_cmp_le_i64_e32 vcc, s[24:25], v[0:1]
	buffer_store_dword v3, v4, s[4:7], 0 offen
	s_or_b64 s[14:15], vcc, s[14:15]
	v_add_u32_e32 v4, s3, v4
	s_andn2_b64 exec, exec, s[14:15]
	s_cbranch_execnz .LBB463_3
.LBB463_4:
	s_or_b64 exec, exec, s[10:11]
	s_mov_b64 s[10:11], 0
.LBB463_5:
	s_andn2_b64 vcc, exec, s[10:11]
	s_cbranch_vccnz .LBB463_13
; %bb.6:
	v_cmp_gt_i32_e32 vcc, s24, v2
	s_and_saveexec_b64 s[10:11], vcc
	s_cbranch_execz .LBB463_13
; %bb.7:
	s_load_dwordx2 s[14:15], s[0:1], 0x8
	s_load_dwordx2 s[12:13], s[0:1], 0x18
	s_mul_i32 s3, s24, s9
	s_mul_hi_u32 s7, s24, s8
	s_add_i32 s3, s7, s3
	s_mul_i32 s7, s25, s8
	s_add_i32 s9, s3, s7
	s_mul_i32 s8, s24, s8
	s_lshl_b32 s10, s24, 2
	s_lshl_b64 s[8:9], s[8:9], 3
	s_waitcnt lgkmcnt(0)
	s_add_u32 s12, s12, s8
	s_addc_u32 s3, s13, s9
	s_lshl_b64 s[8:9], s[24:25], 2
	s_add_u32 s16, s12, s8
	s_addc_u32 s17, s3, s9
	s_and_b32 s13, s3, 0xffff
	s_mul_i32 s3, s2, s25
	s_mul_hi_u32 s18, s2, s24
	s_add_i32 s3, s18, s3
	s_mul_i32 s2, s2, s24
	s_and_b32 s17, s17, 0xffff
	s_lshl_b64 s[2:3], s[2:3], 3
	s_add_u32 s20, s14, s2
	s_addc_u32 s2, s15, s3
	s_add_u32 s8, s20, s8
	s_addc_u32 s3, s2, s9
	s_and_b32 s21, s2, 0xffff
	s_and_b32 s9, s3, 0xffff
	s_mov_b32 s7, 0x20000
	s_add_u32 s0, s0, 48
	s_mov_b32 s11, s7
	v_mov_b32_e32 v3, 0
	s_addc_u32 s1, s1, 0
	s_mov_b64 s[2:3], 0
	s_mov_b32 s22, s10
	s_mov_b32 s23, s7
	;; [unrolled: 1-line block ×13, first 2 shown]
	v_mov_b32_e32 v12, 0x3ba10414
	v_mov_b32_e32 v13, 0xb9c68948
	v_mov_b32_e32 v14, 0x7f800000
	s_brev_b32 s39, -2
	s_mov_b32 s40, 0x7060302
                                        ; implicit-def: $vgpr0
                                        ; implicit-def: $vgpr0
	;; [unrolled: 1-line block ×4, first 2 shown]
	s_branch .LBB463_9
.LBB463_8:                              ;   in Loop: Header=BB463_9 Depth=1
	s_or_b64 exec, exec, s[14:15]
	v_fma_f32 v10, |v1|, s29, v13
	v_fma_f32 v10, |v1|, v10, s30
	;; [unrolled: 1-line block ×6, first 2 shown]
	v_fma_f32 v10, |v1|, v10, |v1|
	v_mul_f32_e32 v16, 0xbfb8aa3b, v10
	v_fma_f32 v17, v10, s36, -v16
	v_rndne_f32_e32 v18, v16
	v_fmac_f32_e32 v17, 0xb2a5705f, v10
	v_sub_f32_e32 v16, v16, v18
	v_add_f32_e32 v16, v16, v17
	v_exp_f32_e32 v16, v16
	v_cvt_i32_f32_e32 v17, v18
	s_waitcnt vmcnt(0)
	v_pk_add_f32 v[6:7], v[6:7], v[8:9]
	v_fmamk_f32 v9, v11, 0xba1345e1, v12
	v_fmaak_f32 v9, v11, v9, 0xbcdac9b8
	v_ldexp_f32 v8, v16, v17
	v_cmp_nlt_f32_e32 vcc, s37, v10
	v_fmaak_f32 v9, v11, v9, 0x3de703be
	v_fmaak_f32 v9, v11, v9, 0xbec09330
	v_cndmask_b32_e32 v8, 0, v8, vcc
	v_cmp_ngt_f32_e32 vcc, s38, v10
	v_fmaak_f32 v9, v11, v9, 0x3e0375d0
	v_fma_f32 v9, |v1|, v9, |v1|
	v_cndmask_b32_e32 v8, v14, v8, vcc
	v_sub_f32_e32 v8, 1.0, v8
	v_cmp_lt_f32_e64 vcc, |v1|, 1.0
	v_bfi_b32 v0, s39, v15, v0
	v_mul_f32_e32 v5, 0.5, v5
	v_cndmask_b32_e32 v8, v8, v9, vcc
	v_bfi_b32 v1, s39, v8, v1
	v_mul_f32_e32 v4, 0.5, v4
	v_pk_add_f32 v[0:1], v[0:1], 1.0 op_sel_hi:[1,0]
	s_nop 0
	v_pk_mul_f32 v[0:1], v[4:5], v[0:1]
	s_nop 0
	;;#ASMSTART
	v_pk_mul_f32 v[0:1], v[0:1], v[6:7]
	;;#ASMEND
	s_load_dword s14, s[0:1], 0xc
	v_perm_b32 v0, v1, v0, s40
	v_lshlrev_b32_e32 v1, 1, v2
	buffer_store_dword v0, v1, s[4:7], 0 offen
	s_waitcnt lgkmcnt(0)
	s_and_b32 s14, s14, 0xffff
	s_lshl_b32 s26, s14, 1
	v_lshl_add_u64 v[2:3], s[26:27], 0, v[2:3]
	v_cmp_le_i64_e32 vcc, s[24:25], v[2:3]
	s_or_b64 s[2:3], vcc, s[2:3]
	s_andn2_b64 exec, exec, s[2:3]
	s_cbranch_execz .LBB463_13
.LBB463_9:                              ; =>This Inner Loop Header: Depth=1
	v_lshlrev_b32_e32 v8, 2, v2
	s_mov_b32 s14, s10
	s_mov_b32 s15, s11
	buffer_load_dwordx2 v[0:1], v8, s[20:23], 0 offen
	buffer_load_dwordx2 v[6:7], v8, s[8:11], 0 offen
	;; [unrolled: 1-line block ×3, first 2 shown]
	s_mov_b32 s18, s10
	s_mov_b32 s19, s11
	buffer_load_dwordx2 v[8:9], v8, s[16:19], 0 offen
                                        ; implicit-def: $vgpr15
	s_waitcnt vmcnt(1)
	v_pk_add_f32 v[4:5], v[0:1], v[4:5]
	s_nop 0
	v_pk_mul_f32 v[0:1], v[4:5], s[28:29] op_sel_hi:[1,0]
	s_nop 0
	v_cmp_nlt_f32_e64 s[14:15], |v0|, 1.0
	s_and_saveexec_b64 s[18:19], s[14:15]
	s_xor_b64 s[14:15], exec, s[18:19]
	s_cbranch_execz .LBB463_11
; %bb.10:                               ;   in Loop: Header=BB463_9 Depth=1
	v_fma_f32 v10, |v0|, s29, v13
	v_fma_f32 v10, |v0|, v10, s30
	;; [unrolled: 1-line block ×6, first 2 shown]
	v_fma_f32 v10, |v0|, v10, |v0|
	v_mul_f32_e32 v11, 0xbfb8aa3b, v10
	v_fma_f32 v15, v10, s36, -v11
	v_rndne_f32_e32 v16, v11
	v_fmac_f32_e32 v15, 0xb2a5705f, v10
	v_sub_f32_e32 v11, v11, v16
	v_add_f32_e32 v11, v11, v15
	v_cvt_i32_f32_e32 v15, v16
	v_exp_f32_e32 v11, v11
	v_cmp_nlt_f32_e32 vcc, s37, v10
	v_ldexp_f32 v11, v11, v15
	s_nop 0
	v_cndmask_b32_e32 v11, 0, v11, vcc
	v_cmp_ngt_f32_e32 vcc, s38, v10
	s_nop 1
	v_cndmask_b32_e32 v10, v14, v11, vcc
	v_sub_f32_e32 v15, 1.0, v10
.LBB463_11:                             ;   in Loop: Header=BB463_9 Depth=1
	s_or_saveexec_b64 s[14:15], s[14:15]
	v_pk_mul_f32 v[10:11], v[0:1], v[0:1]
	s_xor_b64 exec, exec, s[14:15]
	s_cbranch_execz .LBB463_8
; %bb.12:                               ;   in Loop: Header=BB463_9 Depth=1
	v_fmamk_f32 v15, v10, 0xba1345e1, v12
	v_fmaak_f32 v15, v10, v15, 0xbcdac9b8
	v_fmaak_f32 v15, v10, v15, 0x3de703be
	;; [unrolled: 1-line block ×4, first 2 shown]
	v_fma_f32 v15, |v0|, v10, |v0|
	s_branch .LBB463_8
.LBB463_13:
	s_endpgm
	.section	.rodata,"a",@progbits
	.p2align	6, 0x0
	.amdhsa_kernel _ZN5aiter23act_and_mul_bias_kernelIftlfTnPFfRKT2_EXadL_ZNS_11gelu_kernelIfEEfRKT_EELi2EEEvPT0_PS8_PKT1_PS2_il
		.amdhsa_group_segment_fixed_size 0
		.amdhsa_private_segment_fixed_size 0
		.amdhsa_kernarg_size 304
		.amdhsa_user_sgpr_count 2
		.amdhsa_user_sgpr_dispatch_ptr 0
		.amdhsa_user_sgpr_queue_ptr 0
		.amdhsa_user_sgpr_kernarg_segment_ptr 1
		.amdhsa_user_sgpr_dispatch_id 0
		.amdhsa_user_sgpr_kernarg_preload_length 0
		.amdhsa_user_sgpr_kernarg_preload_offset 0
		.amdhsa_user_sgpr_private_segment_size 0
		.amdhsa_uses_dynamic_stack 0
		.amdhsa_enable_private_segment 0
		.amdhsa_system_sgpr_workgroup_id_x 1
		.amdhsa_system_sgpr_workgroup_id_y 0
		.amdhsa_system_sgpr_workgroup_id_z 0
		.amdhsa_system_sgpr_workgroup_info 0
		.amdhsa_system_vgpr_workitem_id 0
		.amdhsa_next_free_vgpr 19
		.amdhsa_next_free_sgpr 41
		.amdhsa_accum_offset 20
		.amdhsa_reserve_vcc 1
		.amdhsa_float_round_mode_32 0
		.amdhsa_float_round_mode_16_64 0
		.amdhsa_float_denorm_mode_32 3
		.amdhsa_float_denorm_mode_16_64 3
		.amdhsa_dx10_clamp 1
		.amdhsa_ieee_mode 1
		.amdhsa_fp16_overflow 0
		.amdhsa_tg_split 0
		.amdhsa_exception_fp_ieee_invalid_op 0
		.amdhsa_exception_fp_denorm_src 0
		.amdhsa_exception_fp_ieee_div_zero 0
		.amdhsa_exception_fp_ieee_overflow 0
		.amdhsa_exception_fp_ieee_underflow 0
		.amdhsa_exception_fp_ieee_inexact 0
		.amdhsa_exception_int_div_zero 0
	.end_amdhsa_kernel
	.section	.text._ZN5aiter23act_and_mul_bias_kernelIftlfTnPFfRKT2_EXadL_ZNS_11gelu_kernelIfEEfRKT_EELi2EEEvPT0_PS8_PKT1_PS2_il,"axG",@progbits,_ZN5aiter23act_and_mul_bias_kernelIftlfTnPFfRKT2_EXadL_ZNS_11gelu_kernelIfEEfRKT_EELi2EEEvPT0_PS8_PKT1_PS2_il,comdat
.Lfunc_end463:
	.size	_ZN5aiter23act_and_mul_bias_kernelIftlfTnPFfRKT2_EXadL_ZNS_11gelu_kernelIfEEfRKT_EELi2EEEvPT0_PS8_PKT1_PS2_il, .Lfunc_end463-_ZN5aiter23act_and_mul_bias_kernelIftlfTnPFfRKT2_EXadL_ZNS_11gelu_kernelIfEEfRKT_EELi2EEEvPT0_PS8_PKT1_PS2_il
                                        ; -- End function
	.section	.AMDGPU.csdata,"",@progbits
; Kernel info:
; codeLenInByte = 1232
; NumSgprs: 47
; NumVgprs: 19
; NumAgprs: 0
; TotalNumVgprs: 19
; ScratchSize: 0
; MemoryBound: 0
; FloatMode: 240
; IeeeMode: 1
; LDSByteSize: 0 bytes/workgroup (compile time only)
; SGPRBlocks: 5
; VGPRBlocks: 2
; NumSGPRsForWavesPerEU: 47
; NumVGPRsForWavesPerEU: 19
; AccumOffset: 20
; Occupancy: 8
; WaveLimiterHint : 0
; COMPUTE_PGM_RSRC2:SCRATCH_EN: 0
; COMPUTE_PGM_RSRC2:USER_SGPR: 2
; COMPUTE_PGM_RSRC2:TRAP_HANDLER: 0
; COMPUTE_PGM_RSRC2:TGID_X_EN: 1
; COMPUTE_PGM_RSRC2:TGID_Y_EN: 0
; COMPUTE_PGM_RSRC2:TGID_Z_EN: 0
; COMPUTE_PGM_RSRC2:TIDIG_COMP_CNT: 0
; COMPUTE_PGM_RSRC3_GFX90A:ACCUM_OFFSET: 4
; COMPUTE_PGM_RSRC3_GFX90A:TG_SPLIT: 0
	.section	.text._ZN5aiter23act_and_mul_bias_kernelIftlfTnPFfRKT2_EXadL_ZNS_11gelu_kernelIfEEfRKT_EELi1EEEvPT0_PS8_PKT1_PS2_il,"axG",@progbits,_ZN5aiter23act_and_mul_bias_kernelIftlfTnPFfRKT2_EXadL_ZNS_11gelu_kernelIfEEfRKT_EELi1EEEvPT0_PS8_PKT1_PS2_il,comdat
	.protected	_ZN5aiter23act_and_mul_bias_kernelIftlfTnPFfRKT2_EXadL_ZNS_11gelu_kernelIfEEfRKT_EELi1EEEvPT0_PS8_PKT1_PS2_il ; -- Begin function _ZN5aiter23act_and_mul_bias_kernelIftlfTnPFfRKT2_EXadL_ZNS_11gelu_kernelIfEEfRKT_EELi1EEEvPT0_PS8_PKT1_PS2_il
	.globl	_ZN5aiter23act_and_mul_bias_kernelIftlfTnPFfRKT2_EXadL_ZNS_11gelu_kernelIfEEfRKT_EELi1EEEvPT0_PS8_PKT1_PS2_il
	.p2align	8
	.type	_ZN5aiter23act_and_mul_bias_kernelIftlfTnPFfRKT2_EXadL_ZNS_11gelu_kernelIfEEfRKT_EELi1EEEvPT0_PS8_PKT1_PS2_il,@function
_ZN5aiter23act_and_mul_bias_kernelIftlfTnPFfRKT2_EXadL_ZNS_11gelu_kernelIfEEfRKT_EELi1EEEvPT0_PS8_PKT1_PS2_il: ; @_ZN5aiter23act_and_mul_bias_kernelIftlfTnPFfRKT2_EXadL_ZNS_11gelu_kernelIfEEfRKT_EELi1EEEvPT0_PS8_PKT1_PS2_il
; %bb.0:
	s_load_dwordx2 s[4:5], s[0:1], 0x0
	s_load_dwordx2 s[6:7], s[0:1], 0x10
	s_load_dword s20, s[0:1], 0x20
	s_load_dwordx2 s[14:15], s[0:1], 0x28
	s_mov_b32 s3, 0
	s_lshl_b64 s[8:9], s[2:3], 3
	s_waitcnt lgkmcnt(0)
	s_add_u32 s6, s6, s8
	s_addc_u32 s7, s7, s9
	s_ashr_i32 s21, s20, 31
	s_load_dwordx2 s[12:13], s[6:7], 0x0
	s_mul_hi_u32 s3, s20, s2
	s_mul_i32 s6, s21, s2
	s_add_i32 s7, s3, s6
	s_mul_i32 s6, s20, s2
	s_lshl_b64 s[6:7], s[6:7], 1
	s_add_u32 s8, s4, s6
	s_addc_u32 s3, s5, s7
	s_add_i32 s4, s20, 1
	s_lshr_b32 s5, s4, 31
	s_add_i32 s4, s4, s5
	s_lshl_b32 s4, s4, 1
	v_mov_b64_e32 v[2:3], s[14:15]
	s_and_b32 s10, s4, -4
	s_waitcnt lgkmcnt(0)
	v_cmp_gt_i64_e64 s[4:5], s[12:13], -1
	v_cmp_lt_i64_e32 vcc, s[12:13], v[2:3]
	s_and_b64 s[4:5], s[4:5], vcc
	s_and_b32 s9, s3, 0xffff
	s_mov_b64 s[6:7], -1
	s_and_b64 vcc, exec, s[4:5]
	v_cmp_gt_i32_e64 s[4:5], s20, v0
	s_cbranch_vccnz .LBB464_5
; %bb.1:
	s_and_saveexec_b64 s[6:7], s[4:5]
	s_cbranch_execz .LBB464_4
; %bb.2:
	s_load_dword s3, s[0:1], 0x3c
	v_mov_b32_e32 v1, 0
	s_mov_b32 s5, 0
	v_lshlrev_b32_e32 v4, 1, v0
	s_mov_b64 s[14:15], 0
	s_waitcnt lgkmcnt(0)
	s_and_b32 s4, s3, 0xffff
	s_lshl_b32 s3, s4, 1
	s_mov_b32 s11, 0x20000
	v_mov_b64_e32 v[2:3], v[0:1]
.LBB464_3:                              ; =>This Inner Loop Header: Depth=1
	v_lshl_add_u64 v[2:3], v[2:3], 0, s[4:5]
	v_cmp_le_i64_e32 vcc, s[20:21], v[2:3]
	buffer_store_short v1, v4, s[8:11], 0 offen
	s_or_b64 s[14:15], vcc, s[14:15]
	v_add_u32_e32 v4, s3, v4
	s_andn2_b64 exec, exec, s[14:15]
	s_cbranch_execnz .LBB464_3
.LBB464_4:
	s_or_b64 exec, exec, s[6:7]
	s_mov_b64 s[6:7], 0
.LBB464_5:
	s_andn2_b64 vcc, exec, s[6:7]
	s_cbranch_vccnz .LBB464_13
; %bb.6:
	v_cmp_gt_i32_e32 vcc, s20, v0
	s_and_saveexec_b64 s[4:5], vcc
	s_cbranch_execz .LBB464_13
; %bb.7:
	s_mul_i32 s3, s20, s13
	s_mul_hi_u32 s4, s20, s12
	s_add_i32 s3, s4, s3
	s_load_dwordx2 s[4:5], s[0:1], 0x8
	s_load_dwordx2 s[14:15], s[0:1], 0x18
	s_mul_i32 s7, s21, s12
	s_add_i32 s13, s3, s7
	s_mul_i32 s12, s20, s12
	s_lshl_b32 s6, s20, 2
	s_lshl_b64 s[12:13], s[12:13], 3
	s_load_dword s18, s[0:1], 0x3c
	s_waitcnt lgkmcnt(0)
	s_add_u32 s0, s14, s12
	s_addc_u32 s1, s15, s13
	s_lshl_b64 s[14:15], s[20:21], 2
	s_add_u32 s12, s0, s14
	s_addc_u32 s3, s1, s15
	s_and_b32 s13, s3, 0xffff
	s_mul_i32 s3, s2, s21
	s_mul_hi_u32 s16, s2, s20
	s_add_i32 s3, s16, s3
	s_mul_i32 s2, s2, s20
	s_and_b32 s1, s1, 0xffff
	s_lshl_b64 s[2:3], s[2:3], 3
	s_add_u32 s16, s4, s2
	s_addc_u32 s2, s5, s3
	s_add_u32 s4, s16, s14
	s_mov_b32 s11, 0x20000
	s_addc_u32 s3, s2, s15
	s_and_b32 s22, s18, 0xffff
                                        ; implicit-def: $vgpr5
                                        ; implicit-def: $vgpr5
	;; [unrolled: 1-line block ×4, first 2 shown]
	s_mov_b32 s7, s11
	s_and_b32 s17, s2, 0xffff
	s_and_b32 s5, s3, 0xffff
	s_mov_b32 s23, 0
	v_mov_b32_e32 v1, 0
	v_lshlrev_b32_e32 v2, 1, v0
	s_lshl_b32 s26, s22, 1
	v_lshlrev_b32_e32 v3, 2, v0
	s_lshl_b32 s27, s22, 2
	s_mov_b64 s[24:25], 0
	s_mov_b32 s18, s6
	s_mov_b32 s19, s11
	;; [unrolled: 1-line block ×11, first 2 shown]
	v_mov_b32_e32 v4, 0x3ba10414
	s_brev_b32 s38, -2
	v_mov_b32_e32 v5, 0xb9c68948
	v_mov_b32_e32 v6, 0x7f800000
	s_branch .LBB464_9
.LBB464_8:                              ;   in Loop: Header=BB464_9 Depth=1
	s_or_b64 exec, exec, s[2:3]
	s_waitcnt vmcnt(0)
	v_add_f32_e32 v7, v7, v8
	v_mul_f32_e32 v8, 0.5, v9
	v_bfi_b32 v9, s38, v11, v10
	v_add_f32_e32 v9, 1.0, v9
	v_mul_f32_e32 v8, v8, v9
	v_mul_f32_e32 v7, v7, v8
	v_lshl_add_u64 v[0:1], v[0:1], 0, s[22:23]
	v_lshrrev_b32_e32 v7, 16, v7
	v_cmp_le_i64_e32 vcc, s[20:21], v[0:1]
	buffer_store_short v7, v2, s[8:11], 0 offen
	v_add_u32_e32 v2, s26, v2
	s_or_b64 s[24:25], vcc, s[24:25]
	v_add_u32_e32 v3, s27, v3
	s_andn2_b64 exec, exec, s[24:25]
	s_cbranch_execz .LBB464_13
.LBB464_9:                              ; =>This Inner Loop Header: Depth=1
	s_mov_b32 s2, s6
	s_mov_b32 s3, s7
	buffer_load_dword v9, v3, s[16:19], 0 offen
	buffer_load_dword v7, v3, s[4:7], 0 offen
	;; [unrolled: 1-line block ×3, first 2 shown]
	s_mov_b32 s14, s6
	s_mov_b32 s15, s7
	buffer_load_dword v8, v3, s[12:15], 0 offen
                                        ; implicit-def: $vgpr11
	s_waitcnt vmcnt(1)
	v_add_f32_e32 v9, v9, v10
	v_mul_f32_e32 v10, 0x3f3504f3, v9
	v_cmp_nlt_f32_e64 s[2:3], |v10|, 1.0
	s_and_saveexec_b64 s[14:15], s[2:3]
	s_xor_b64 s[2:3], exec, s[14:15]
	s_cbranch_execz .LBB464_11
; %bb.10:                               ;   in Loop: Header=BB464_9 Depth=1
	v_fma_f32 v11, |v10|, s28, v5
	v_fma_f32 v11, |v10|, v11, s29
	v_fma_f32 v11, |v10|, v11, s30
	v_fma_f32 v11, |v10|, v11, s31
	v_fma_f32 v11, |v10|, v11, s33
	v_fma_f32 v11, |v10|, v11, s34
	v_fma_f32 v11, |v10|, v11, |v10|
	v_mul_f32_e32 v12, 0xbfb8aa3b, v11
	v_fma_f32 v13, v11, s35, -v12
	v_rndne_f32_e32 v14, v12
	v_fmac_f32_e32 v13, 0xb2a5705f, v11
	v_sub_f32_e32 v12, v12, v14
	v_add_f32_e32 v12, v12, v13
	v_cvt_i32_f32_e32 v13, v14
	v_exp_f32_e32 v12, v12
	v_cmp_nlt_f32_e32 vcc, s36, v11
	v_ldexp_f32 v12, v12, v13
	s_nop 0
	v_cndmask_b32_e32 v12, 0, v12, vcc
	v_cmp_ngt_f32_e32 vcc, s37, v11
	s_nop 1
	v_cndmask_b32_e32 v11, v6, v12, vcc
	v_sub_f32_e32 v11, 1.0, v11
.LBB464_11:                             ;   in Loop: Header=BB464_9 Depth=1
	s_andn2_saveexec_b64 s[2:3], s[2:3]
	s_cbranch_execz .LBB464_8
; %bb.12:                               ;   in Loop: Header=BB464_9 Depth=1
	v_mul_f32_e32 v11, v10, v10
	v_fmamk_f32 v12, v11, 0xba1345e1, v4
	v_fmaak_f32 v12, v11, v12, 0xbcdac9b8
	v_fmaak_f32 v12, v11, v12, 0x3de703be
	v_fmaak_f32 v12, v11, v12, 0xbec09330
	v_fmaak_f32 v11, v11, v12, 0x3e0375d0
	v_fma_f32 v11, |v10|, v11, |v10|
	s_branch .LBB464_8
.LBB464_13:
	s_endpgm
	.section	.rodata,"a",@progbits
	.p2align	6, 0x0
	.amdhsa_kernel _ZN5aiter23act_and_mul_bias_kernelIftlfTnPFfRKT2_EXadL_ZNS_11gelu_kernelIfEEfRKT_EELi1EEEvPT0_PS8_PKT1_PS2_il
		.amdhsa_group_segment_fixed_size 0
		.amdhsa_private_segment_fixed_size 0
		.amdhsa_kernarg_size 304
		.amdhsa_user_sgpr_count 2
		.amdhsa_user_sgpr_dispatch_ptr 0
		.amdhsa_user_sgpr_queue_ptr 0
		.amdhsa_user_sgpr_kernarg_segment_ptr 1
		.amdhsa_user_sgpr_dispatch_id 0
		.amdhsa_user_sgpr_kernarg_preload_length 0
		.amdhsa_user_sgpr_kernarg_preload_offset 0
		.amdhsa_user_sgpr_private_segment_size 0
		.amdhsa_uses_dynamic_stack 0
		.amdhsa_enable_private_segment 0
		.amdhsa_system_sgpr_workgroup_id_x 1
		.amdhsa_system_sgpr_workgroup_id_y 0
		.amdhsa_system_sgpr_workgroup_id_z 0
		.amdhsa_system_sgpr_workgroup_info 0
		.amdhsa_system_vgpr_workitem_id 0
		.amdhsa_next_free_vgpr 15
		.amdhsa_next_free_sgpr 39
		.amdhsa_accum_offset 16
		.amdhsa_reserve_vcc 1
		.amdhsa_float_round_mode_32 0
		.amdhsa_float_round_mode_16_64 0
		.amdhsa_float_denorm_mode_32 3
		.amdhsa_float_denorm_mode_16_64 3
		.amdhsa_dx10_clamp 1
		.amdhsa_ieee_mode 1
		.amdhsa_fp16_overflow 0
		.amdhsa_tg_split 0
		.amdhsa_exception_fp_ieee_invalid_op 0
		.amdhsa_exception_fp_denorm_src 0
		.amdhsa_exception_fp_ieee_div_zero 0
		.amdhsa_exception_fp_ieee_overflow 0
		.amdhsa_exception_fp_ieee_underflow 0
		.amdhsa_exception_fp_ieee_inexact 0
		.amdhsa_exception_int_div_zero 0
	.end_amdhsa_kernel
	.section	.text._ZN5aiter23act_and_mul_bias_kernelIftlfTnPFfRKT2_EXadL_ZNS_11gelu_kernelIfEEfRKT_EELi1EEEvPT0_PS8_PKT1_PS2_il,"axG",@progbits,_ZN5aiter23act_and_mul_bias_kernelIftlfTnPFfRKT2_EXadL_ZNS_11gelu_kernelIfEEfRKT_EELi1EEEvPT0_PS8_PKT1_PS2_il,comdat
.Lfunc_end464:
	.size	_ZN5aiter23act_and_mul_bias_kernelIftlfTnPFfRKT2_EXadL_ZNS_11gelu_kernelIfEEfRKT_EELi1EEEvPT0_PS8_PKT1_PS2_il, .Lfunc_end464-_ZN5aiter23act_and_mul_bias_kernelIftlfTnPFfRKT2_EXadL_ZNS_11gelu_kernelIfEEfRKT_EELi1EEEvPT0_PS8_PKT1_PS2_il
                                        ; -- End function
	.section	.AMDGPU.csdata,"",@progbits
; Kernel info:
; codeLenInByte = 964
; NumSgprs: 45
; NumVgprs: 15
; NumAgprs: 0
; TotalNumVgprs: 15
; ScratchSize: 0
; MemoryBound: 0
; FloatMode: 240
; IeeeMode: 1
; LDSByteSize: 0 bytes/workgroup (compile time only)
; SGPRBlocks: 5
; VGPRBlocks: 1
; NumSGPRsForWavesPerEU: 45
; NumVGPRsForWavesPerEU: 15
; AccumOffset: 16
; Occupancy: 8
; WaveLimiterHint : 0
; COMPUTE_PGM_RSRC2:SCRATCH_EN: 0
; COMPUTE_PGM_RSRC2:USER_SGPR: 2
; COMPUTE_PGM_RSRC2:TRAP_HANDLER: 0
; COMPUTE_PGM_RSRC2:TGID_X_EN: 1
; COMPUTE_PGM_RSRC2:TGID_Y_EN: 0
; COMPUTE_PGM_RSRC2:TGID_Z_EN: 0
; COMPUTE_PGM_RSRC2:TIDIG_COMP_CNT: 0
; COMPUTE_PGM_RSRC3_GFX90A:ACCUM_OFFSET: 3
; COMPUTE_PGM_RSRC3_GFX90A:TG_SPLIT: 0
	.section	.text._ZN5aiter23act_and_mul_bias_kernelIfDF16_lfTnPFfRKT2_EXadL_ZNS_11gelu_kernelIfEEfRKT_EELi16EEEvPT0_PS8_PKT1_PS2_il,"axG",@progbits,_ZN5aiter23act_and_mul_bias_kernelIfDF16_lfTnPFfRKT2_EXadL_ZNS_11gelu_kernelIfEEfRKT_EELi16EEEvPT0_PS8_PKT1_PS2_il,comdat
	.protected	_ZN5aiter23act_and_mul_bias_kernelIfDF16_lfTnPFfRKT2_EXadL_ZNS_11gelu_kernelIfEEfRKT_EELi16EEEvPT0_PS8_PKT1_PS2_il ; -- Begin function _ZN5aiter23act_and_mul_bias_kernelIfDF16_lfTnPFfRKT2_EXadL_ZNS_11gelu_kernelIfEEfRKT_EELi16EEEvPT0_PS8_PKT1_PS2_il
	.globl	_ZN5aiter23act_and_mul_bias_kernelIfDF16_lfTnPFfRKT2_EXadL_ZNS_11gelu_kernelIfEEfRKT_EELi16EEEvPT0_PS8_PKT1_PS2_il
	.p2align	8
	.type	_ZN5aiter23act_and_mul_bias_kernelIfDF16_lfTnPFfRKT2_EXadL_ZNS_11gelu_kernelIfEEfRKT_EELi16EEEvPT0_PS8_PKT1_PS2_il,@function
_ZN5aiter23act_and_mul_bias_kernelIfDF16_lfTnPFfRKT2_EXadL_ZNS_11gelu_kernelIfEEfRKT_EELi16EEEvPT0_PS8_PKT1_PS2_il: ; @_ZN5aiter23act_and_mul_bias_kernelIfDF16_lfTnPFfRKT2_EXadL_ZNS_11gelu_kernelIfEEfRKT_EELi16EEEvPT0_PS8_PKT1_PS2_il
; %bb.0:
	s_load_dwordx2 s[4:5], s[0:1], 0x0
	s_load_dwordx2 s[6:7], s[0:1], 0x10
	s_load_dword s24, s[0:1], 0x20
	s_load_dwordx2 s[12:13], s[0:1], 0x28
	s_mov_b32 s3, 0
	s_lshl_b64 s[8:9], s[2:3], 3
	s_waitcnt lgkmcnt(0)
	s_add_u32 s6, s6, s8
	s_addc_u32 s7, s7, s9
	s_ashr_i32 s25, s24, 31
	s_load_dwordx2 s[8:9], s[6:7], 0x0
	s_mul_hi_u32 s3, s24, s2
	s_mul_i32 s6, s25, s2
	s_add_i32 s7, s3, s6
	s_mul_i32 s6, s24, s2
	s_lshl_b64 s[6:7], s[6:7], 1
	s_add_u32 s4, s4, s6
	s_addc_u32 s3, s5, s7
	s_add_i32 s5, s24, 1
	s_lshr_b32 s6, s5, 31
	v_mov_b64_e32 v[2:3], s[12:13]
	s_add_i32 s5, s5, s6
	s_waitcnt lgkmcnt(0)
	v_cmp_gt_i64_e64 s[14:15], s[8:9], -1
	v_cmp_lt_i64_e32 vcc, s[8:9], v[2:3]
	s_lshl_b32 s5, s5, 1
	s_and_b64 s[12:13], s[14:15], vcc
	s_and_b32 s6, s5, -4
	s_and_b32 s5, s3, 0xffff
	s_mov_b64 s[10:11], -1
	s_and_b64 vcc, exec, s[12:13]
	v_lshlrev_b32_e32 v64, 4, v0
	s_cbranch_vccnz .LBB465_5
; %bb.1:
	v_cmp_gt_i32_e32 vcc, s24, v64
	s_and_saveexec_b64 s[10:11], vcc
	s_cbranch_execz .LBB465_4
; %bb.2:
	s_load_dword s3, s[0:1], 0x3c
	s_mov_b32 s13, 0
	s_mov_b32 s16, s13
	;; [unrolled: 1-line block ×3, first 2 shown]
	v_mov_b32_e32 v65, 0
	v_lshlrev_b32_e32 v6, 5, v0
	s_waitcnt lgkmcnt(0)
	s_and_b32 s3, s3, 0xffff
	s_mov_b32 s18, s13
	s_mov_b32 s19, s13
	v_mov_b64_e32 v[0:1], s[16:17]
	s_lshl_b32 s12, s3, 4
	s_lshl_b32 s3, s3, 5
	s_mov_b64 s[14:15], 0
	s_mov_b32 s7, 0x20000
	v_mov_b64_e32 v[2:3], s[18:19]
	v_mov_b64_e32 v[4:5], v[64:65]
.LBB465_3:                              ; =>This Inner Loop Header: Depth=1
	v_lshl_add_u64 v[4:5], s[12:13], 0, v[4:5]
	v_cmp_le_i64_e32 vcc, s[24:25], v[4:5]
	buffer_store_dwordx4 v[0:3], v6, s[4:7], 0 offen
	buffer_store_dwordx4 v[0:3], v6, s[4:7], 16 offen
	s_or_b64 s[14:15], vcc, s[14:15]
	v_add_u32_e32 v6, s3, v6
	s_andn2_b64 exec, exec, s[14:15]
	s_cbranch_execnz .LBB465_3
.LBB465_4:
	s_or_b64 exec, exec, s[10:11]
	s_mov_b64 s[10:11], 0
.LBB465_5:
	s_andn2_b64 vcc, exec, s[10:11]
	s_cbranch_vccnz .LBB465_73
; %bb.6:
	v_cmp_gt_i32_e32 vcc, s24, v64
	s_and_saveexec_b64 s[10:11], vcc
	s_cbranch_execz .LBB465_73
; %bb.7:
	s_load_dwordx2 s[14:15], s[0:1], 0x8
	s_load_dwordx2 s[12:13], s[0:1], 0x18
	s_mul_i32 s3, s24, s9
	s_mul_hi_u32 s7, s24, s8
	s_add_i32 s3, s7, s3
	s_mul_i32 s7, s25, s8
	s_add_i32 s9, s3, s7
	s_mul_i32 s8, s24, s8
	s_lshl_b32 s10, s24, 2
	s_lshl_b64 s[8:9], s[8:9], 3
	s_waitcnt lgkmcnt(0)
	s_add_u32 s8, s12, s8
	s_addc_u32 s3, s13, s9
	s_lshl_b64 s[18:19], s[24:25], 2
	s_add_u32 s12, s8, s18
	s_addc_u32 s13, s3, s19
	s_and_b32 s9, s3, 0xffff
	s_mul_i32 s3, s2, s25
	s_mul_hi_u32 s16, s2, s24
	s_add_i32 s3, s16, s3
	s_mul_i32 s2, s2, s24
	s_and_b32 s13, s13, 0xffff
	s_lshl_b64 s[2:3], s[2:3], 3
	s_add_u32 s16, s14, s2
	s_addc_u32 s2, s15, s3
	s_add_u32 s20, s16, s18
	s_addc_u32 s3, s2, s19
	s_and_b32 s17, s2, 0xffff
	s_and_b32 s21, s3, 0xffff
	s_mov_b32 s7, 0x20000
	s_add_u32 s0, s0, 48
	s_mov_b32 s11, s7
	v_mov_b32_e32 v65, 0
	s_addc_u32 s1, s1, 0
	s_mov_b64 s[2:3], 0
	s_mov_b32 s18, s10
	s_mov_b32 s19, s7
	;; [unrolled: 1-line block ×12, first 2 shown]
	v_mov_b32_e32 v66, 0x3ba10414
	s_brev_b32 s38, -2
	s_mov_b32 s22, s10
	s_mov_b32 s23, s7
	v_mov_b32_e32 v67, 0xb9c68948
	v_mov_b32_e32 v68, 0x7f800000
                                        ; implicit-def: $vgpr0
                                        ; implicit-def: $vgpr0
	;; [unrolled: 1-line block ×4, first 2 shown]
	s_branch .LBB465_9
.LBB465_8:                              ;   in Loop: Header=BB465_9 Depth=1
	s_or_b64 exec, exec, s[14:15]
	v_bfi_b32 v5, s38, v8, v5
	v_cvt_f16_f32_e32 v15, v1
	v_bfi_b32 v1, s38, v11, v10
	v_mul_f32_e32 v4, 0.5, v4
	v_add_f32_e32 v5, 1.0, v5
	v_cvt_f16_f32_e32 v14, v0
	v_mul_f32_e32 v0, 0.5, v9
	v_add_f32_e32 v1, 1.0, v1
	v_mul_f32_e32 v4, v4, v5
	v_add_f32_e32 v3, v3, v7
	v_add_f32_e32 v2, v2, v6
	v_mul_f32_e32 v5, v0, v1
	;;#ASMSTART
	v_pk_mul_f32 v[0:1], v[4:5], v[2:3]
	;;#ASMEND
	s_load_dword s14, s[0:1], 0xc
	v_cvt_f16_f32_e32 v7, v16
	v_cvt_f16_f32_e32 v6, v48
	;; [unrolled: 1-line block ×14, first 2 shown]
	s_waitcnt lgkmcnt(0)
	s_and_b32 s14, s14, 0xffff
	s_lshl_b32 s26, s14, 4
	v_pack_b32_f16 v0, v6, v16
	v_lshlrev_b32_e32 v6, 1, v64
	v_lshl_add_u64 v[64:65], s[26:27], 0, v[64:65]
	v_pack_b32_f16 v3, v21, v22
	v_pack_b32_f16 v2, v19, v20
	;; [unrolled: 1-line block ×3, first 2 shown]
	v_cmp_le_i64_e32 vcc, s[24:25], v[64:65]
	buffer_store_dwordx4 v[0:3], v6, s[4:7], 0 offen
	s_or_b64 s[2:3], vcc, s[2:3]
	s_nop 0
	v_pack_b32_f16 v3, v4, v5
	v_pack_b32_f16 v2, v14, v15
	;; [unrolled: 1-line block ×4, first 2 shown]
	buffer_store_dwordx4 v[0:3], v6, s[4:7], 16 offen
	s_andn2_b64 exec, exec, s[2:3]
	s_cbranch_execz .LBB465_73
.LBB465_9:                              ; =>This Inner Loop Header: Depth=1
	v_lshlrev_b32_e32 v4, 2, v64
	s_mov_b32 s14, s10
	s_mov_b32 s15, s11
	buffer_load_dwordx4 v[56:59], v4, s[16:19], 0 offen
	buffer_load_dwordx4 v[40:43], v4, s[16:19], 16 offen
	;; [unrolled: 1-line block ×15, first 2 shown]
	s_nop 0
	buffer_load_dwordx4 v[4:7], v4, s[12:15], 48 offen
                                        ; implicit-def: $vgpr69
	s_waitcnt vmcnt(7)
	v_add_f32_e32 v56, v56, v60
	v_mul_f32_e32 v60, 0x3f3504f3, v56
	v_cmp_nlt_f32_e64 s[14:15], |v60|, 1.0
	s_and_saveexec_b64 s[40:41], s[14:15]
	s_xor_b64 s[14:15], exec, s[40:41]
	s_cbranch_execz .LBB465_11
; %bb.10:                               ;   in Loop: Header=BB465_9 Depth=1
	v_fma_f32 v69, |v60|, s28, v67
	v_fma_f32 v69, |v60|, v69, s29
	;; [unrolled: 1-line block ×6, first 2 shown]
	v_fma_f32 v69, |v60|, v69, |v60|
	v_mul_f32_e32 v70, 0xbfb8aa3b, v69
	v_fma_f32 v71, v69, s35, -v70
	v_rndne_f32_e32 v72, v70
	v_fmac_f32_e32 v71, 0xb2a5705f, v69
	v_sub_f32_e32 v70, v70, v72
	v_add_f32_e32 v70, v70, v71
	v_cvt_i32_f32_e32 v71, v72
	v_exp_f32_e32 v70, v70
	v_cmp_nlt_f32_e32 vcc, s36, v69
	v_ldexp_f32 v70, v70, v71
	s_nop 0
	v_cndmask_b32_e32 v70, 0, v70, vcc
	v_cmp_ngt_f32_e32 vcc, s37, v69
	s_nop 1
	v_cndmask_b32_e32 v69, v68, v70, vcc
	v_sub_f32_e32 v69, 1.0, v69
.LBB465_11:                             ;   in Loop: Header=BB465_9 Depth=1
	s_andn2_saveexec_b64 s[14:15], s[14:15]
; %bb.12:                               ;   in Loop: Header=BB465_9 Depth=1
	v_mul_f32_e32 v69, v60, v60
	v_fmamk_f32 v70, v69, 0xba1345e1, v66
	v_fmaak_f32 v70, v69, v70, 0xbcdac9b8
	v_fmaak_f32 v70, v69, v70, 0x3de703be
	v_fmaak_f32 v70, v69, v70, 0xbec09330
	v_fmaak_f32 v69, v69, v70, 0x3e0375d0
	v_fma_f32 v69, |v60|, v69, |v60|
; %bb.13:                               ;   in Loop: Header=BB465_9 Depth=1
	s_or_b64 exec, exec, s[14:15]
	v_add_f32_e32 v57, v57, v61
	v_mul_f32_e32 v61, 0x3f3504f3, v57
	v_cmp_nlt_f32_e64 s[14:15], |v61|, 1.0
                                        ; implicit-def: $vgpr70
	s_and_saveexec_b64 s[40:41], s[14:15]
	s_xor_b64 s[14:15], exec, s[40:41]
	s_cbranch_execz .LBB465_15
; %bb.14:                               ;   in Loop: Header=BB465_9 Depth=1
	v_fma_f32 v70, |v61|, s28, v67
	v_fma_f32 v70, |v61|, v70, s29
	;; [unrolled: 1-line block ×6, first 2 shown]
	v_fma_f32 v70, |v61|, v70, |v61|
	v_mul_f32_e32 v71, 0xbfb8aa3b, v70
	v_fma_f32 v72, v70, s35, -v71
	v_rndne_f32_e32 v73, v71
	v_fmac_f32_e32 v72, 0xb2a5705f, v70
	v_sub_f32_e32 v71, v71, v73
	v_add_f32_e32 v71, v71, v72
	v_cvt_i32_f32_e32 v72, v73
	v_exp_f32_e32 v71, v71
	v_cmp_nlt_f32_e32 vcc, s36, v70
	v_ldexp_f32 v71, v71, v72
	s_nop 0
	v_cndmask_b32_e32 v71, 0, v71, vcc
	v_cmp_ngt_f32_e32 vcc, s37, v70
	s_nop 1
	v_cndmask_b32_e32 v70, v68, v71, vcc
	v_sub_f32_e32 v70, 1.0, v70
.LBB465_15:                             ;   in Loop: Header=BB465_9 Depth=1
	s_andn2_saveexec_b64 s[14:15], s[14:15]
; %bb.16:                               ;   in Loop: Header=BB465_9 Depth=1
	v_mul_f32_e32 v70, v61, v61
	v_fmamk_f32 v71, v70, 0xba1345e1, v66
	v_fmaak_f32 v71, v70, v71, 0xbcdac9b8
	v_fmaak_f32 v71, v70, v71, 0x3de703be
	;; [unrolled: 1-line block ×4, first 2 shown]
	v_fma_f32 v70, |v61|, v70, |v61|
; %bb.17:                               ;   in Loop: Header=BB465_9 Depth=1
	s_or_b64 exec, exec, s[14:15]
	s_waitcnt vmcnt(3)
	v_add_f32_e32 v49, v49, v53
	v_bfi_b32 v53, s38, v70, v61
	v_add_f32_e32 v48, v48, v52
	v_mul_f32_e32 v52, 0.5, v57
	v_add_f32_e32 v53, 1.0, v53
	v_bfi_b32 v60, s38, v69, v60
	v_mul_f32_e32 v57, v52, v53
	v_add_f32_e32 v52, v58, v62
	v_mul_f32_e32 v56, 0.5, v56
	v_add_f32_e32 v60, 1.0, v60
	v_mul_f32_e32 v53, 0x3f3504f3, v52
	v_mul_f32_e32 v56, v56, v60
	v_cmp_nlt_f32_e64 s[14:15], |v53|, 1.0
	;;#ASMSTART
	v_pk_mul_f32 v[48:49], v[56:57], v[48:49]
	;;#ASMEND
                                        ; implicit-def: $vgpr56
	s_and_saveexec_b64 s[40:41], s[14:15]
	s_xor_b64 s[14:15], exec, s[40:41]
	s_cbranch_execz .LBB465_19
; %bb.18:                               ;   in Loop: Header=BB465_9 Depth=1
	v_fma_f32 v56, |v53|, s28, v67
	v_fma_f32 v56, |v53|, v56, s29
	;; [unrolled: 1-line block ×6, first 2 shown]
	v_fma_f32 v56, |v53|, v56, |v53|
	v_mul_f32_e32 v57, 0xbfb8aa3b, v56
	v_fma_f32 v58, v56, s35, -v57
	v_rndne_f32_e32 v60, v57
	v_fmac_f32_e32 v58, 0xb2a5705f, v56
	v_sub_f32_e32 v57, v57, v60
	v_add_f32_e32 v57, v57, v58
	v_cvt_i32_f32_e32 v58, v60
	v_exp_f32_e32 v57, v57
	v_cmp_nlt_f32_e32 vcc, s36, v56
	v_ldexp_f32 v57, v57, v58
	s_nop 0
	v_cndmask_b32_e32 v57, 0, v57, vcc
	v_cmp_ngt_f32_e32 vcc, s37, v56
	s_nop 1
	v_cndmask_b32_e32 v56, v68, v57, vcc
	v_sub_f32_e32 v56, 1.0, v56
.LBB465_19:                             ;   in Loop: Header=BB465_9 Depth=1
	s_andn2_saveexec_b64 s[14:15], s[14:15]
; %bb.20:                               ;   in Loop: Header=BB465_9 Depth=1
	v_mul_f32_e32 v56, v53, v53
	v_fmamk_f32 v57, v56, 0xba1345e1, v66
	v_fmaak_f32 v57, v56, v57, 0xbcdac9b8
	v_fmaak_f32 v57, v56, v57, 0x3de703be
	;; [unrolled: 1-line block ×4, first 2 shown]
	v_fma_f32 v56, |v53|, v56, |v53|
; %bb.21:                               ;   in Loop: Header=BB465_9 Depth=1
	s_or_b64 exec, exec, s[14:15]
	v_add_f32_e32 v57, v59, v63
	v_mul_f32_e32 v58, 0x3f3504f3, v57
	v_cmp_nlt_f32_e64 s[14:15], |v58|, 1.0
                                        ; implicit-def: $vgpr59
	s_and_saveexec_b64 s[40:41], s[14:15]
	s_xor_b64 s[14:15], exec, s[40:41]
	s_cbranch_execz .LBB465_23
; %bb.22:                               ;   in Loop: Header=BB465_9 Depth=1
	v_fma_f32 v59, |v58|, s28, v67
	v_fma_f32 v59, |v58|, v59, s29
	;; [unrolled: 1-line block ×6, first 2 shown]
	v_fma_f32 v59, |v58|, v59, |v58|
	v_mul_f32_e32 v60, 0xbfb8aa3b, v59
	v_fma_f32 v61, v59, s35, -v60
	v_rndne_f32_e32 v62, v60
	v_fmac_f32_e32 v61, 0xb2a5705f, v59
	v_sub_f32_e32 v60, v60, v62
	v_add_f32_e32 v60, v60, v61
	v_cvt_i32_f32_e32 v61, v62
	v_exp_f32_e32 v60, v60
	v_cmp_nlt_f32_e32 vcc, s36, v59
	v_ldexp_f32 v60, v60, v61
	s_nop 0
	v_cndmask_b32_e32 v60, 0, v60, vcc
	v_cmp_ngt_f32_e32 vcc, s37, v59
	s_nop 1
	v_cndmask_b32_e32 v59, v68, v60, vcc
	v_sub_f32_e32 v59, 1.0, v59
.LBB465_23:                             ;   in Loop: Header=BB465_9 Depth=1
	s_andn2_saveexec_b64 s[14:15], s[14:15]
; %bb.24:                               ;   in Loop: Header=BB465_9 Depth=1
	v_mul_f32_e32 v59, v58, v58
	v_fmamk_f32 v60, v59, 0xba1345e1, v66
	v_fmaak_f32 v60, v59, v60, 0xbcdac9b8
	v_fmaak_f32 v60, v59, v60, 0x3de703be
	;; [unrolled: 1-line block ×4, first 2 shown]
	v_fma_f32 v59, |v58|, v59, |v58|
; %bb.25:                               ;   in Loop: Header=BB465_9 Depth=1
	s_or_b64 exec, exec, s[14:15]
	v_bfi_b32 v53, s38, v56, v53
	v_add_f32_e32 v40, v40, v44
	v_mul_f32_e32 v52, 0.5, v52
	v_add_f32_e32 v53, 1.0, v53
	v_add_f32_e32 v50, v50, v54
	v_bfi_b32 v54, s38, v59, v58
	v_mul_f32_e32 v44, 0x3f3504f3, v40
	v_mul_f32_e32 v52, v52, v53
	v_add_f32_e32 v51, v51, v55
	v_mul_f32_e32 v53, 0.5, v57
	v_add_f32_e32 v54, 1.0, v54
	v_cmp_nlt_f32_e64 s[14:15], |v44|, 1.0
	v_mul_f32_e32 v53, v53, v54
	;;#ASMSTART
	v_pk_mul_f32 v[50:51], v[52:53], v[50:51]
	;;#ASMEND
                                        ; implicit-def: $vgpr52
	s_and_saveexec_b64 s[40:41], s[14:15]
	s_xor_b64 s[14:15], exec, s[40:41]
	s_cbranch_execz .LBB465_27
; %bb.26:                               ;   in Loop: Header=BB465_9 Depth=1
	v_fma_f32 v52, |v44|, s28, v67
	v_fma_f32 v52, |v44|, v52, s29
	;; [unrolled: 1-line block ×6, first 2 shown]
	v_fma_f32 v52, |v44|, v52, |v44|
	v_mul_f32_e32 v53, 0xbfb8aa3b, v52
	v_fma_f32 v54, v52, s35, -v53
	v_rndne_f32_e32 v55, v53
	v_fmac_f32_e32 v54, 0xb2a5705f, v52
	v_sub_f32_e32 v53, v53, v55
	v_add_f32_e32 v53, v53, v54
	v_cvt_i32_f32_e32 v54, v55
	v_exp_f32_e32 v53, v53
	v_cmp_nlt_f32_e32 vcc, s36, v52
	v_ldexp_f32 v53, v53, v54
	s_nop 0
	v_cndmask_b32_e32 v53, 0, v53, vcc
	v_cmp_ngt_f32_e32 vcc, s37, v52
	s_nop 1
	v_cndmask_b32_e32 v52, v68, v53, vcc
	v_sub_f32_e32 v52, 1.0, v52
.LBB465_27:                             ;   in Loop: Header=BB465_9 Depth=1
	s_andn2_saveexec_b64 s[14:15], s[14:15]
; %bb.28:                               ;   in Loop: Header=BB465_9 Depth=1
	v_mul_f32_e32 v52, v44, v44
	v_fmamk_f32 v53, v52, 0xba1345e1, v66
	v_fmaak_f32 v53, v52, v53, 0xbcdac9b8
	v_fmaak_f32 v53, v52, v53, 0x3de703be
	;; [unrolled: 1-line block ×4, first 2 shown]
	v_fma_f32 v52, |v44|, v52, |v44|
; %bb.29:                               ;   in Loop: Header=BB465_9 Depth=1
	s_or_b64 exec, exec, s[14:15]
	v_add_f32_e32 v41, v41, v45
	v_mul_f32_e32 v45, 0x3f3504f3, v41
	v_cmp_nlt_f32_e64 s[14:15], |v45|, 1.0
                                        ; implicit-def: $vgpr53
	s_and_saveexec_b64 s[40:41], s[14:15]
	s_xor_b64 s[14:15], exec, s[40:41]
	s_cbranch_execz .LBB465_31
; %bb.30:                               ;   in Loop: Header=BB465_9 Depth=1
	v_fma_f32 v53, |v45|, s28, v67
	v_fma_f32 v53, |v45|, v53, s29
	;; [unrolled: 1-line block ×6, first 2 shown]
	v_fma_f32 v53, |v45|, v53, |v45|
	v_mul_f32_e32 v54, 0xbfb8aa3b, v53
	v_fma_f32 v55, v53, s35, -v54
	v_rndne_f32_e32 v56, v54
	v_fmac_f32_e32 v55, 0xb2a5705f, v53
	v_sub_f32_e32 v54, v54, v56
	v_add_f32_e32 v54, v54, v55
	v_cvt_i32_f32_e32 v55, v56
	v_exp_f32_e32 v54, v54
	v_cmp_nlt_f32_e32 vcc, s36, v53
	v_ldexp_f32 v54, v54, v55
	s_nop 0
	v_cndmask_b32_e32 v54, 0, v54, vcc
	v_cmp_ngt_f32_e32 vcc, s37, v53
	s_nop 1
	v_cndmask_b32_e32 v53, v68, v54, vcc
	v_sub_f32_e32 v53, 1.0, v53
.LBB465_31:                             ;   in Loop: Header=BB465_9 Depth=1
	s_andn2_saveexec_b64 s[14:15], s[14:15]
; %bb.32:                               ;   in Loop: Header=BB465_9 Depth=1
	v_mul_f32_e32 v53, v45, v45
	v_fmamk_f32 v54, v53, 0xba1345e1, v66
	v_fmaak_f32 v54, v53, v54, 0xbcdac9b8
	v_fmaak_f32 v54, v53, v54, 0x3de703be
	v_fmaak_f32 v54, v53, v54, 0xbec09330
	v_fmaak_f32 v53, v53, v54, 0x3e0375d0
	v_fma_f32 v53, |v45|, v53, |v45|
; %bb.33:                               ;   in Loop: Header=BB465_9 Depth=1
	s_or_b64 exec, exec, s[14:15]
	s_waitcnt vmcnt(2)
	v_add_f32_e32 v33, v33, v37
	v_bfi_b32 v37, s38, v53, v45
	v_add_f32_e32 v32, v32, v36
	v_mul_f32_e32 v36, 0.5, v41
	v_add_f32_e32 v37, 1.0, v37
	v_bfi_b32 v44, s38, v52, v44
	v_mul_f32_e32 v41, v36, v37
	v_add_f32_e32 v36, v42, v46
	v_mul_f32_e32 v40, 0.5, v40
	v_add_f32_e32 v44, 1.0, v44
	v_mul_f32_e32 v37, 0x3f3504f3, v36
	v_mul_f32_e32 v40, v40, v44
	v_cmp_nlt_f32_e64 s[14:15], |v37|, 1.0
	;;#ASMSTART
	v_pk_mul_f32 v[32:33], v[40:41], v[32:33]
	;;#ASMEND
                                        ; implicit-def: $vgpr40
	s_and_saveexec_b64 s[40:41], s[14:15]
	s_xor_b64 s[14:15], exec, s[40:41]
	s_cbranch_execz .LBB465_35
; %bb.34:                               ;   in Loop: Header=BB465_9 Depth=1
	v_fma_f32 v40, |v37|, s28, v67
	v_fma_f32 v40, |v37|, v40, s29
	;; [unrolled: 1-line block ×6, first 2 shown]
	v_fma_f32 v40, |v37|, v40, |v37|
	v_mul_f32_e32 v41, 0xbfb8aa3b, v40
	v_fma_f32 v42, v40, s35, -v41
	v_rndne_f32_e32 v44, v41
	v_fmac_f32_e32 v42, 0xb2a5705f, v40
	v_sub_f32_e32 v41, v41, v44
	v_add_f32_e32 v41, v41, v42
	v_cvt_i32_f32_e32 v42, v44
	v_exp_f32_e32 v41, v41
	v_cmp_nlt_f32_e32 vcc, s36, v40
	v_ldexp_f32 v41, v41, v42
	s_nop 0
	v_cndmask_b32_e32 v41, 0, v41, vcc
	v_cmp_ngt_f32_e32 vcc, s37, v40
	s_nop 1
	v_cndmask_b32_e32 v40, v68, v41, vcc
	v_sub_f32_e32 v40, 1.0, v40
.LBB465_35:                             ;   in Loop: Header=BB465_9 Depth=1
	s_andn2_saveexec_b64 s[14:15], s[14:15]
; %bb.36:                               ;   in Loop: Header=BB465_9 Depth=1
	v_mul_f32_e32 v40, v37, v37
	v_fmamk_f32 v41, v40, 0xba1345e1, v66
	v_fmaak_f32 v41, v40, v41, 0xbcdac9b8
	v_fmaak_f32 v41, v40, v41, 0x3de703be
	;; [unrolled: 1-line block ×4, first 2 shown]
	v_fma_f32 v40, |v37|, v40, |v37|
; %bb.37:                               ;   in Loop: Header=BB465_9 Depth=1
	s_or_b64 exec, exec, s[14:15]
	v_add_f32_e32 v41, v43, v47
	v_mul_f32_e32 v42, 0x3f3504f3, v41
	v_cmp_nlt_f32_e64 s[14:15], |v42|, 1.0
                                        ; implicit-def: $vgpr43
	s_and_saveexec_b64 s[40:41], s[14:15]
	s_xor_b64 s[14:15], exec, s[40:41]
	s_cbranch_execz .LBB465_39
; %bb.38:                               ;   in Loop: Header=BB465_9 Depth=1
	v_fma_f32 v43, |v42|, s28, v67
	v_fma_f32 v43, |v42|, v43, s29
	;; [unrolled: 1-line block ×6, first 2 shown]
	v_fma_f32 v43, |v42|, v43, |v42|
	v_mul_f32_e32 v44, 0xbfb8aa3b, v43
	v_fma_f32 v45, v43, s35, -v44
	v_rndne_f32_e32 v46, v44
	v_fmac_f32_e32 v45, 0xb2a5705f, v43
	v_sub_f32_e32 v44, v44, v46
	v_add_f32_e32 v44, v44, v45
	v_cvt_i32_f32_e32 v45, v46
	v_exp_f32_e32 v44, v44
	v_cmp_nlt_f32_e32 vcc, s36, v43
	v_ldexp_f32 v44, v44, v45
	s_nop 0
	v_cndmask_b32_e32 v44, 0, v44, vcc
	v_cmp_ngt_f32_e32 vcc, s37, v43
	s_nop 1
	v_cndmask_b32_e32 v43, v68, v44, vcc
	v_sub_f32_e32 v43, 1.0, v43
.LBB465_39:                             ;   in Loop: Header=BB465_9 Depth=1
	s_andn2_saveexec_b64 s[14:15], s[14:15]
; %bb.40:                               ;   in Loop: Header=BB465_9 Depth=1
	v_mul_f32_e32 v43, v42, v42
	v_fmamk_f32 v44, v43, 0xba1345e1, v66
	v_fmaak_f32 v44, v43, v44, 0xbcdac9b8
	v_fmaak_f32 v44, v43, v44, 0x3de703be
	;; [unrolled: 1-line block ×4, first 2 shown]
	v_fma_f32 v43, |v42|, v43, |v42|
; %bb.41:                               ;   in Loop: Header=BB465_9 Depth=1
	s_or_b64 exec, exec, s[14:15]
	v_bfi_b32 v37, s38, v40, v37
	v_add_f32_e32 v24, v24, v28
	v_mul_f32_e32 v36, 0.5, v36
	v_add_f32_e32 v37, 1.0, v37
	v_add_f32_e32 v34, v34, v38
	v_bfi_b32 v38, s38, v43, v42
	v_mul_f32_e32 v28, 0x3f3504f3, v24
	v_mul_f32_e32 v36, v36, v37
	v_add_f32_e32 v35, v35, v39
	v_mul_f32_e32 v37, 0.5, v41
	v_add_f32_e32 v38, 1.0, v38
	v_cmp_nlt_f32_e64 s[14:15], |v28|, 1.0
	v_mul_f32_e32 v37, v37, v38
	;;#ASMSTART
	v_pk_mul_f32 v[34:35], v[36:37], v[34:35]
	;;#ASMEND
                                        ; implicit-def: $vgpr36
	s_and_saveexec_b64 s[40:41], s[14:15]
	s_xor_b64 s[14:15], exec, s[40:41]
	s_cbranch_execz .LBB465_43
; %bb.42:                               ;   in Loop: Header=BB465_9 Depth=1
	v_fma_f32 v36, |v28|, s28, v67
	v_fma_f32 v36, |v28|, v36, s29
	;; [unrolled: 1-line block ×6, first 2 shown]
	v_fma_f32 v36, |v28|, v36, |v28|
	v_mul_f32_e32 v37, 0xbfb8aa3b, v36
	v_fma_f32 v38, v36, s35, -v37
	v_rndne_f32_e32 v39, v37
	v_fmac_f32_e32 v38, 0xb2a5705f, v36
	v_sub_f32_e32 v37, v37, v39
	v_add_f32_e32 v37, v37, v38
	v_cvt_i32_f32_e32 v38, v39
	v_exp_f32_e32 v37, v37
	v_cmp_nlt_f32_e32 vcc, s36, v36
	v_ldexp_f32 v37, v37, v38
	s_nop 0
	v_cndmask_b32_e32 v37, 0, v37, vcc
	v_cmp_ngt_f32_e32 vcc, s37, v36
	s_nop 1
	v_cndmask_b32_e32 v36, v68, v37, vcc
	v_sub_f32_e32 v36, 1.0, v36
.LBB465_43:                             ;   in Loop: Header=BB465_9 Depth=1
	s_andn2_saveexec_b64 s[14:15], s[14:15]
; %bb.44:                               ;   in Loop: Header=BB465_9 Depth=1
	v_mul_f32_e32 v36, v28, v28
	v_fmamk_f32 v37, v36, 0xba1345e1, v66
	v_fmaak_f32 v37, v36, v37, 0xbcdac9b8
	v_fmaak_f32 v37, v36, v37, 0x3de703be
	;; [unrolled: 1-line block ×4, first 2 shown]
	v_fma_f32 v36, |v28|, v36, |v28|
; %bb.45:                               ;   in Loop: Header=BB465_9 Depth=1
	s_or_b64 exec, exec, s[14:15]
	v_add_f32_e32 v25, v25, v29
	v_mul_f32_e32 v29, 0x3f3504f3, v25
	v_cmp_nlt_f32_e64 s[14:15], |v29|, 1.0
                                        ; implicit-def: $vgpr37
	s_and_saveexec_b64 s[40:41], s[14:15]
	s_xor_b64 s[14:15], exec, s[40:41]
	s_cbranch_execz .LBB465_47
; %bb.46:                               ;   in Loop: Header=BB465_9 Depth=1
	v_fma_f32 v37, |v29|, s28, v67
	v_fma_f32 v37, |v29|, v37, s29
	;; [unrolled: 1-line block ×6, first 2 shown]
	v_fma_f32 v37, |v29|, v37, |v29|
	v_mul_f32_e32 v38, 0xbfb8aa3b, v37
	v_fma_f32 v39, v37, s35, -v38
	v_rndne_f32_e32 v40, v38
	v_fmac_f32_e32 v39, 0xb2a5705f, v37
	v_sub_f32_e32 v38, v38, v40
	v_add_f32_e32 v38, v38, v39
	v_cvt_i32_f32_e32 v39, v40
	v_exp_f32_e32 v38, v38
	v_cmp_nlt_f32_e32 vcc, s36, v37
	v_ldexp_f32 v38, v38, v39
	s_nop 0
	v_cndmask_b32_e32 v38, 0, v38, vcc
	v_cmp_ngt_f32_e32 vcc, s37, v37
	s_nop 1
	v_cndmask_b32_e32 v37, v68, v38, vcc
	v_sub_f32_e32 v37, 1.0, v37
.LBB465_47:                             ;   in Loop: Header=BB465_9 Depth=1
	s_andn2_saveexec_b64 s[14:15], s[14:15]
; %bb.48:                               ;   in Loop: Header=BB465_9 Depth=1
	v_mul_f32_e32 v37, v29, v29
	v_fmamk_f32 v38, v37, 0xba1345e1, v66
	v_fmaak_f32 v38, v37, v38, 0xbcdac9b8
	v_fmaak_f32 v38, v37, v38, 0x3de703be
	;; [unrolled: 1-line block ×4, first 2 shown]
	v_fma_f32 v37, |v29|, v37, |v29|
; %bb.49:                               ;   in Loop: Header=BB465_9 Depth=1
	s_or_b64 exec, exec, s[14:15]
	s_waitcnt vmcnt(1)
	v_add_f32_e32 v17, v17, v21
	v_bfi_b32 v21, s38, v37, v29
	v_add_f32_e32 v16, v16, v20
	v_mul_f32_e32 v20, 0.5, v25
	v_add_f32_e32 v21, 1.0, v21
	v_bfi_b32 v28, s38, v36, v28
	v_mul_f32_e32 v25, v20, v21
	v_add_f32_e32 v20, v26, v30
	v_mul_f32_e32 v24, 0.5, v24
	v_add_f32_e32 v28, 1.0, v28
	v_mul_f32_e32 v21, 0x3f3504f3, v20
	v_mul_f32_e32 v24, v24, v28
	v_cmp_nlt_f32_e64 s[14:15], |v21|, 1.0
	;;#ASMSTART
	v_pk_mul_f32 v[16:17], v[24:25], v[16:17]
	;;#ASMEND
                                        ; implicit-def: $vgpr24
	s_and_saveexec_b64 s[40:41], s[14:15]
	s_xor_b64 s[14:15], exec, s[40:41]
	s_cbranch_execz .LBB465_51
; %bb.50:                               ;   in Loop: Header=BB465_9 Depth=1
	v_fma_f32 v24, |v21|, s28, v67
	v_fma_f32 v24, |v21|, v24, s29
	;; [unrolled: 1-line block ×6, first 2 shown]
	v_fma_f32 v24, |v21|, v24, |v21|
	v_mul_f32_e32 v25, 0xbfb8aa3b, v24
	v_fma_f32 v26, v24, s35, -v25
	v_rndne_f32_e32 v28, v25
	v_fmac_f32_e32 v26, 0xb2a5705f, v24
	v_sub_f32_e32 v25, v25, v28
	v_add_f32_e32 v25, v25, v26
	v_cvt_i32_f32_e32 v26, v28
	v_exp_f32_e32 v25, v25
	v_cmp_nlt_f32_e32 vcc, s36, v24
	v_ldexp_f32 v25, v25, v26
	s_nop 0
	v_cndmask_b32_e32 v25, 0, v25, vcc
	v_cmp_ngt_f32_e32 vcc, s37, v24
	s_nop 1
	v_cndmask_b32_e32 v24, v68, v25, vcc
	v_sub_f32_e32 v24, 1.0, v24
.LBB465_51:                             ;   in Loop: Header=BB465_9 Depth=1
	s_andn2_saveexec_b64 s[14:15], s[14:15]
; %bb.52:                               ;   in Loop: Header=BB465_9 Depth=1
	v_mul_f32_e32 v24, v21, v21
	v_fmamk_f32 v25, v24, 0xba1345e1, v66
	v_fmaak_f32 v25, v24, v25, 0xbcdac9b8
	v_fmaak_f32 v25, v24, v25, 0x3de703be
	;; [unrolled: 1-line block ×4, first 2 shown]
	v_fma_f32 v24, |v21|, v24, |v21|
; %bb.53:                               ;   in Loop: Header=BB465_9 Depth=1
	s_or_b64 exec, exec, s[14:15]
	v_add_f32_e32 v25, v27, v31
	v_mul_f32_e32 v26, 0x3f3504f3, v25
	v_cmp_nlt_f32_e64 s[14:15], |v26|, 1.0
                                        ; implicit-def: $vgpr27
	s_and_saveexec_b64 s[40:41], s[14:15]
	s_xor_b64 s[14:15], exec, s[40:41]
	s_cbranch_execz .LBB465_55
; %bb.54:                               ;   in Loop: Header=BB465_9 Depth=1
	v_fma_f32 v27, |v26|, s28, v67
	v_fma_f32 v27, |v26|, v27, s29
	;; [unrolled: 1-line block ×6, first 2 shown]
	v_fma_f32 v27, |v26|, v27, |v26|
	v_mul_f32_e32 v28, 0xbfb8aa3b, v27
	v_fma_f32 v29, v27, s35, -v28
	v_rndne_f32_e32 v30, v28
	v_fmac_f32_e32 v29, 0xb2a5705f, v27
	v_sub_f32_e32 v28, v28, v30
	v_add_f32_e32 v28, v28, v29
	v_cvt_i32_f32_e32 v29, v30
	v_exp_f32_e32 v28, v28
	v_cmp_nlt_f32_e32 vcc, s36, v27
	v_ldexp_f32 v28, v28, v29
	s_nop 0
	v_cndmask_b32_e32 v28, 0, v28, vcc
	v_cmp_ngt_f32_e32 vcc, s37, v27
	s_nop 1
	v_cndmask_b32_e32 v27, v68, v28, vcc
	v_sub_f32_e32 v27, 1.0, v27
.LBB465_55:                             ;   in Loop: Header=BB465_9 Depth=1
	s_andn2_saveexec_b64 s[14:15], s[14:15]
; %bb.56:                               ;   in Loop: Header=BB465_9 Depth=1
	v_mul_f32_e32 v27, v26, v26
	v_fmamk_f32 v28, v27, 0xba1345e1, v66
	v_fmaak_f32 v28, v27, v28, 0xbcdac9b8
	v_fmaak_f32 v28, v27, v28, 0x3de703be
	;; [unrolled: 1-line block ×4, first 2 shown]
	v_fma_f32 v27, |v26|, v27, |v26|
; %bb.57:                               ;   in Loop: Header=BB465_9 Depth=1
	s_or_b64 exec, exec, s[14:15]
	v_bfi_b32 v21, s38, v24, v21
	v_add_f32_e32 v8, v8, v12
	v_mul_f32_e32 v20, 0.5, v20
	v_add_f32_e32 v21, 1.0, v21
	v_add_f32_e32 v18, v18, v22
	v_bfi_b32 v22, s38, v27, v26
	v_mul_f32_e32 v12, 0x3f3504f3, v8
	v_mul_f32_e32 v20, v20, v21
	v_add_f32_e32 v19, v19, v23
	v_mul_f32_e32 v21, 0.5, v25
	v_add_f32_e32 v22, 1.0, v22
	v_cmp_nlt_f32_e64 s[14:15], |v12|, 1.0
	v_mul_f32_e32 v21, v21, v22
	;;#ASMSTART
	v_pk_mul_f32 v[18:19], v[20:21], v[18:19]
	;;#ASMEND
                                        ; implicit-def: $vgpr20
	s_and_saveexec_b64 s[40:41], s[14:15]
	s_xor_b64 s[14:15], exec, s[40:41]
	s_cbranch_execz .LBB465_59
; %bb.58:                               ;   in Loop: Header=BB465_9 Depth=1
	v_fma_f32 v20, |v12|, s28, v67
	v_fma_f32 v20, |v12|, v20, s29
	;; [unrolled: 1-line block ×6, first 2 shown]
	v_fma_f32 v20, |v12|, v20, |v12|
	v_mul_f32_e32 v21, 0xbfb8aa3b, v20
	v_fma_f32 v22, v20, s35, -v21
	v_rndne_f32_e32 v23, v21
	v_fmac_f32_e32 v22, 0xb2a5705f, v20
	v_sub_f32_e32 v21, v21, v23
	v_add_f32_e32 v21, v21, v22
	v_cvt_i32_f32_e32 v22, v23
	v_exp_f32_e32 v21, v21
	v_cmp_nlt_f32_e32 vcc, s36, v20
	v_ldexp_f32 v21, v21, v22
	s_nop 0
	v_cndmask_b32_e32 v21, 0, v21, vcc
	v_cmp_ngt_f32_e32 vcc, s37, v20
	s_nop 1
	v_cndmask_b32_e32 v20, v68, v21, vcc
	v_sub_f32_e32 v20, 1.0, v20
.LBB465_59:                             ;   in Loop: Header=BB465_9 Depth=1
	s_andn2_saveexec_b64 s[14:15], s[14:15]
; %bb.60:                               ;   in Loop: Header=BB465_9 Depth=1
	v_mul_f32_e32 v20, v12, v12
	v_fmamk_f32 v21, v20, 0xba1345e1, v66
	v_fmaak_f32 v21, v20, v21, 0xbcdac9b8
	v_fmaak_f32 v21, v20, v21, 0x3de703be
	;; [unrolled: 1-line block ×4, first 2 shown]
	v_fma_f32 v20, |v12|, v20, |v12|
; %bb.61:                               ;   in Loop: Header=BB465_9 Depth=1
	s_or_b64 exec, exec, s[14:15]
	v_add_f32_e32 v9, v9, v13
	v_mul_f32_e32 v13, 0x3f3504f3, v9
	v_cmp_nlt_f32_e64 s[14:15], |v13|, 1.0
                                        ; implicit-def: $vgpr21
	s_and_saveexec_b64 s[40:41], s[14:15]
	s_xor_b64 s[14:15], exec, s[40:41]
	s_cbranch_execz .LBB465_63
; %bb.62:                               ;   in Loop: Header=BB465_9 Depth=1
	v_fma_f32 v21, |v13|, s28, v67
	v_fma_f32 v21, |v13|, v21, s29
	;; [unrolled: 1-line block ×6, first 2 shown]
	v_fma_f32 v21, |v13|, v21, |v13|
	v_mul_f32_e32 v22, 0xbfb8aa3b, v21
	v_fma_f32 v23, v21, s35, -v22
	v_rndne_f32_e32 v24, v22
	v_fmac_f32_e32 v23, 0xb2a5705f, v21
	v_sub_f32_e32 v22, v22, v24
	v_add_f32_e32 v22, v22, v23
	v_cvt_i32_f32_e32 v23, v24
	v_exp_f32_e32 v22, v22
	v_cmp_nlt_f32_e32 vcc, s36, v21
	v_ldexp_f32 v22, v22, v23
	s_nop 0
	v_cndmask_b32_e32 v22, 0, v22, vcc
	v_cmp_ngt_f32_e32 vcc, s37, v21
	s_nop 1
	v_cndmask_b32_e32 v21, v68, v22, vcc
	v_sub_f32_e32 v21, 1.0, v21
.LBB465_63:                             ;   in Loop: Header=BB465_9 Depth=1
	s_andn2_saveexec_b64 s[14:15], s[14:15]
; %bb.64:                               ;   in Loop: Header=BB465_9 Depth=1
	v_mul_f32_e32 v21, v13, v13
	v_fmamk_f32 v22, v21, 0xba1345e1, v66
	v_fmaak_f32 v22, v21, v22, 0xbcdac9b8
	v_fmaak_f32 v22, v21, v22, 0x3de703be
	;; [unrolled: 1-line block ×4, first 2 shown]
	v_fma_f32 v21, |v13|, v21, |v13|
; %bb.65:                               ;   in Loop: Header=BB465_9 Depth=1
	s_or_b64 exec, exec, s[14:15]
	s_waitcnt vmcnt(0)
	v_add_f32_e32 v1, v1, v5
	v_bfi_b32 v5, s38, v21, v13
	v_add_f32_e32 v0, v0, v4
	v_mul_f32_e32 v4, 0.5, v9
	v_add_f32_e32 v5, 1.0, v5
	v_bfi_b32 v12, s38, v20, v12
	v_mul_f32_e32 v9, v4, v5
	v_add_f32_e32 v4, v10, v14
	v_mul_f32_e32 v8, 0.5, v8
	v_add_f32_e32 v12, 1.0, v12
	v_mul_f32_e32 v5, 0x3f3504f3, v4
	v_mul_f32_e32 v8, v8, v12
	v_cmp_nlt_f32_e64 s[14:15], |v5|, 1.0
	;;#ASMSTART
	v_pk_mul_f32 v[0:1], v[8:9], v[0:1]
	;;#ASMEND
                                        ; implicit-def: $vgpr8
	s_and_saveexec_b64 s[40:41], s[14:15]
	s_xor_b64 s[14:15], exec, s[40:41]
	s_cbranch_execz .LBB465_67
; %bb.66:                               ;   in Loop: Header=BB465_9 Depth=1
	v_fma_f32 v8, |v5|, s28, v67
	v_fma_f32 v8, |v5|, v8, s29
	;; [unrolled: 1-line block ×6, first 2 shown]
	v_fma_f32 v8, |v5|, v8, |v5|
	v_mul_f32_e32 v9, 0xbfb8aa3b, v8
	v_fma_f32 v10, v8, s35, -v9
	v_rndne_f32_e32 v12, v9
	v_fmac_f32_e32 v10, 0xb2a5705f, v8
	v_sub_f32_e32 v9, v9, v12
	v_add_f32_e32 v9, v9, v10
	v_cvt_i32_f32_e32 v10, v12
	v_exp_f32_e32 v9, v9
	v_cmp_nlt_f32_e32 vcc, s36, v8
	v_ldexp_f32 v9, v9, v10
	s_nop 0
	v_cndmask_b32_e32 v9, 0, v9, vcc
	v_cmp_ngt_f32_e32 vcc, s37, v8
	s_nop 1
	v_cndmask_b32_e32 v8, v68, v9, vcc
	v_sub_f32_e32 v8, 1.0, v8
.LBB465_67:                             ;   in Loop: Header=BB465_9 Depth=1
	s_andn2_saveexec_b64 s[14:15], s[14:15]
; %bb.68:                               ;   in Loop: Header=BB465_9 Depth=1
	v_mul_f32_e32 v8, v5, v5
	v_fmamk_f32 v9, v8, 0xba1345e1, v66
	v_fmaak_f32 v9, v8, v9, 0xbcdac9b8
	v_fmaak_f32 v9, v8, v9, 0x3de703be
	v_fmaak_f32 v9, v8, v9, 0xbec09330
	v_fmaak_f32 v8, v8, v9, 0x3e0375d0
	v_fma_f32 v8, |v5|, v8, |v5|
; %bb.69:                               ;   in Loop: Header=BB465_9 Depth=1
	s_or_b64 exec, exec, s[14:15]
	v_add_f32_e32 v9, v11, v15
	v_mul_f32_e32 v10, 0x3f3504f3, v9
	v_cmp_nlt_f32_e64 s[14:15], |v10|, 1.0
                                        ; implicit-def: $vgpr11
	s_and_saveexec_b64 s[40:41], s[14:15]
	s_xor_b64 s[14:15], exec, s[40:41]
	s_cbranch_execz .LBB465_71
; %bb.70:                               ;   in Loop: Header=BB465_9 Depth=1
	v_fma_f32 v11, |v10|, s28, v67
	v_fma_f32 v11, |v10|, v11, s29
	;; [unrolled: 1-line block ×6, first 2 shown]
	v_fma_f32 v11, |v10|, v11, |v10|
	v_mul_f32_e32 v12, 0xbfb8aa3b, v11
	v_fma_f32 v13, v11, s35, -v12
	v_rndne_f32_e32 v14, v12
	v_fmac_f32_e32 v13, 0xb2a5705f, v11
	v_sub_f32_e32 v12, v12, v14
	v_add_f32_e32 v12, v12, v13
	v_cvt_i32_f32_e32 v13, v14
	v_exp_f32_e32 v12, v12
	v_cmp_nlt_f32_e32 vcc, s36, v11
	v_ldexp_f32 v12, v12, v13
	s_nop 0
	v_cndmask_b32_e32 v12, 0, v12, vcc
	v_cmp_ngt_f32_e32 vcc, s37, v11
	s_nop 1
	v_cndmask_b32_e32 v11, v68, v12, vcc
	v_sub_f32_e32 v11, 1.0, v11
.LBB465_71:                             ;   in Loop: Header=BB465_9 Depth=1
	s_andn2_saveexec_b64 s[14:15], s[14:15]
	s_cbranch_execz .LBB465_8
; %bb.72:                               ;   in Loop: Header=BB465_9 Depth=1
	v_mul_f32_e32 v11, v10, v10
	v_fmamk_f32 v12, v11, 0xba1345e1, v66
	v_fmaak_f32 v12, v11, v12, 0xbcdac9b8
	v_fmaak_f32 v12, v11, v12, 0x3de703be
	;; [unrolled: 1-line block ×4, first 2 shown]
	v_fma_f32 v11, |v10|, v11, |v10|
	s_branch .LBB465_8
.LBB465_73:
	s_endpgm
	.section	.rodata,"a",@progbits
	.p2align	6, 0x0
	.amdhsa_kernel _ZN5aiter23act_and_mul_bias_kernelIfDF16_lfTnPFfRKT2_EXadL_ZNS_11gelu_kernelIfEEfRKT_EELi16EEEvPT0_PS8_PKT1_PS2_il
		.amdhsa_group_segment_fixed_size 0
		.amdhsa_private_segment_fixed_size 0
		.amdhsa_kernarg_size 304
		.amdhsa_user_sgpr_count 2
		.amdhsa_user_sgpr_dispatch_ptr 0
		.amdhsa_user_sgpr_queue_ptr 0
		.amdhsa_user_sgpr_kernarg_segment_ptr 1
		.amdhsa_user_sgpr_dispatch_id 0
		.amdhsa_user_sgpr_kernarg_preload_length 0
		.amdhsa_user_sgpr_kernarg_preload_offset 0
		.amdhsa_user_sgpr_private_segment_size 0
		.amdhsa_uses_dynamic_stack 0
		.amdhsa_enable_private_segment 0
		.amdhsa_system_sgpr_workgroup_id_x 1
		.amdhsa_system_sgpr_workgroup_id_y 0
		.amdhsa_system_sgpr_workgroup_id_z 0
		.amdhsa_system_sgpr_workgroup_info 0
		.amdhsa_system_vgpr_workitem_id 0
		.amdhsa_next_free_vgpr 74
		.amdhsa_next_free_sgpr 42
		.amdhsa_accum_offset 76
		.amdhsa_reserve_vcc 1
		.amdhsa_float_round_mode_32 0
		.amdhsa_float_round_mode_16_64 0
		.amdhsa_float_denorm_mode_32 3
		.amdhsa_float_denorm_mode_16_64 3
		.amdhsa_dx10_clamp 1
		.amdhsa_ieee_mode 1
		.amdhsa_fp16_overflow 0
		.amdhsa_tg_split 0
		.amdhsa_exception_fp_ieee_invalid_op 0
		.amdhsa_exception_fp_denorm_src 0
		.amdhsa_exception_fp_ieee_div_zero 0
		.amdhsa_exception_fp_ieee_overflow 0
		.amdhsa_exception_fp_ieee_underflow 0
		.amdhsa_exception_fp_ieee_inexact 0
		.amdhsa_exception_int_div_zero 0
	.end_amdhsa_kernel
	.section	.text._ZN5aiter23act_and_mul_bias_kernelIfDF16_lfTnPFfRKT2_EXadL_ZNS_11gelu_kernelIfEEfRKT_EELi16EEEvPT0_PS8_PKT1_PS2_il,"axG",@progbits,_ZN5aiter23act_and_mul_bias_kernelIfDF16_lfTnPFfRKT2_EXadL_ZNS_11gelu_kernelIfEEfRKT_EELi16EEEvPT0_PS8_PKT1_PS2_il,comdat
.Lfunc_end465:
	.size	_ZN5aiter23act_and_mul_bias_kernelIfDF16_lfTnPFfRKT2_EXadL_ZNS_11gelu_kernelIfEEfRKT_EELi16EEEvPT0_PS8_PKT1_PS2_il, .Lfunc_end465-_ZN5aiter23act_and_mul_bias_kernelIfDF16_lfTnPFfRKT2_EXadL_ZNS_11gelu_kernelIfEEfRKT_EELi16EEEvPT0_PS8_PKT1_PS2_il
                                        ; -- End function
	.section	.AMDGPU.csdata,"",@progbits
; Kernel info:
; codeLenInByte = 5088
; NumSgprs: 48
; NumVgprs: 74
; NumAgprs: 0
; TotalNumVgprs: 74
; ScratchSize: 0
; MemoryBound: 0
; FloatMode: 240
; IeeeMode: 1
; LDSByteSize: 0 bytes/workgroup (compile time only)
; SGPRBlocks: 5
; VGPRBlocks: 9
; NumSGPRsForWavesPerEU: 48
; NumVGPRsForWavesPerEU: 74
; AccumOffset: 76
; Occupancy: 6
; WaveLimiterHint : 0
; COMPUTE_PGM_RSRC2:SCRATCH_EN: 0
; COMPUTE_PGM_RSRC2:USER_SGPR: 2
; COMPUTE_PGM_RSRC2:TRAP_HANDLER: 0
; COMPUTE_PGM_RSRC2:TGID_X_EN: 1
; COMPUTE_PGM_RSRC2:TGID_Y_EN: 0
; COMPUTE_PGM_RSRC2:TGID_Z_EN: 0
; COMPUTE_PGM_RSRC2:TIDIG_COMP_CNT: 0
; COMPUTE_PGM_RSRC3_GFX90A:ACCUM_OFFSET: 18
; COMPUTE_PGM_RSRC3_GFX90A:TG_SPLIT: 0
	.section	.text._ZN5aiter23act_and_mul_bias_kernelIfDF16_lfTnPFfRKT2_EXadL_ZNS_11gelu_kernelIfEEfRKT_EELi8EEEvPT0_PS8_PKT1_PS2_il,"axG",@progbits,_ZN5aiter23act_and_mul_bias_kernelIfDF16_lfTnPFfRKT2_EXadL_ZNS_11gelu_kernelIfEEfRKT_EELi8EEEvPT0_PS8_PKT1_PS2_il,comdat
	.protected	_ZN5aiter23act_and_mul_bias_kernelIfDF16_lfTnPFfRKT2_EXadL_ZNS_11gelu_kernelIfEEfRKT_EELi8EEEvPT0_PS8_PKT1_PS2_il ; -- Begin function _ZN5aiter23act_and_mul_bias_kernelIfDF16_lfTnPFfRKT2_EXadL_ZNS_11gelu_kernelIfEEfRKT_EELi8EEEvPT0_PS8_PKT1_PS2_il
	.globl	_ZN5aiter23act_and_mul_bias_kernelIfDF16_lfTnPFfRKT2_EXadL_ZNS_11gelu_kernelIfEEfRKT_EELi8EEEvPT0_PS8_PKT1_PS2_il
	.p2align	8
	.type	_ZN5aiter23act_and_mul_bias_kernelIfDF16_lfTnPFfRKT2_EXadL_ZNS_11gelu_kernelIfEEfRKT_EELi8EEEvPT0_PS8_PKT1_PS2_il,@function
_ZN5aiter23act_and_mul_bias_kernelIfDF16_lfTnPFfRKT2_EXadL_ZNS_11gelu_kernelIfEEfRKT_EELi8EEEvPT0_PS8_PKT1_PS2_il: ; @_ZN5aiter23act_and_mul_bias_kernelIfDF16_lfTnPFfRKT2_EXadL_ZNS_11gelu_kernelIfEEfRKT_EELi8EEEvPT0_PS8_PKT1_PS2_il
; %bb.0:
	s_load_dwordx2 s[4:5], s[0:1], 0x0
	s_load_dwordx2 s[6:7], s[0:1], 0x10
	s_load_dword s24, s[0:1], 0x20
	s_load_dwordx2 s[12:13], s[0:1], 0x28
	s_mov_b32 s3, 0
	s_lshl_b64 s[8:9], s[2:3], 3
	s_waitcnt lgkmcnt(0)
	s_add_u32 s6, s6, s8
	s_addc_u32 s7, s7, s9
	s_ashr_i32 s25, s24, 31
	s_load_dwordx2 s[8:9], s[6:7], 0x0
	s_mul_hi_u32 s3, s24, s2
	s_mul_i32 s6, s25, s2
	s_add_i32 s7, s3, s6
	s_mul_i32 s6, s24, s2
	s_lshl_b64 s[6:7], s[6:7], 1
	s_add_u32 s4, s4, s6
	s_addc_u32 s3, s5, s7
	s_add_i32 s5, s24, 1
	s_lshr_b32 s6, s5, 31
	v_mov_b64_e32 v[2:3], s[12:13]
	s_add_i32 s5, s5, s6
	s_waitcnt lgkmcnt(0)
	v_cmp_gt_i64_e64 s[14:15], s[8:9], -1
	v_cmp_lt_i64_e32 vcc, s[8:9], v[2:3]
	s_lshl_b32 s5, s5, 1
	s_and_b64 s[12:13], s[14:15], vcc
	s_and_b32 s6, s5, -4
	s_and_b32 s5, s3, 0xffff
	s_mov_b64 s[10:11], -1
	s_and_b64 vcc, exec, s[12:13]
	v_lshlrev_b32_e32 v32, 3, v0
	s_cbranch_vccnz .LBB466_5
; %bb.1:
	v_cmp_gt_i32_e32 vcc, s24, v32
	s_and_saveexec_b64 s[10:11], vcc
	s_cbranch_execz .LBB466_4
; %bb.2:
	s_load_dword s3, s[0:1], 0x3c
	v_mov_b32_e32 v33, 0
	s_mov_b32 s13, 0
	v_lshlrev_b32_e32 v6, 4, v0
	s_mov_b64 s[14:15], 0
	s_waitcnt lgkmcnt(0)
	s_and_b32 s3, s3, 0xffff
	s_lshl_b32 s12, s3, 3
	s_lshl_b32 s3, s3, 4
	s_mov_b32 s7, 0x20000
	v_mov_b32_e32 v0, v33
	v_mov_b32_e32 v1, v33
	;; [unrolled: 1-line block ×4, first 2 shown]
	v_mov_b64_e32 v[4:5], v[32:33]
.LBB466_3:                              ; =>This Inner Loop Header: Depth=1
	v_lshl_add_u64 v[4:5], s[12:13], 0, v[4:5]
	v_cmp_le_i64_e32 vcc, s[24:25], v[4:5]
	buffer_store_dwordx4 v[0:3], v6, s[4:7], 0 offen
	s_or_b64 s[14:15], vcc, s[14:15]
	v_add_u32_e32 v6, s3, v6
	s_andn2_b64 exec, exec, s[14:15]
	s_cbranch_execnz .LBB466_3
.LBB466_4:
	s_or_b64 exec, exec, s[10:11]
	s_mov_b64 s[10:11], 0
.LBB466_5:
	s_andn2_b64 vcc, exec, s[10:11]
	s_cbranch_vccnz .LBB466_41
; %bb.6:
	v_cmp_gt_i32_e32 vcc, s24, v32
	s_and_saveexec_b64 s[10:11], vcc
	s_cbranch_execz .LBB466_41
; %bb.7:
	s_load_dwordx2 s[14:15], s[0:1], 0x8
	s_load_dwordx2 s[12:13], s[0:1], 0x18
	s_mul_i32 s3, s24, s9
	s_mul_hi_u32 s7, s24, s8
	s_add_i32 s3, s7, s3
	s_mul_i32 s7, s25, s8
	s_add_i32 s9, s3, s7
	s_mul_i32 s8, s24, s8
	s_lshl_b32 s10, s24, 2
	s_lshl_b64 s[8:9], s[8:9], 3
	s_waitcnt lgkmcnt(0)
	s_add_u32 s8, s12, s8
	s_addc_u32 s3, s13, s9
	s_lshl_b64 s[18:19], s[24:25], 2
	s_add_u32 s12, s8, s18
	s_addc_u32 s13, s3, s19
	s_and_b32 s9, s3, 0xffff
	s_mul_i32 s3, s2, s25
	s_mul_hi_u32 s16, s2, s24
	s_add_i32 s3, s16, s3
	s_mul_i32 s2, s2, s24
	s_and_b32 s13, s13, 0xffff
	s_lshl_b64 s[2:3], s[2:3], 3
	s_add_u32 s16, s14, s2
	s_addc_u32 s2, s15, s3
	s_add_u32 s20, s16, s18
	s_addc_u32 s3, s2, s19
	s_and_b32 s17, s2, 0xffff
	s_and_b32 s21, s3, 0xffff
	s_mov_b32 s7, 0x20000
	s_add_u32 s0, s0, 48
	s_mov_b32 s11, s7
	v_mov_b32_e32 v33, 0
	s_addc_u32 s1, s1, 0
	s_mov_b64 s[2:3], 0
	s_mov_b32 s18, s10
	s_mov_b32 s19, s7
	;; [unrolled: 1-line block ×12, first 2 shown]
	v_mov_b32_e32 v34, 0x3ba10414
	s_brev_b32 s38, -2
	s_mov_b32 s22, s10
	s_mov_b32 s23, s7
	v_mov_b32_e32 v35, 0xb9c68948
	v_mov_b32_e32 v36, 0x7f800000
                                        ; implicit-def: $vgpr0
                                        ; implicit-def: $vgpr0
	;; [unrolled: 1-line block ×4, first 2 shown]
	s_branch .LBB466_9
.LBB466_8:                              ;   in Loop: Header=BB466_9 Depth=1
	s_or_b64 exec, exec, s[14:15]
	v_bfi_b32 v5, s38, v8, v5
	v_mul_f32_e32 v4, 0.5, v4
	v_add_f32_e32 v5, 1.0, v5
	v_add_f32_e32 v2, v2, v6
	v_bfi_b32 v6, s38, v11, v10
	v_mul_f32_e32 v4, v4, v5
	v_add_f32_e32 v3, v3, v7
	v_mul_f32_e32 v5, 0.5, v9
	v_add_f32_e32 v6, 1.0, v6
	v_mul_f32_e32 v5, v5, v6
	;;#ASMSTART
	v_pk_mul_f32 v[2:3], v[4:5], v[2:3]
	;;#ASMEND
	s_load_dword s14, s[0:1], 0xc
	v_cvt_f16_f32_e32 v12, v18
	v_cvt_f16_f32_e32 v2, v2
	;; [unrolled: 1-line block ×8, first 2 shown]
	s_waitcnt lgkmcnt(0)
	s_and_b32 s14, s14, 0xffff
	s_lshl_b32 s26, s14, 3
	v_pack_b32_f16 v3, v2, v3
	v_pack_b32_f16 v2, v0, v1
	;; [unrolled: 1-line block ×3, first 2 shown]
	v_lshlrev_b32_e32 v4, 1, v32
	v_lshl_add_u64 v[32:33], s[26:27], 0, v[32:33]
	v_cmp_le_i64_e32 vcc, s[24:25], v[32:33]
	v_pack_b32_f16 v0, v7, v8
	s_or_b64 s[2:3], vcc, s[2:3]
	buffer_store_dwordx4 v[0:3], v4, s[4:7], 0 offen
	s_andn2_b64 exec, exec, s[2:3]
	s_cbranch_execz .LBB466_41
.LBB466_9:                              ; =>This Inner Loop Header: Depth=1
	v_lshlrev_b32_e32 v37, 2, v32
	buffer_load_dwordx4 v[24:27], v37, s[16:19], 0 offen
	buffer_load_dwordx4 v[8:11], v37, s[16:19], 16 offen
	;; [unrolled: 1-line block ×6, first 2 shown]
	s_mov_b32 s14, s10
	s_mov_b32 s15, s11
	buffer_load_dwordx4 v[20:23], v37, s[12:15], 0 offen
	buffer_load_dwordx4 v[4:7], v37, s[12:15], 16 offen
                                        ; implicit-def: $vgpr37
	s_waitcnt vmcnt(3)
	v_add_f32_e32 v24, v24, v28
	v_mul_f32_e32 v28, 0x3f3504f3, v24
	v_cmp_nlt_f32_e64 s[14:15], |v28|, 1.0
	s_and_saveexec_b64 s[40:41], s[14:15]
	s_xor_b64 s[14:15], exec, s[40:41]
	s_cbranch_execz .LBB466_11
; %bb.10:                               ;   in Loop: Header=BB466_9 Depth=1
	v_fma_f32 v37, |v28|, s28, v35
	v_fma_f32 v37, |v28|, v37, s29
	;; [unrolled: 1-line block ×6, first 2 shown]
	v_fma_f32 v37, |v28|, v37, |v28|
	v_mul_f32_e32 v38, 0xbfb8aa3b, v37
	v_fma_f32 v39, v37, s35, -v38
	v_rndne_f32_e32 v40, v38
	v_fmac_f32_e32 v39, 0xb2a5705f, v37
	v_sub_f32_e32 v38, v38, v40
	v_add_f32_e32 v38, v38, v39
	v_cvt_i32_f32_e32 v39, v40
	v_exp_f32_e32 v38, v38
	v_cmp_nlt_f32_e32 vcc, s36, v37
	v_ldexp_f32 v38, v38, v39
	s_nop 0
	v_cndmask_b32_e32 v38, 0, v38, vcc
	v_cmp_ngt_f32_e32 vcc, s37, v37
	s_nop 1
	v_cndmask_b32_e32 v37, v36, v38, vcc
	v_sub_f32_e32 v37, 1.0, v37
.LBB466_11:                             ;   in Loop: Header=BB466_9 Depth=1
	s_andn2_saveexec_b64 s[14:15], s[14:15]
; %bb.12:                               ;   in Loop: Header=BB466_9 Depth=1
	v_mul_f32_e32 v37, v28, v28
	v_fmamk_f32 v38, v37, 0xba1345e1, v34
	v_fmaak_f32 v38, v37, v38, 0xbcdac9b8
	v_fmaak_f32 v38, v37, v38, 0x3de703be
	;; [unrolled: 1-line block ×4, first 2 shown]
	v_fma_f32 v37, |v28|, v37, |v28|
; %bb.13:                               ;   in Loop: Header=BB466_9 Depth=1
	s_or_b64 exec, exec, s[14:15]
	v_add_f32_e32 v25, v25, v29
	v_mul_f32_e32 v29, 0x3f3504f3, v25
	v_cmp_nlt_f32_e64 s[14:15], |v29|, 1.0
                                        ; implicit-def: $vgpr38
	s_and_saveexec_b64 s[40:41], s[14:15]
	s_xor_b64 s[14:15], exec, s[40:41]
	s_cbranch_execz .LBB466_15
; %bb.14:                               ;   in Loop: Header=BB466_9 Depth=1
	v_fma_f32 v38, |v29|, s28, v35
	v_fma_f32 v38, |v29|, v38, s29
	;; [unrolled: 1-line block ×6, first 2 shown]
	v_fma_f32 v38, |v29|, v38, |v29|
	v_mul_f32_e32 v39, 0xbfb8aa3b, v38
	v_fma_f32 v40, v38, s35, -v39
	v_rndne_f32_e32 v41, v39
	v_fmac_f32_e32 v40, 0xb2a5705f, v38
	v_sub_f32_e32 v39, v39, v41
	v_add_f32_e32 v39, v39, v40
	v_cvt_i32_f32_e32 v40, v41
	v_exp_f32_e32 v39, v39
	v_cmp_nlt_f32_e32 vcc, s36, v38
	v_ldexp_f32 v39, v39, v40
	s_nop 0
	v_cndmask_b32_e32 v39, 0, v39, vcc
	v_cmp_ngt_f32_e32 vcc, s37, v38
	s_nop 1
	v_cndmask_b32_e32 v38, v36, v39, vcc
	v_sub_f32_e32 v38, 1.0, v38
.LBB466_15:                             ;   in Loop: Header=BB466_9 Depth=1
	s_andn2_saveexec_b64 s[14:15], s[14:15]
; %bb.16:                               ;   in Loop: Header=BB466_9 Depth=1
	v_mul_f32_e32 v38, v29, v29
	v_fmamk_f32 v39, v38, 0xba1345e1, v34
	v_fmaak_f32 v39, v38, v39, 0xbcdac9b8
	v_fmaak_f32 v39, v38, v39, 0x3de703be
	;; [unrolled: 1-line block ×4, first 2 shown]
	v_fma_f32 v38, |v29|, v38, |v29|
; %bb.17:                               ;   in Loop: Header=BB466_9 Depth=1
	s_or_b64 exec, exec, s[14:15]
	s_waitcnt vmcnt(1)
	v_add_f32_e32 v17, v17, v21
	v_bfi_b32 v21, s38, v38, v29
	v_add_f32_e32 v16, v16, v20
	v_mul_f32_e32 v20, 0.5, v25
	v_add_f32_e32 v21, 1.0, v21
	v_bfi_b32 v28, s38, v37, v28
	v_mul_f32_e32 v25, v20, v21
	v_add_f32_e32 v20, v26, v30
	v_mul_f32_e32 v24, 0.5, v24
	v_add_f32_e32 v28, 1.0, v28
	v_mul_f32_e32 v21, 0x3f3504f3, v20
	v_mul_f32_e32 v24, v24, v28
	v_cmp_nlt_f32_e64 s[14:15], |v21|, 1.0
	;;#ASMSTART
	v_pk_mul_f32 v[16:17], v[24:25], v[16:17]
	;;#ASMEND
                                        ; implicit-def: $vgpr24
	s_and_saveexec_b64 s[40:41], s[14:15]
	s_xor_b64 s[14:15], exec, s[40:41]
	s_cbranch_execz .LBB466_19
; %bb.18:                               ;   in Loop: Header=BB466_9 Depth=1
	v_fma_f32 v24, |v21|, s28, v35
	v_fma_f32 v24, |v21|, v24, s29
	;; [unrolled: 1-line block ×6, first 2 shown]
	v_fma_f32 v24, |v21|, v24, |v21|
	v_mul_f32_e32 v25, 0xbfb8aa3b, v24
	v_fma_f32 v26, v24, s35, -v25
	v_rndne_f32_e32 v28, v25
	v_fmac_f32_e32 v26, 0xb2a5705f, v24
	v_sub_f32_e32 v25, v25, v28
	v_add_f32_e32 v25, v25, v26
	v_cvt_i32_f32_e32 v26, v28
	v_exp_f32_e32 v25, v25
	v_cmp_nlt_f32_e32 vcc, s36, v24
	v_ldexp_f32 v25, v25, v26
	s_nop 0
	v_cndmask_b32_e32 v25, 0, v25, vcc
	v_cmp_ngt_f32_e32 vcc, s37, v24
	s_nop 1
	v_cndmask_b32_e32 v24, v36, v25, vcc
	v_sub_f32_e32 v24, 1.0, v24
.LBB466_19:                             ;   in Loop: Header=BB466_9 Depth=1
	s_andn2_saveexec_b64 s[14:15], s[14:15]
; %bb.20:                               ;   in Loop: Header=BB466_9 Depth=1
	v_mul_f32_e32 v24, v21, v21
	v_fmamk_f32 v25, v24, 0xba1345e1, v34
	v_fmaak_f32 v25, v24, v25, 0xbcdac9b8
	v_fmaak_f32 v25, v24, v25, 0x3de703be
	;; [unrolled: 1-line block ×4, first 2 shown]
	v_fma_f32 v24, |v21|, v24, |v21|
; %bb.21:                               ;   in Loop: Header=BB466_9 Depth=1
	s_or_b64 exec, exec, s[14:15]
	v_add_f32_e32 v25, v27, v31
	v_mul_f32_e32 v26, 0x3f3504f3, v25
	v_cmp_nlt_f32_e64 s[14:15], |v26|, 1.0
                                        ; implicit-def: $vgpr27
	s_and_saveexec_b64 s[40:41], s[14:15]
	s_xor_b64 s[14:15], exec, s[40:41]
	s_cbranch_execz .LBB466_23
; %bb.22:                               ;   in Loop: Header=BB466_9 Depth=1
	v_fma_f32 v27, |v26|, s28, v35
	v_fma_f32 v27, |v26|, v27, s29
	;; [unrolled: 1-line block ×6, first 2 shown]
	v_fma_f32 v27, |v26|, v27, |v26|
	v_mul_f32_e32 v28, 0xbfb8aa3b, v27
	v_fma_f32 v29, v27, s35, -v28
	v_rndne_f32_e32 v30, v28
	v_fmac_f32_e32 v29, 0xb2a5705f, v27
	v_sub_f32_e32 v28, v28, v30
	v_add_f32_e32 v28, v28, v29
	v_cvt_i32_f32_e32 v29, v30
	v_exp_f32_e32 v28, v28
	v_cmp_nlt_f32_e32 vcc, s36, v27
	v_ldexp_f32 v28, v28, v29
	s_nop 0
	v_cndmask_b32_e32 v28, 0, v28, vcc
	v_cmp_ngt_f32_e32 vcc, s37, v27
	s_nop 1
	v_cndmask_b32_e32 v27, v36, v28, vcc
	v_sub_f32_e32 v27, 1.0, v27
.LBB466_23:                             ;   in Loop: Header=BB466_9 Depth=1
	s_andn2_saveexec_b64 s[14:15], s[14:15]
; %bb.24:                               ;   in Loop: Header=BB466_9 Depth=1
	v_mul_f32_e32 v27, v26, v26
	v_fmamk_f32 v28, v27, 0xba1345e1, v34
	v_fmaak_f32 v28, v27, v28, 0xbcdac9b8
	v_fmaak_f32 v28, v27, v28, 0x3de703be
	;; [unrolled: 1-line block ×4, first 2 shown]
	v_fma_f32 v27, |v26|, v27, |v26|
; %bb.25:                               ;   in Loop: Header=BB466_9 Depth=1
	s_or_b64 exec, exec, s[14:15]
	v_bfi_b32 v21, s38, v24, v21
	v_add_f32_e32 v8, v8, v12
	v_mul_f32_e32 v20, 0.5, v20
	v_add_f32_e32 v21, 1.0, v21
	v_add_f32_e32 v18, v18, v22
	v_bfi_b32 v22, s38, v27, v26
	v_mul_f32_e32 v12, 0x3f3504f3, v8
	v_mul_f32_e32 v20, v20, v21
	v_add_f32_e32 v19, v19, v23
	v_mul_f32_e32 v21, 0.5, v25
	v_add_f32_e32 v22, 1.0, v22
	v_cmp_nlt_f32_e64 s[14:15], |v12|, 1.0
	v_mul_f32_e32 v21, v21, v22
	;;#ASMSTART
	v_pk_mul_f32 v[18:19], v[20:21], v[18:19]
	;;#ASMEND
                                        ; implicit-def: $vgpr20
	s_and_saveexec_b64 s[40:41], s[14:15]
	s_xor_b64 s[14:15], exec, s[40:41]
	s_cbranch_execz .LBB466_27
; %bb.26:                               ;   in Loop: Header=BB466_9 Depth=1
	v_fma_f32 v20, |v12|, s28, v35
	v_fma_f32 v20, |v12|, v20, s29
	;; [unrolled: 1-line block ×6, first 2 shown]
	v_fma_f32 v20, |v12|, v20, |v12|
	v_mul_f32_e32 v21, 0xbfb8aa3b, v20
	v_fma_f32 v22, v20, s35, -v21
	v_rndne_f32_e32 v23, v21
	v_fmac_f32_e32 v22, 0xb2a5705f, v20
	v_sub_f32_e32 v21, v21, v23
	v_add_f32_e32 v21, v21, v22
	v_cvt_i32_f32_e32 v22, v23
	v_exp_f32_e32 v21, v21
	v_cmp_nlt_f32_e32 vcc, s36, v20
	v_ldexp_f32 v21, v21, v22
	s_nop 0
	v_cndmask_b32_e32 v21, 0, v21, vcc
	v_cmp_ngt_f32_e32 vcc, s37, v20
	s_nop 1
	v_cndmask_b32_e32 v20, v36, v21, vcc
	v_sub_f32_e32 v20, 1.0, v20
.LBB466_27:                             ;   in Loop: Header=BB466_9 Depth=1
	s_andn2_saveexec_b64 s[14:15], s[14:15]
; %bb.28:                               ;   in Loop: Header=BB466_9 Depth=1
	v_mul_f32_e32 v20, v12, v12
	v_fmamk_f32 v21, v20, 0xba1345e1, v34
	v_fmaak_f32 v21, v20, v21, 0xbcdac9b8
	v_fmaak_f32 v21, v20, v21, 0x3de703be
	;; [unrolled: 1-line block ×4, first 2 shown]
	v_fma_f32 v20, |v12|, v20, |v12|
; %bb.29:                               ;   in Loop: Header=BB466_9 Depth=1
	s_or_b64 exec, exec, s[14:15]
	v_add_f32_e32 v9, v9, v13
	v_mul_f32_e32 v13, 0x3f3504f3, v9
	v_cmp_nlt_f32_e64 s[14:15], |v13|, 1.0
                                        ; implicit-def: $vgpr21
	s_and_saveexec_b64 s[40:41], s[14:15]
	s_xor_b64 s[14:15], exec, s[40:41]
	s_cbranch_execz .LBB466_31
; %bb.30:                               ;   in Loop: Header=BB466_9 Depth=1
	v_fma_f32 v21, |v13|, s28, v35
	v_fma_f32 v21, |v13|, v21, s29
	;; [unrolled: 1-line block ×6, first 2 shown]
	v_fma_f32 v21, |v13|, v21, |v13|
	v_mul_f32_e32 v22, 0xbfb8aa3b, v21
	v_fma_f32 v23, v21, s35, -v22
	v_rndne_f32_e32 v24, v22
	v_fmac_f32_e32 v23, 0xb2a5705f, v21
	v_sub_f32_e32 v22, v22, v24
	v_add_f32_e32 v22, v22, v23
	v_cvt_i32_f32_e32 v23, v24
	v_exp_f32_e32 v22, v22
	v_cmp_nlt_f32_e32 vcc, s36, v21
	v_ldexp_f32 v22, v22, v23
	s_nop 0
	v_cndmask_b32_e32 v22, 0, v22, vcc
	v_cmp_ngt_f32_e32 vcc, s37, v21
	s_nop 1
	v_cndmask_b32_e32 v21, v36, v22, vcc
	v_sub_f32_e32 v21, 1.0, v21
.LBB466_31:                             ;   in Loop: Header=BB466_9 Depth=1
	s_andn2_saveexec_b64 s[14:15], s[14:15]
; %bb.32:                               ;   in Loop: Header=BB466_9 Depth=1
	v_mul_f32_e32 v21, v13, v13
	v_fmamk_f32 v22, v21, 0xba1345e1, v34
	v_fmaak_f32 v22, v21, v22, 0xbcdac9b8
	v_fmaak_f32 v22, v21, v22, 0x3de703be
	;; [unrolled: 1-line block ×4, first 2 shown]
	v_fma_f32 v21, |v13|, v21, |v13|
; %bb.33:                               ;   in Loop: Header=BB466_9 Depth=1
	s_or_b64 exec, exec, s[14:15]
	s_waitcnt vmcnt(0)
	v_add_f32_e32 v1, v1, v5
	v_bfi_b32 v5, s38, v21, v13
	v_add_f32_e32 v0, v0, v4
	v_mul_f32_e32 v4, 0.5, v9
	v_add_f32_e32 v5, 1.0, v5
	v_bfi_b32 v12, s38, v20, v12
	v_mul_f32_e32 v9, v4, v5
	v_add_f32_e32 v4, v10, v14
	v_mul_f32_e32 v8, 0.5, v8
	v_add_f32_e32 v12, 1.0, v12
	v_mul_f32_e32 v5, 0x3f3504f3, v4
	v_mul_f32_e32 v8, v8, v12
	v_cmp_nlt_f32_e64 s[14:15], |v5|, 1.0
	;;#ASMSTART
	v_pk_mul_f32 v[0:1], v[8:9], v[0:1]
	;;#ASMEND
                                        ; implicit-def: $vgpr8
	s_and_saveexec_b64 s[40:41], s[14:15]
	s_xor_b64 s[14:15], exec, s[40:41]
	s_cbranch_execz .LBB466_35
; %bb.34:                               ;   in Loop: Header=BB466_9 Depth=1
	v_fma_f32 v8, |v5|, s28, v35
	v_fma_f32 v8, |v5|, v8, s29
	v_fma_f32 v8, |v5|, v8, s30
	v_fma_f32 v8, |v5|, v8, s31
	v_fma_f32 v8, |v5|, v8, s33
	v_fma_f32 v8, |v5|, v8, s34
	v_fma_f32 v8, |v5|, v8, |v5|
	v_mul_f32_e32 v9, 0xbfb8aa3b, v8
	v_fma_f32 v10, v8, s35, -v9
	v_rndne_f32_e32 v12, v9
	v_fmac_f32_e32 v10, 0xb2a5705f, v8
	v_sub_f32_e32 v9, v9, v12
	v_add_f32_e32 v9, v9, v10
	v_cvt_i32_f32_e32 v10, v12
	v_exp_f32_e32 v9, v9
	v_cmp_nlt_f32_e32 vcc, s36, v8
	v_ldexp_f32 v9, v9, v10
	s_nop 0
	v_cndmask_b32_e32 v9, 0, v9, vcc
	v_cmp_ngt_f32_e32 vcc, s37, v8
	s_nop 1
	v_cndmask_b32_e32 v8, v36, v9, vcc
	v_sub_f32_e32 v8, 1.0, v8
.LBB466_35:                             ;   in Loop: Header=BB466_9 Depth=1
	s_andn2_saveexec_b64 s[14:15], s[14:15]
; %bb.36:                               ;   in Loop: Header=BB466_9 Depth=1
	v_mul_f32_e32 v8, v5, v5
	v_fmamk_f32 v9, v8, 0xba1345e1, v34
	v_fmaak_f32 v9, v8, v9, 0xbcdac9b8
	v_fmaak_f32 v9, v8, v9, 0x3de703be
	;; [unrolled: 1-line block ×4, first 2 shown]
	v_fma_f32 v8, |v5|, v8, |v5|
; %bb.37:                               ;   in Loop: Header=BB466_9 Depth=1
	s_or_b64 exec, exec, s[14:15]
	v_add_f32_e32 v9, v11, v15
	v_mul_f32_e32 v10, 0x3f3504f3, v9
	v_cmp_nlt_f32_e64 s[14:15], |v10|, 1.0
                                        ; implicit-def: $vgpr11
	s_and_saveexec_b64 s[40:41], s[14:15]
	s_xor_b64 s[14:15], exec, s[40:41]
	s_cbranch_execz .LBB466_39
; %bb.38:                               ;   in Loop: Header=BB466_9 Depth=1
	v_fma_f32 v11, |v10|, s28, v35
	v_fma_f32 v11, |v10|, v11, s29
	;; [unrolled: 1-line block ×6, first 2 shown]
	v_fma_f32 v11, |v10|, v11, |v10|
	v_mul_f32_e32 v12, 0xbfb8aa3b, v11
	v_fma_f32 v13, v11, s35, -v12
	v_rndne_f32_e32 v14, v12
	v_fmac_f32_e32 v13, 0xb2a5705f, v11
	v_sub_f32_e32 v12, v12, v14
	v_add_f32_e32 v12, v12, v13
	v_cvt_i32_f32_e32 v13, v14
	v_exp_f32_e32 v12, v12
	v_cmp_nlt_f32_e32 vcc, s36, v11
	v_ldexp_f32 v12, v12, v13
	s_nop 0
	v_cndmask_b32_e32 v12, 0, v12, vcc
	v_cmp_ngt_f32_e32 vcc, s37, v11
	s_nop 1
	v_cndmask_b32_e32 v11, v36, v12, vcc
	v_sub_f32_e32 v11, 1.0, v11
.LBB466_39:                             ;   in Loop: Header=BB466_9 Depth=1
	s_andn2_saveexec_b64 s[14:15], s[14:15]
	s_cbranch_execz .LBB466_8
; %bb.40:                               ;   in Loop: Header=BB466_9 Depth=1
	v_mul_f32_e32 v11, v10, v10
	v_fmamk_f32 v12, v11, 0xba1345e1, v34
	v_fmaak_f32 v12, v11, v12, 0xbcdac9b8
	v_fmaak_f32 v12, v11, v12, 0x3de703be
	;; [unrolled: 1-line block ×4, first 2 shown]
	v_fma_f32 v11, |v10|, v11, |v10|
	s_branch .LBB466_8
.LBB466_41:
	s_endpgm
	.section	.rodata,"a",@progbits
	.p2align	6, 0x0
	.amdhsa_kernel _ZN5aiter23act_and_mul_bias_kernelIfDF16_lfTnPFfRKT2_EXadL_ZNS_11gelu_kernelIfEEfRKT_EELi8EEEvPT0_PS8_PKT1_PS2_il
		.amdhsa_group_segment_fixed_size 0
		.amdhsa_private_segment_fixed_size 0
		.amdhsa_kernarg_size 304
		.amdhsa_user_sgpr_count 2
		.amdhsa_user_sgpr_dispatch_ptr 0
		.amdhsa_user_sgpr_queue_ptr 0
		.amdhsa_user_sgpr_kernarg_segment_ptr 1
		.amdhsa_user_sgpr_dispatch_id 0
		.amdhsa_user_sgpr_kernarg_preload_length 0
		.amdhsa_user_sgpr_kernarg_preload_offset 0
		.amdhsa_user_sgpr_private_segment_size 0
		.amdhsa_uses_dynamic_stack 0
		.amdhsa_enable_private_segment 0
		.amdhsa_system_sgpr_workgroup_id_x 1
		.amdhsa_system_sgpr_workgroup_id_y 0
		.amdhsa_system_sgpr_workgroup_id_z 0
		.amdhsa_system_sgpr_workgroup_info 0
		.amdhsa_system_vgpr_workitem_id 0
		.amdhsa_next_free_vgpr 42
		.amdhsa_next_free_sgpr 42
		.amdhsa_accum_offset 44
		.amdhsa_reserve_vcc 1
		.amdhsa_float_round_mode_32 0
		.amdhsa_float_round_mode_16_64 0
		.amdhsa_float_denorm_mode_32 3
		.amdhsa_float_denorm_mode_16_64 3
		.amdhsa_dx10_clamp 1
		.amdhsa_ieee_mode 1
		.amdhsa_fp16_overflow 0
		.amdhsa_tg_split 0
		.amdhsa_exception_fp_ieee_invalid_op 0
		.amdhsa_exception_fp_denorm_src 0
		.amdhsa_exception_fp_ieee_div_zero 0
		.amdhsa_exception_fp_ieee_overflow 0
		.amdhsa_exception_fp_ieee_underflow 0
		.amdhsa_exception_fp_ieee_inexact 0
		.amdhsa_exception_int_div_zero 0
	.end_amdhsa_kernel
	.section	.text._ZN5aiter23act_and_mul_bias_kernelIfDF16_lfTnPFfRKT2_EXadL_ZNS_11gelu_kernelIfEEfRKT_EELi8EEEvPT0_PS8_PKT1_PS2_il,"axG",@progbits,_ZN5aiter23act_and_mul_bias_kernelIfDF16_lfTnPFfRKT2_EXadL_ZNS_11gelu_kernelIfEEfRKT_EELi8EEEvPT0_PS8_PKT1_PS2_il,comdat
.Lfunc_end466:
	.size	_ZN5aiter23act_and_mul_bias_kernelIfDF16_lfTnPFfRKT2_EXadL_ZNS_11gelu_kernelIfEEfRKT_EELi8EEEvPT0_PS8_PKT1_PS2_il, .Lfunc_end466-_ZN5aiter23act_and_mul_bias_kernelIfDF16_lfTnPFfRKT2_EXadL_ZNS_11gelu_kernelIfEEfRKT_EELi8EEEvPT0_PS8_PKT1_PS2_il
                                        ; -- End function
	.section	.AMDGPU.csdata,"",@progbits
; Kernel info:
; codeLenInByte = 2872
; NumSgprs: 48
; NumVgprs: 42
; NumAgprs: 0
; TotalNumVgprs: 42
; ScratchSize: 0
; MemoryBound: 0
; FloatMode: 240
; IeeeMode: 1
; LDSByteSize: 0 bytes/workgroup (compile time only)
; SGPRBlocks: 5
; VGPRBlocks: 5
; NumSGPRsForWavesPerEU: 48
; NumVGPRsForWavesPerEU: 42
; AccumOffset: 44
; Occupancy: 8
; WaveLimiterHint : 0
; COMPUTE_PGM_RSRC2:SCRATCH_EN: 0
; COMPUTE_PGM_RSRC2:USER_SGPR: 2
; COMPUTE_PGM_RSRC2:TRAP_HANDLER: 0
; COMPUTE_PGM_RSRC2:TGID_X_EN: 1
; COMPUTE_PGM_RSRC2:TGID_Y_EN: 0
; COMPUTE_PGM_RSRC2:TGID_Z_EN: 0
; COMPUTE_PGM_RSRC2:TIDIG_COMP_CNT: 0
; COMPUTE_PGM_RSRC3_GFX90A:ACCUM_OFFSET: 10
; COMPUTE_PGM_RSRC3_GFX90A:TG_SPLIT: 0
	.section	.text._ZN5aiter23act_and_mul_bias_kernelIfDF16_lfTnPFfRKT2_EXadL_ZNS_11gelu_kernelIfEEfRKT_EELi4EEEvPT0_PS8_PKT1_PS2_il,"axG",@progbits,_ZN5aiter23act_and_mul_bias_kernelIfDF16_lfTnPFfRKT2_EXadL_ZNS_11gelu_kernelIfEEfRKT_EELi4EEEvPT0_PS8_PKT1_PS2_il,comdat
	.protected	_ZN5aiter23act_and_mul_bias_kernelIfDF16_lfTnPFfRKT2_EXadL_ZNS_11gelu_kernelIfEEfRKT_EELi4EEEvPT0_PS8_PKT1_PS2_il ; -- Begin function _ZN5aiter23act_and_mul_bias_kernelIfDF16_lfTnPFfRKT2_EXadL_ZNS_11gelu_kernelIfEEfRKT_EELi4EEEvPT0_PS8_PKT1_PS2_il
	.globl	_ZN5aiter23act_and_mul_bias_kernelIfDF16_lfTnPFfRKT2_EXadL_ZNS_11gelu_kernelIfEEfRKT_EELi4EEEvPT0_PS8_PKT1_PS2_il
	.p2align	8
	.type	_ZN5aiter23act_and_mul_bias_kernelIfDF16_lfTnPFfRKT2_EXadL_ZNS_11gelu_kernelIfEEfRKT_EELi4EEEvPT0_PS8_PKT1_PS2_il,@function
_ZN5aiter23act_and_mul_bias_kernelIfDF16_lfTnPFfRKT2_EXadL_ZNS_11gelu_kernelIfEEfRKT_EELi4EEEvPT0_PS8_PKT1_PS2_il: ; @_ZN5aiter23act_and_mul_bias_kernelIfDF16_lfTnPFfRKT2_EXadL_ZNS_11gelu_kernelIfEEfRKT_EELi4EEEvPT0_PS8_PKT1_PS2_il
; %bb.0:
	s_load_dwordx2 s[4:5], s[0:1], 0x0
	s_load_dwordx2 s[6:7], s[0:1], 0x10
	s_load_dword s24, s[0:1], 0x20
	s_load_dwordx2 s[12:13], s[0:1], 0x28
	s_mov_b32 s3, 0
	s_lshl_b64 s[8:9], s[2:3], 3
	s_waitcnt lgkmcnt(0)
	s_add_u32 s6, s6, s8
	s_addc_u32 s7, s7, s9
	s_ashr_i32 s25, s24, 31
	s_load_dwordx2 s[8:9], s[6:7], 0x0
	s_mul_hi_u32 s3, s24, s2
	s_mul_i32 s6, s25, s2
	s_add_i32 s7, s3, s6
	s_mul_i32 s6, s24, s2
	s_lshl_b64 s[6:7], s[6:7], 1
	s_add_u32 s4, s4, s6
	s_addc_u32 s3, s5, s7
	s_add_i32 s5, s24, 1
	s_lshr_b32 s6, s5, 31
	v_mov_b64_e32 v[2:3], s[12:13]
	s_add_i32 s5, s5, s6
	s_waitcnt lgkmcnt(0)
	v_cmp_gt_i64_e64 s[14:15], s[8:9], -1
	v_cmp_lt_i64_e32 vcc, s[8:9], v[2:3]
	s_lshl_b32 s5, s5, 1
	s_and_b64 s[12:13], s[14:15], vcc
	s_and_b32 s6, s5, -4
	s_and_b32 s5, s3, 0xffff
	s_mov_b64 s[10:11], -1
	s_and_b64 vcc, exec, s[12:13]
	v_lshlrev_b32_e32 v16, 2, v0
	s_cbranch_vccnz .LBB467_5
; %bb.1:
	v_cmp_gt_i32_e32 vcc, s24, v16
	s_and_saveexec_b64 s[10:11], vcc
	s_cbranch_execz .LBB467_4
; %bb.2:
	s_load_dword s3, s[0:1], 0x3c
	v_mov_b32_e32 v17, 0
	s_mov_b32 s13, 0
	v_lshlrev_b32_e32 v4, 3, v0
	s_mov_b64 s[14:15], 0
	s_waitcnt lgkmcnt(0)
	s_and_b32 s3, s3, 0xffff
	s_lshl_b32 s12, s3, 2
	s_lshl_b32 s3, s3, 3
	s_mov_b32 s7, 0x20000
	v_mov_b32_e32 v0, v17
	v_mov_b32_e32 v1, v17
	v_mov_b64_e32 v[2:3], v[16:17]
.LBB467_3:                              ; =>This Inner Loop Header: Depth=1
	v_lshl_add_u64 v[2:3], s[12:13], 0, v[2:3]
	v_cmp_le_i64_e32 vcc, s[24:25], v[2:3]
	buffer_store_dwordx2 v[0:1], v4, s[4:7], 0 offen
	s_or_b64 s[14:15], vcc, s[14:15]
	v_add_u32_e32 v4, s3, v4
	s_andn2_b64 exec, exec, s[14:15]
	s_cbranch_execnz .LBB467_3
.LBB467_4:
	s_or_b64 exec, exec, s[10:11]
	s_mov_b64 s[10:11], 0
.LBB467_5:
	s_andn2_b64 vcc, exec, s[10:11]
	s_cbranch_vccnz .LBB467_25
; %bb.6:
	v_cmp_gt_i32_e32 vcc, s24, v16
	s_and_saveexec_b64 s[10:11], vcc
	s_cbranch_execz .LBB467_25
; %bb.7:
	s_load_dwordx2 s[14:15], s[0:1], 0x8
	s_load_dwordx2 s[12:13], s[0:1], 0x18
	s_mul_i32 s3, s24, s9
	s_mul_hi_u32 s7, s24, s8
	s_add_i32 s3, s7, s3
	s_mul_i32 s7, s25, s8
	s_add_i32 s9, s3, s7
	s_mul_i32 s8, s24, s8
	s_lshl_b32 s10, s24, 2
	s_lshl_b64 s[8:9], s[8:9], 3
	s_waitcnt lgkmcnt(0)
	s_add_u32 s8, s12, s8
	s_addc_u32 s3, s13, s9
	s_lshl_b64 s[18:19], s[24:25], 2
	s_add_u32 s12, s8, s18
	s_addc_u32 s13, s3, s19
	s_and_b32 s9, s3, 0xffff
	s_mul_i32 s3, s2, s25
	s_mul_hi_u32 s16, s2, s24
	s_add_i32 s3, s16, s3
	s_mul_i32 s2, s2, s24
	s_and_b32 s13, s13, 0xffff
	s_lshl_b64 s[2:3], s[2:3], 3
	s_add_u32 s16, s14, s2
	s_addc_u32 s2, s15, s3
	s_add_u32 s20, s16, s18
	s_addc_u32 s3, s2, s19
	s_and_b32 s17, s2, 0xffff
	s_and_b32 s21, s3, 0xffff
	s_mov_b32 s7, 0x20000
	s_add_u32 s0, s0, 48
	s_mov_b32 s11, s7
	v_mov_b32_e32 v17, 0
	s_addc_u32 s1, s1, 0
	s_mov_b64 s[2:3], 0
	s_mov_b32 s18, s10
	s_mov_b32 s19, s7
	s_mov_b32 s27, 0
	s_mov_b32 s28, 0x378e98ab
	s_mov_b32 s29, 0x3b7cd369
	s_mov_b32 s30, 0xbcc618b2
	s_mov_b32 s31, 0x3dda74e4
	s_mov_b32 s33, 0x3f228afd
	s_mov_b32 s34, 0x3e03c728
	s_mov_b32 s35, 0xbfb8aa3b
	s_mov_b32 s36, 0x42ce8ed0
	s_mov_b32 s37, 0xc2b17218
	v_mov_b32_e32 v18, 0x3ba10414
	s_brev_b32 s38, -2
	s_mov_b32 s22, s10
	s_mov_b32 s23, s7
	v_mov_b32_e32 v19, 0xb9c68948
	v_mov_b32_e32 v20, 0x7f800000
                                        ; implicit-def: $vgpr0
                                        ; implicit-def: $vgpr0
	;; [unrolled: 1-line block ×4, first 2 shown]
	s_branch .LBB467_9
.LBB467_8:                              ;   in Loop: Header=BB467_9 Depth=1
	s_or_b64 exec, exec, s[14:15]
	v_bfi_b32 v5, s38, v8, v5
	v_mul_f32_e32 v4, 0.5, v4
	v_add_f32_e32 v5, 1.0, v5
	v_add_f32_e32 v2, v2, v6
	v_bfi_b32 v6, s38, v11, v10
	v_mul_f32_e32 v4, v4, v5
	v_add_f32_e32 v3, v3, v7
	v_mul_f32_e32 v5, 0.5, v9
	v_add_f32_e32 v6, 1.0, v6
	v_mul_f32_e32 v5, v5, v6
	;;#ASMSTART
	v_pk_mul_f32 v[2:3], v[4:5], v[2:3]
	;;#ASMEND
	s_load_dword s14, s[0:1], 0xc
	v_cvt_f16_f32_e32 v2, v2
	v_cvt_f16_f32_e32 v3, v3
	;; [unrolled: 1-line block ×4, first 2 shown]
	s_waitcnt lgkmcnt(0)
	s_and_b32 s14, s14, 0xffff
	s_lshl_b32 s26, s14, 2
	v_pack_b32_f16 v1, v2, v3
	v_lshlrev_b32_e32 v2, 1, v16
	v_lshl_add_u64 v[16:17], s[26:27], 0, v[16:17]
	v_cmp_le_i64_e32 vcc, s[24:25], v[16:17]
	v_pack_b32_f16 v0, v0, v4
	s_or_b64 s[2:3], vcc, s[2:3]
	buffer_store_dwordx2 v[0:1], v2, s[4:7], 0 offen
	s_andn2_b64 exec, exec, s[2:3]
	s_cbranch_execz .LBB467_25
.LBB467_9:                              ; =>This Inner Loop Header: Depth=1
	v_lshlrev_b32_e32 v4, 2, v16
	buffer_load_dwordx4 v[8:11], v4, s[16:19], 0 offen
	buffer_load_dwordx4 v[0:3], v4, s[20:23], 0 offen
	;; [unrolled: 1-line block ×3, first 2 shown]
	s_mov_b32 s14, s10
	s_mov_b32 s15, s11
	buffer_load_dwordx4 v[4:7], v4, s[12:15], 0 offen
                                        ; implicit-def: $vgpr21
	s_waitcnt vmcnt(1)
	v_add_f32_e32 v8, v8, v12
	v_mul_f32_e32 v12, 0x3f3504f3, v8
	v_cmp_nlt_f32_e64 s[14:15], |v12|, 1.0
	s_and_saveexec_b64 s[40:41], s[14:15]
	s_xor_b64 s[14:15], exec, s[40:41]
	s_cbranch_execz .LBB467_11
; %bb.10:                               ;   in Loop: Header=BB467_9 Depth=1
	v_fma_f32 v21, |v12|, s28, v19
	v_fma_f32 v21, |v12|, v21, s29
	;; [unrolled: 1-line block ×6, first 2 shown]
	v_fma_f32 v21, |v12|, v21, |v12|
	v_mul_f32_e32 v22, 0xbfb8aa3b, v21
	v_fma_f32 v23, v21, s35, -v22
	v_rndne_f32_e32 v24, v22
	v_fmac_f32_e32 v23, 0xb2a5705f, v21
	v_sub_f32_e32 v22, v22, v24
	v_add_f32_e32 v22, v22, v23
	v_cvt_i32_f32_e32 v23, v24
	v_exp_f32_e32 v22, v22
	v_cmp_nlt_f32_e32 vcc, s36, v21
	v_ldexp_f32 v22, v22, v23
	s_nop 0
	v_cndmask_b32_e32 v22, 0, v22, vcc
	v_cmp_ngt_f32_e32 vcc, s37, v21
	s_nop 1
	v_cndmask_b32_e32 v21, v20, v22, vcc
	v_sub_f32_e32 v21, 1.0, v21
.LBB467_11:                             ;   in Loop: Header=BB467_9 Depth=1
	s_andn2_saveexec_b64 s[14:15], s[14:15]
; %bb.12:                               ;   in Loop: Header=BB467_9 Depth=1
	v_mul_f32_e32 v21, v12, v12
	v_fmamk_f32 v22, v21, 0xba1345e1, v18
	v_fmaak_f32 v22, v21, v22, 0xbcdac9b8
	v_fmaak_f32 v22, v21, v22, 0x3de703be
	;; [unrolled: 1-line block ×4, first 2 shown]
	v_fma_f32 v21, |v12|, v21, |v12|
; %bb.13:                               ;   in Loop: Header=BB467_9 Depth=1
	s_or_b64 exec, exec, s[14:15]
	v_add_f32_e32 v9, v9, v13
	v_mul_f32_e32 v13, 0x3f3504f3, v9
	v_cmp_nlt_f32_e64 s[14:15], |v13|, 1.0
                                        ; implicit-def: $vgpr22
	s_and_saveexec_b64 s[40:41], s[14:15]
	s_xor_b64 s[14:15], exec, s[40:41]
	s_cbranch_execz .LBB467_15
; %bb.14:                               ;   in Loop: Header=BB467_9 Depth=1
	v_fma_f32 v22, |v13|, s28, v19
	v_fma_f32 v22, |v13|, v22, s29
	;; [unrolled: 1-line block ×6, first 2 shown]
	v_fma_f32 v22, |v13|, v22, |v13|
	v_mul_f32_e32 v23, 0xbfb8aa3b, v22
	v_fma_f32 v24, v22, s35, -v23
	v_rndne_f32_e32 v25, v23
	v_fmac_f32_e32 v24, 0xb2a5705f, v22
	v_sub_f32_e32 v23, v23, v25
	v_add_f32_e32 v23, v23, v24
	v_cvt_i32_f32_e32 v24, v25
	v_exp_f32_e32 v23, v23
	v_cmp_nlt_f32_e32 vcc, s36, v22
	v_ldexp_f32 v23, v23, v24
	s_nop 0
	v_cndmask_b32_e32 v23, 0, v23, vcc
	v_cmp_ngt_f32_e32 vcc, s37, v22
	s_nop 1
	v_cndmask_b32_e32 v22, v20, v23, vcc
	v_sub_f32_e32 v22, 1.0, v22
.LBB467_15:                             ;   in Loop: Header=BB467_9 Depth=1
	s_andn2_saveexec_b64 s[14:15], s[14:15]
; %bb.16:                               ;   in Loop: Header=BB467_9 Depth=1
	v_mul_f32_e32 v22, v13, v13
	v_fmamk_f32 v23, v22, 0xba1345e1, v18
	v_fmaak_f32 v23, v22, v23, 0xbcdac9b8
	v_fmaak_f32 v23, v22, v23, 0x3de703be
	;; [unrolled: 1-line block ×4, first 2 shown]
	v_fma_f32 v22, |v13|, v22, |v13|
; %bb.17:                               ;   in Loop: Header=BB467_9 Depth=1
	s_or_b64 exec, exec, s[14:15]
	s_waitcnt vmcnt(0)
	v_add_f32_e32 v1, v1, v5
	v_bfi_b32 v5, s38, v22, v13
	v_add_f32_e32 v0, v0, v4
	v_mul_f32_e32 v4, 0.5, v9
	v_add_f32_e32 v5, 1.0, v5
	v_bfi_b32 v12, s38, v21, v12
	v_mul_f32_e32 v9, v4, v5
	v_add_f32_e32 v4, v10, v14
	v_mul_f32_e32 v8, 0.5, v8
	v_add_f32_e32 v12, 1.0, v12
	v_mul_f32_e32 v5, 0x3f3504f3, v4
	v_mul_f32_e32 v8, v8, v12
	v_cmp_nlt_f32_e64 s[14:15], |v5|, 1.0
	;;#ASMSTART
	v_pk_mul_f32 v[0:1], v[8:9], v[0:1]
	;;#ASMEND
                                        ; implicit-def: $vgpr8
	s_and_saveexec_b64 s[40:41], s[14:15]
	s_xor_b64 s[14:15], exec, s[40:41]
	s_cbranch_execz .LBB467_19
; %bb.18:                               ;   in Loop: Header=BB467_9 Depth=1
	v_fma_f32 v8, |v5|, s28, v19
	v_fma_f32 v8, |v5|, v8, s29
	;; [unrolled: 1-line block ×6, first 2 shown]
	v_fma_f32 v8, |v5|, v8, |v5|
	v_mul_f32_e32 v9, 0xbfb8aa3b, v8
	v_fma_f32 v10, v8, s35, -v9
	v_rndne_f32_e32 v12, v9
	v_fmac_f32_e32 v10, 0xb2a5705f, v8
	v_sub_f32_e32 v9, v9, v12
	v_add_f32_e32 v9, v9, v10
	v_cvt_i32_f32_e32 v10, v12
	v_exp_f32_e32 v9, v9
	v_cmp_nlt_f32_e32 vcc, s36, v8
	v_ldexp_f32 v9, v9, v10
	s_nop 0
	v_cndmask_b32_e32 v9, 0, v9, vcc
	v_cmp_ngt_f32_e32 vcc, s37, v8
	s_nop 1
	v_cndmask_b32_e32 v8, v20, v9, vcc
	v_sub_f32_e32 v8, 1.0, v8
.LBB467_19:                             ;   in Loop: Header=BB467_9 Depth=1
	s_andn2_saveexec_b64 s[14:15], s[14:15]
; %bb.20:                               ;   in Loop: Header=BB467_9 Depth=1
	v_mul_f32_e32 v8, v5, v5
	v_fmamk_f32 v9, v8, 0xba1345e1, v18
	v_fmaak_f32 v9, v8, v9, 0xbcdac9b8
	v_fmaak_f32 v9, v8, v9, 0x3de703be
	;; [unrolled: 1-line block ×4, first 2 shown]
	v_fma_f32 v8, |v5|, v8, |v5|
; %bb.21:                               ;   in Loop: Header=BB467_9 Depth=1
	s_or_b64 exec, exec, s[14:15]
	v_add_f32_e32 v9, v11, v15
	v_mul_f32_e32 v10, 0x3f3504f3, v9
	v_cmp_nlt_f32_e64 s[14:15], |v10|, 1.0
                                        ; implicit-def: $vgpr11
	s_and_saveexec_b64 s[40:41], s[14:15]
	s_xor_b64 s[14:15], exec, s[40:41]
	s_cbranch_execz .LBB467_23
; %bb.22:                               ;   in Loop: Header=BB467_9 Depth=1
	v_fma_f32 v11, |v10|, s28, v19
	v_fma_f32 v11, |v10|, v11, s29
	;; [unrolled: 1-line block ×6, first 2 shown]
	v_fma_f32 v11, |v10|, v11, |v10|
	v_mul_f32_e32 v12, 0xbfb8aa3b, v11
	v_fma_f32 v13, v11, s35, -v12
	v_rndne_f32_e32 v14, v12
	v_fmac_f32_e32 v13, 0xb2a5705f, v11
	v_sub_f32_e32 v12, v12, v14
	v_add_f32_e32 v12, v12, v13
	v_cvt_i32_f32_e32 v13, v14
	v_exp_f32_e32 v12, v12
	v_cmp_nlt_f32_e32 vcc, s36, v11
	v_ldexp_f32 v12, v12, v13
	s_nop 0
	v_cndmask_b32_e32 v12, 0, v12, vcc
	v_cmp_ngt_f32_e32 vcc, s37, v11
	s_nop 1
	v_cndmask_b32_e32 v11, v20, v12, vcc
	v_sub_f32_e32 v11, 1.0, v11
.LBB467_23:                             ;   in Loop: Header=BB467_9 Depth=1
	s_andn2_saveexec_b64 s[14:15], s[14:15]
	s_cbranch_execz .LBB467_8
; %bb.24:                               ;   in Loop: Header=BB467_9 Depth=1
	v_mul_f32_e32 v11, v10, v10
	v_fmamk_f32 v12, v11, 0xba1345e1, v18
	v_fmaak_f32 v12, v11, v12, 0xbcdac9b8
	v_fmaak_f32 v12, v11, v12, 0x3de703be
	;; [unrolled: 1-line block ×4, first 2 shown]
	v_fma_f32 v11, |v10|, v11, |v10|
	s_branch .LBB467_8
.LBB467_25:
	s_endpgm
	.section	.rodata,"a",@progbits
	.p2align	6, 0x0
	.amdhsa_kernel _ZN5aiter23act_and_mul_bias_kernelIfDF16_lfTnPFfRKT2_EXadL_ZNS_11gelu_kernelIfEEfRKT_EELi4EEEvPT0_PS8_PKT1_PS2_il
		.amdhsa_group_segment_fixed_size 0
		.amdhsa_private_segment_fixed_size 0
		.amdhsa_kernarg_size 304
		.amdhsa_user_sgpr_count 2
		.amdhsa_user_sgpr_dispatch_ptr 0
		.amdhsa_user_sgpr_queue_ptr 0
		.amdhsa_user_sgpr_kernarg_segment_ptr 1
		.amdhsa_user_sgpr_dispatch_id 0
		.amdhsa_user_sgpr_kernarg_preload_length 0
		.amdhsa_user_sgpr_kernarg_preload_offset 0
		.amdhsa_user_sgpr_private_segment_size 0
		.amdhsa_uses_dynamic_stack 0
		.amdhsa_enable_private_segment 0
		.amdhsa_system_sgpr_workgroup_id_x 1
		.amdhsa_system_sgpr_workgroup_id_y 0
		.amdhsa_system_sgpr_workgroup_id_z 0
		.amdhsa_system_sgpr_workgroup_info 0
		.amdhsa_system_vgpr_workitem_id 0
		.amdhsa_next_free_vgpr 26
		.amdhsa_next_free_sgpr 42
		.amdhsa_accum_offset 28
		.amdhsa_reserve_vcc 1
		.amdhsa_float_round_mode_32 0
		.amdhsa_float_round_mode_16_64 0
		.amdhsa_float_denorm_mode_32 3
		.amdhsa_float_denorm_mode_16_64 3
		.amdhsa_dx10_clamp 1
		.amdhsa_ieee_mode 1
		.amdhsa_fp16_overflow 0
		.amdhsa_tg_split 0
		.amdhsa_exception_fp_ieee_invalid_op 0
		.amdhsa_exception_fp_denorm_src 0
		.amdhsa_exception_fp_ieee_div_zero 0
		.amdhsa_exception_fp_ieee_overflow 0
		.amdhsa_exception_fp_ieee_underflow 0
		.amdhsa_exception_fp_ieee_inexact 0
		.amdhsa_exception_int_div_zero 0
	.end_amdhsa_kernel
	.section	.text._ZN5aiter23act_and_mul_bias_kernelIfDF16_lfTnPFfRKT2_EXadL_ZNS_11gelu_kernelIfEEfRKT_EELi4EEEvPT0_PS8_PKT1_PS2_il,"axG",@progbits,_ZN5aiter23act_and_mul_bias_kernelIfDF16_lfTnPFfRKT2_EXadL_ZNS_11gelu_kernelIfEEfRKT_EELi4EEEvPT0_PS8_PKT1_PS2_il,comdat
.Lfunc_end467:
	.size	_ZN5aiter23act_and_mul_bias_kernelIfDF16_lfTnPFfRKT2_EXadL_ZNS_11gelu_kernelIfEEfRKT_EELi4EEEvPT0_PS8_PKT1_PS2_il, .Lfunc_end467-_ZN5aiter23act_and_mul_bias_kernelIfDF16_lfTnPFfRKT2_EXadL_ZNS_11gelu_kernelIfEEfRKT_EELi4EEEvPT0_PS8_PKT1_PS2_il
                                        ; -- End function
	.section	.AMDGPU.csdata,"",@progbits
; Kernel info:
; codeLenInByte = 1772
; NumSgprs: 48
; NumVgprs: 26
; NumAgprs: 0
; TotalNumVgprs: 26
; ScratchSize: 0
; MemoryBound: 0
; FloatMode: 240
; IeeeMode: 1
; LDSByteSize: 0 bytes/workgroup (compile time only)
; SGPRBlocks: 5
; VGPRBlocks: 3
; NumSGPRsForWavesPerEU: 48
; NumVGPRsForWavesPerEU: 26
; AccumOffset: 28
; Occupancy: 8
; WaveLimiterHint : 0
; COMPUTE_PGM_RSRC2:SCRATCH_EN: 0
; COMPUTE_PGM_RSRC2:USER_SGPR: 2
; COMPUTE_PGM_RSRC2:TRAP_HANDLER: 0
; COMPUTE_PGM_RSRC2:TGID_X_EN: 1
; COMPUTE_PGM_RSRC2:TGID_Y_EN: 0
; COMPUTE_PGM_RSRC2:TGID_Z_EN: 0
; COMPUTE_PGM_RSRC2:TIDIG_COMP_CNT: 0
; COMPUTE_PGM_RSRC3_GFX90A:ACCUM_OFFSET: 6
; COMPUTE_PGM_RSRC3_GFX90A:TG_SPLIT: 0
	.section	.text._ZN5aiter23act_and_mul_bias_kernelIfDF16_lfTnPFfRKT2_EXadL_ZNS_11gelu_kernelIfEEfRKT_EELi2EEEvPT0_PS8_PKT1_PS2_il,"axG",@progbits,_ZN5aiter23act_and_mul_bias_kernelIfDF16_lfTnPFfRKT2_EXadL_ZNS_11gelu_kernelIfEEfRKT_EELi2EEEvPT0_PS8_PKT1_PS2_il,comdat
	.protected	_ZN5aiter23act_and_mul_bias_kernelIfDF16_lfTnPFfRKT2_EXadL_ZNS_11gelu_kernelIfEEfRKT_EELi2EEEvPT0_PS8_PKT1_PS2_il ; -- Begin function _ZN5aiter23act_and_mul_bias_kernelIfDF16_lfTnPFfRKT2_EXadL_ZNS_11gelu_kernelIfEEfRKT_EELi2EEEvPT0_PS8_PKT1_PS2_il
	.globl	_ZN5aiter23act_and_mul_bias_kernelIfDF16_lfTnPFfRKT2_EXadL_ZNS_11gelu_kernelIfEEfRKT_EELi2EEEvPT0_PS8_PKT1_PS2_il
	.p2align	8
	.type	_ZN5aiter23act_and_mul_bias_kernelIfDF16_lfTnPFfRKT2_EXadL_ZNS_11gelu_kernelIfEEfRKT_EELi2EEEvPT0_PS8_PKT1_PS2_il,@function
_ZN5aiter23act_and_mul_bias_kernelIfDF16_lfTnPFfRKT2_EXadL_ZNS_11gelu_kernelIfEEfRKT_EELi2EEEvPT0_PS8_PKT1_PS2_il: ; @_ZN5aiter23act_and_mul_bias_kernelIfDF16_lfTnPFfRKT2_EXadL_ZNS_11gelu_kernelIfEEfRKT_EELi2EEEvPT0_PS8_PKT1_PS2_il
; %bb.0:
	s_load_dwordx2 s[4:5], s[0:1], 0x0
	s_load_dwordx2 s[6:7], s[0:1], 0x10
	s_load_dword s24, s[0:1], 0x20
	s_load_dwordx2 s[12:13], s[0:1], 0x28
	s_mov_b32 s3, 0
	s_lshl_b64 s[8:9], s[2:3], 3
	s_waitcnt lgkmcnt(0)
	s_add_u32 s6, s6, s8
	s_addc_u32 s7, s7, s9
	s_ashr_i32 s25, s24, 31
	s_load_dwordx2 s[8:9], s[6:7], 0x0
	s_mul_hi_u32 s3, s24, s2
	s_mul_i32 s6, s25, s2
	s_add_i32 s7, s3, s6
	s_mul_i32 s6, s24, s2
	s_lshl_b64 s[6:7], s[6:7], 1
	s_add_u32 s4, s4, s6
	s_addc_u32 s3, s5, s7
	s_add_i32 s5, s24, 1
	s_lshr_b32 s6, s5, 31
	v_mov_b64_e32 v[2:3], s[12:13]
	s_add_i32 s5, s5, s6
	s_waitcnt lgkmcnt(0)
	v_cmp_gt_i64_e64 s[14:15], s[8:9], -1
	v_cmp_lt_i64_e32 vcc, s[8:9], v[2:3]
	s_lshl_b32 s5, s5, 1
	s_and_b64 s[12:13], s[14:15], vcc
	s_and_b32 s6, s5, -4
	s_and_b32 s5, s3, 0xffff
	s_mov_b64 s[10:11], -1
	s_and_b64 vcc, exec, s[12:13]
	v_lshlrev_b32_e32 v2, 1, v0
	s_cbranch_vccnz .LBB468_5
; %bb.1:
	v_cmp_gt_i32_e32 vcc, s24, v2
	s_and_saveexec_b64 s[10:11], vcc
	s_cbranch_execz .LBB468_4
; %bb.2:
	s_load_dword s3, s[0:1], 0x3c
	v_mov_b32_e32 v3, 0
	s_mov_b32 s13, 0
	v_lshlrev_b32_e32 v4, 2, v0
	s_mov_b64 s[14:15], 0
	s_waitcnt lgkmcnt(0)
	s_and_b32 s3, s3, 0xffff
	s_lshl_b32 s12, s3, 1
	s_lshl_b32 s3, s3, 2
	s_mov_b32 s7, 0x20000
	v_mov_b64_e32 v[0:1], v[2:3]
.LBB468_3:                              ; =>This Inner Loop Header: Depth=1
	v_lshl_add_u64 v[0:1], s[12:13], 0, v[0:1]
	v_cmp_le_i64_e32 vcc, s[24:25], v[0:1]
	buffer_store_dword v3, v4, s[4:7], 0 offen
	s_or_b64 s[14:15], vcc, s[14:15]
	v_add_u32_e32 v4, s3, v4
	s_andn2_b64 exec, exec, s[14:15]
	s_cbranch_execnz .LBB468_3
.LBB468_4:
	s_or_b64 exec, exec, s[10:11]
	s_mov_b64 s[10:11], 0
.LBB468_5:
	s_andn2_b64 vcc, exec, s[10:11]
	s_cbranch_vccnz .LBB468_13
; %bb.6:
	v_cmp_gt_i32_e32 vcc, s24, v2
	s_and_saveexec_b64 s[10:11], vcc
	s_cbranch_execz .LBB468_13
; %bb.7:
	s_load_dwordx2 s[14:15], s[0:1], 0x8
	s_load_dwordx2 s[12:13], s[0:1], 0x18
	s_mul_i32 s3, s24, s9
	s_mul_hi_u32 s7, s24, s8
	s_add_i32 s3, s7, s3
	s_mul_i32 s7, s25, s8
	s_add_i32 s9, s3, s7
	s_mul_i32 s8, s24, s8
	s_lshl_b32 s10, s24, 2
	s_lshl_b64 s[8:9], s[8:9], 3
	s_waitcnt lgkmcnt(0)
	s_add_u32 s8, s12, s8
	s_addc_u32 s3, s13, s9
	s_lshl_b64 s[18:19], s[24:25], 2
	s_add_u32 s12, s8, s18
	s_addc_u32 s13, s3, s19
	s_and_b32 s9, s3, 0xffff
	s_mul_i32 s3, s2, s25
	s_mul_hi_u32 s16, s2, s24
	s_add_i32 s3, s16, s3
	s_mul_i32 s2, s2, s24
	s_and_b32 s13, s13, 0xffff
	s_lshl_b64 s[2:3], s[2:3], 3
	s_add_u32 s16, s14, s2
	s_addc_u32 s2, s15, s3
	s_add_u32 s20, s16, s18
	s_addc_u32 s3, s2, s19
	s_and_b32 s17, s2, 0xffff
	s_and_b32 s21, s3, 0xffff
	s_mov_b32 s7, 0x20000
	s_add_u32 s0, s0, 48
	s_mov_b32 s11, s7
	v_mov_b32_e32 v3, 0
	s_addc_u32 s1, s1, 0
	s_mov_b64 s[2:3], 0
	s_mov_b32 s18, s10
	s_mov_b32 s19, s7
	;; [unrolled: 1-line block ×13, first 2 shown]
	v_mov_b32_e32 v12, 0x3ba10414
	v_mov_b32_e32 v13, 0xb9c68948
	;; [unrolled: 1-line block ×3, first 2 shown]
	s_brev_b32 s39, -2
	s_mov_b32 s22, s10
	s_mov_b32 s23, s7
                                        ; implicit-def: $vgpr0
                                        ; implicit-def: $vgpr0
	;; [unrolled: 1-line block ×4, first 2 shown]
	s_branch .LBB468_9
.LBB468_8:                              ;   in Loop: Header=BB468_9 Depth=1
	s_or_b64 exec, exec, s[14:15]
	v_fma_f32 v10, |v1|, s29, v13
	v_fma_f32 v10, |v1|, v10, s30
	;; [unrolled: 1-line block ×6, first 2 shown]
	v_fma_f32 v10, |v1|, v10, |v1|
	v_mul_f32_e32 v16, 0xbfb8aa3b, v10
	v_fma_f32 v17, v10, s36, -v16
	v_rndne_f32_e32 v18, v16
	v_fmac_f32_e32 v17, 0xb2a5705f, v10
	v_sub_f32_e32 v16, v16, v18
	v_add_f32_e32 v16, v16, v17
	v_exp_f32_e32 v16, v16
	v_cvt_i32_f32_e32 v17, v18
	s_waitcnt vmcnt(0)
	v_pk_add_f32 v[4:5], v[4:5], v[8:9]
	v_fmamk_f32 v9, v11, 0xba1345e1, v12
	v_fmaak_f32 v9, v11, v9, 0xbcdac9b8
	v_ldexp_f32 v8, v16, v17
	v_cmp_nlt_f32_e32 vcc, s37, v10
	v_fmaak_f32 v9, v11, v9, 0x3de703be
	v_fmaak_f32 v9, v11, v9, 0xbec09330
	v_cndmask_b32_e32 v8, 0, v8, vcc
	v_cmp_ngt_f32_e32 vcc, s38, v10
	v_fmaak_f32 v9, v11, v9, 0x3e0375d0
	v_fma_f32 v9, |v1|, v9, |v1|
	v_cndmask_b32_e32 v8, v14, v8, vcc
	v_sub_f32_e32 v8, 1.0, v8
	v_cmp_lt_f32_e64 vcc, |v1|, 1.0
	v_bfi_b32 v0, s39, v15, v0
	v_mul_f32_e32 v7, 0.5, v7
	v_cndmask_b32_e32 v8, v8, v9, vcc
	v_bfi_b32 v1, s39, v8, v1
	v_mul_f32_e32 v6, 0.5, v6
	v_pk_add_f32 v[0:1], v[0:1], 1.0 op_sel_hi:[1,0]
	s_nop 0
	v_pk_mul_f32 v[0:1], v[6:7], v[0:1]
	s_nop 0
	;;#ASMSTART
	v_pk_mul_f32 v[0:1], v[0:1], v[4:5]
	;;#ASMEND
	s_load_dword s14, s[0:1], 0xc
	v_cvt_f16_f32_e32 v0, v0
	v_cvt_f16_f32_e32 v1, v1
	s_waitcnt lgkmcnt(0)
	s_and_b32 s14, s14, 0xffff
	s_lshl_b32 s26, s14, 1
	v_pack_b32_f16 v0, v0, v1
	v_lshlrev_b32_e32 v1, 1, v2
	v_lshl_add_u64 v[2:3], s[26:27], 0, v[2:3]
	v_cmp_le_i64_e32 vcc, s[24:25], v[2:3]
	s_or_b64 s[2:3], vcc, s[2:3]
	buffer_store_dword v0, v1, s[4:7], 0 offen
	s_andn2_b64 exec, exec, s[2:3]
	s_cbranch_execz .LBB468_13
.LBB468_9:                              ; =>This Inner Loop Header: Depth=1
	v_lshlrev_b32_e32 v8, 2, v2
	buffer_load_dwordx2 v[0:1], v8, s[16:19], 0 offen
	buffer_load_dwordx2 v[4:5], v8, s[20:23], 0 offen
	;; [unrolled: 1-line block ×3, first 2 shown]
	s_mov_b32 s14, s10
	s_mov_b32 s15, s11
	buffer_load_dwordx2 v[8:9], v8, s[12:15], 0 offen
                                        ; implicit-def: $vgpr15
	s_waitcnt vmcnt(1)
	v_pk_add_f32 v[6:7], v[0:1], v[6:7]
	s_nop 0
	v_pk_mul_f32 v[0:1], v[6:7], s[28:29] op_sel_hi:[1,0]
	s_nop 0
	v_cmp_nlt_f32_e64 s[14:15], |v0|, 1.0
	s_and_saveexec_b64 s[40:41], s[14:15]
	s_xor_b64 s[14:15], exec, s[40:41]
	s_cbranch_execz .LBB468_11
; %bb.10:                               ;   in Loop: Header=BB468_9 Depth=1
	v_fma_f32 v10, |v0|, s29, v13
	v_fma_f32 v10, |v0|, v10, s30
	;; [unrolled: 1-line block ×6, first 2 shown]
	v_fma_f32 v10, |v0|, v10, |v0|
	v_mul_f32_e32 v11, 0xbfb8aa3b, v10
	v_fma_f32 v15, v10, s36, -v11
	v_rndne_f32_e32 v16, v11
	v_fmac_f32_e32 v15, 0xb2a5705f, v10
	v_sub_f32_e32 v11, v11, v16
	v_add_f32_e32 v11, v11, v15
	v_cvt_i32_f32_e32 v15, v16
	v_exp_f32_e32 v11, v11
	v_cmp_nlt_f32_e32 vcc, s37, v10
	v_ldexp_f32 v11, v11, v15
	s_nop 0
	v_cndmask_b32_e32 v11, 0, v11, vcc
	v_cmp_ngt_f32_e32 vcc, s38, v10
	s_nop 1
	v_cndmask_b32_e32 v10, v14, v11, vcc
	v_sub_f32_e32 v15, 1.0, v10
.LBB468_11:                             ;   in Loop: Header=BB468_9 Depth=1
	s_or_saveexec_b64 s[14:15], s[14:15]
	v_pk_mul_f32 v[10:11], v[0:1], v[0:1]
	s_xor_b64 exec, exec, s[14:15]
	s_cbranch_execz .LBB468_8
; %bb.12:                               ;   in Loop: Header=BB468_9 Depth=1
	v_fmamk_f32 v15, v10, 0xba1345e1, v12
	v_fmaak_f32 v15, v10, v15, 0xbcdac9b8
	v_fmaak_f32 v15, v10, v15, 0x3de703be
	;; [unrolled: 1-line block ×4, first 2 shown]
	v_fma_f32 v15, |v0|, v10, |v0|
	s_branch .LBB468_8
.LBB468_13:
	s_endpgm
	.section	.rodata,"a",@progbits
	.p2align	6, 0x0
	.amdhsa_kernel _ZN5aiter23act_and_mul_bias_kernelIfDF16_lfTnPFfRKT2_EXadL_ZNS_11gelu_kernelIfEEfRKT_EELi2EEEvPT0_PS8_PKT1_PS2_il
		.amdhsa_group_segment_fixed_size 0
		.amdhsa_private_segment_fixed_size 0
		.amdhsa_kernarg_size 304
		.amdhsa_user_sgpr_count 2
		.amdhsa_user_sgpr_dispatch_ptr 0
		.amdhsa_user_sgpr_queue_ptr 0
		.amdhsa_user_sgpr_kernarg_segment_ptr 1
		.amdhsa_user_sgpr_dispatch_id 0
		.amdhsa_user_sgpr_kernarg_preload_length 0
		.amdhsa_user_sgpr_kernarg_preload_offset 0
		.amdhsa_user_sgpr_private_segment_size 0
		.amdhsa_uses_dynamic_stack 0
		.amdhsa_enable_private_segment 0
		.amdhsa_system_sgpr_workgroup_id_x 1
		.amdhsa_system_sgpr_workgroup_id_y 0
		.amdhsa_system_sgpr_workgroup_id_z 0
		.amdhsa_system_sgpr_workgroup_info 0
		.amdhsa_system_vgpr_workitem_id 0
		.amdhsa_next_free_vgpr 19
		.amdhsa_next_free_sgpr 42
		.amdhsa_accum_offset 20
		.amdhsa_reserve_vcc 1
		.amdhsa_float_round_mode_32 0
		.amdhsa_float_round_mode_16_64 0
		.amdhsa_float_denorm_mode_32 3
		.amdhsa_float_denorm_mode_16_64 3
		.amdhsa_dx10_clamp 1
		.amdhsa_ieee_mode 1
		.amdhsa_fp16_overflow 0
		.amdhsa_tg_split 0
		.amdhsa_exception_fp_ieee_invalid_op 0
		.amdhsa_exception_fp_denorm_src 0
		.amdhsa_exception_fp_ieee_div_zero 0
		.amdhsa_exception_fp_ieee_overflow 0
		.amdhsa_exception_fp_ieee_underflow 0
		.amdhsa_exception_fp_ieee_inexact 0
		.amdhsa_exception_int_div_zero 0
	.end_amdhsa_kernel
	.section	.text._ZN5aiter23act_and_mul_bias_kernelIfDF16_lfTnPFfRKT2_EXadL_ZNS_11gelu_kernelIfEEfRKT_EELi2EEEvPT0_PS8_PKT1_PS2_il,"axG",@progbits,_ZN5aiter23act_and_mul_bias_kernelIfDF16_lfTnPFfRKT2_EXadL_ZNS_11gelu_kernelIfEEfRKT_EELi2EEEvPT0_PS8_PKT1_PS2_il,comdat
.Lfunc_end468:
	.size	_ZN5aiter23act_and_mul_bias_kernelIfDF16_lfTnPFfRKT2_EXadL_ZNS_11gelu_kernelIfEEfRKT_EELi2EEEvPT0_PS8_PKT1_PS2_il, .Lfunc_end468-_ZN5aiter23act_and_mul_bias_kernelIfDF16_lfTnPFfRKT2_EXadL_ZNS_11gelu_kernelIfEEfRKT_EELi2EEEvPT0_PS8_PKT1_PS2_il
                                        ; -- End function
	.section	.AMDGPU.csdata,"",@progbits
; Kernel info:
; codeLenInByte = 1232
; NumSgprs: 48
; NumVgprs: 19
; NumAgprs: 0
; TotalNumVgprs: 19
; ScratchSize: 0
; MemoryBound: 0
; FloatMode: 240
; IeeeMode: 1
; LDSByteSize: 0 bytes/workgroup (compile time only)
; SGPRBlocks: 5
; VGPRBlocks: 2
; NumSGPRsForWavesPerEU: 48
; NumVGPRsForWavesPerEU: 19
; AccumOffset: 20
; Occupancy: 8
; WaveLimiterHint : 0
; COMPUTE_PGM_RSRC2:SCRATCH_EN: 0
; COMPUTE_PGM_RSRC2:USER_SGPR: 2
; COMPUTE_PGM_RSRC2:TRAP_HANDLER: 0
; COMPUTE_PGM_RSRC2:TGID_X_EN: 1
; COMPUTE_PGM_RSRC2:TGID_Y_EN: 0
; COMPUTE_PGM_RSRC2:TGID_Z_EN: 0
; COMPUTE_PGM_RSRC2:TIDIG_COMP_CNT: 0
; COMPUTE_PGM_RSRC3_GFX90A:ACCUM_OFFSET: 4
; COMPUTE_PGM_RSRC3_GFX90A:TG_SPLIT: 0
	.section	.text._ZN5aiter23act_and_mul_bias_kernelIfDF16_lfTnPFfRKT2_EXadL_ZNS_11gelu_kernelIfEEfRKT_EELi1EEEvPT0_PS8_PKT1_PS2_il,"axG",@progbits,_ZN5aiter23act_and_mul_bias_kernelIfDF16_lfTnPFfRKT2_EXadL_ZNS_11gelu_kernelIfEEfRKT_EELi1EEEvPT0_PS8_PKT1_PS2_il,comdat
	.protected	_ZN5aiter23act_and_mul_bias_kernelIfDF16_lfTnPFfRKT2_EXadL_ZNS_11gelu_kernelIfEEfRKT_EELi1EEEvPT0_PS8_PKT1_PS2_il ; -- Begin function _ZN5aiter23act_and_mul_bias_kernelIfDF16_lfTnPFfRKT2_EXadL_ZNS_11gelu_kernelIfEEfRKT_EELi1EEEvPT0_PS8_PKT1_PS2_il
	.globl	_ZN5aiter23act_and_mul_bias_kernelIfDF16_lfTnPFfRKT2_EXadL_ZNS_11gelu_kernelIfEEfRKT_EELi1EEEvPT0_PS8_PKT1_PS2_il
	.p2align	8
	.type	_ZN5aiter23act_and_mul_bias_kernelIfDF16_lfTnPFfRKT2_EXadL_ZNS_11gelu_kernelIfEEfRKT_EELi1EEEvPT0_PS8_PKT1_PS2_il,@function
_ZN5aiter23act_and_mul_bias_kernelIfDF16_lfTnPFfRKT2_EXadL_ZNS_11gelu_kernelIfEEfRKT_EELi1EEEvPT0_PS8_PKT1_PS2_il: ; @_ZN5aiter23act_and_mul_bias_kernelIfDF16_lfTnPFfRKT2_EXadL_ZNS_11gelu_kernelIfEEfRKT_EELi1EEEvPT0_PS8_PKT1_PS2_il
; %bb.0:
	s_load_dwordx2 s[4:5], s[0:1], 0x0
	s_load_dwordx2 s[6:7], s[0:1], 0x10
	s_load_dword s20, s[0:1], 0x20
	s_load_dwordx2 s[14:15], s[0:1], 0x28
	s_mov_b32 s3, 0
	s_lshl_b64 s[8:9], s[2:3], 3
	s_waitcnt lgkmcnt(0)
	s_add_u32 s6, s6, s8
	s_addc_u32 s7, s7, s9
	s_ashr_i32 s21, s20, 31
	s_load_dwordx2 s[12:13], s[6:7], 0x0
	s_mul_hi_u32 s3, s20, s2
	s_mul_i32 s6, s21, s2
	s_add_i32 s7, s3, s6
	s_mul_i32 s6, s20, s2
	s_lshl_b64 s[6:7], s[6:7], 1
	s_add_u32 s8, s4, s6
	s_addc_u32 s3, s5, s7
	s_add_i32 s4, s20, 1
	s_lshr_b32 s5, s4, 31
	s_add_i32 s4, s4, s5
	s_lshl_b32 s4, s4, 1
	v_mov_b64_e32 v[2:3], s[14:15]
	s_and_b32 s10, s4, -4
	s_waitcnt lgkmcnt(0)
	v_cmp_gt_i64_e64 s[4:5], s[12:13], -1
	v_cmp_lt_i64_e32 vcc, s[12:13], v[2:3]
	s_and_b64 s[4:5], s[4:5], vcc
	s_and_b32 s9, s3, 0xffff
	s_mov_b64 s[6:7], -1
	s_and_b64 vcc, exec, s[4:5]
	v_cmp_gt_i32_e64 s[4:5], s20, v0
	s_cbranch_vccnz .LBB469_5
; %bb.1:
	s_and_saveexec_b64 s[6:7], s[4:5]
	s_cbranch_execz .LBB469_4
; %bb.2:
	s_load_dword s3, s[0:1], 0x3c
	v_mov_b32_e32 v1, 0
	s_mov_b32 s5, 0
	v_lshlrev_b32_e32 v4, 1, v0
	s_mov_b64 s[14:15], 0
	s_waitcnt lgkmcnt(0)
	s_and_b32 s4, s3, 0xffff
	s_lshl_b32 s3, s4, 1
	s_mov_b32 s11, 0x20000
	v_mov_b64_e32 v[2:3], v[0:1]
.LBB469_3:                              ; =>This Inner Loop Header: Depth=1
	v_lshl_add_u64 v[2:3], v[2:3], 0, s[4:5]
	v_cmp_le_i64_e32 vcc, s[20:21], v[2:3]
	buffer_store_short v1, v4, s[8:11], 0 offen
	s_or_b64 s[14:15], vcc, s[14:15]
	v_add_u32_e32 v4, s3, v4
	s_andn2_b64 exec, exec, s[14:15]
	s_cbranch_execnz .LBB469_3
.LBB469_4:
	s_or_b64 exec, exec, s[6:7]
	s_mov_b64 s[6:7], 0
.LBB469_5:
	s_andn2_b64 vcc, exec, s[6:7]
	s_cbranch_vccnz .LBB469_13
; %bb.6:
	v_cmp_gt_i32_e32 vcc, s20, v0
	s_and_saveexec_b64 s[4:5], vcc
	s_cbranch_execz .LBB469_13
; %bb.7:
	s_mul_i32 s3, s20, s13
	s_mul_hi_u32 s4, s20, s12
	s_add_i32 s3, s4, s3
	s_load_dwordx2 s[4:5], s[0:1], 0x8
	s_load_dwordx2 s[14:15], s[0:1], 0x18
	s_mul_i32 s7, s21, s12
	s_add_i32 s13, s3, s7
	s_mul_i32 s12, s20, s12
	s_lshl_b32 s6, s20, 2
	s_lshl_b64 s[12:13], s[12:13], 3
	s_load_dword s18, s[0:1], 0x3c
	s_waitcnt lgkmcnt(0)
	s_add_u32 s0, s14, s12
	s_addc_u32 s1, s15, s13
	s_lshl_b64 s[14:15], s[20:21], 2
	s_add_u32 s12, s0, s14
	s_addc_u32 s3, s1, s15
	s_and_b32 s13, s3, 0xffff
	s_mul_i32 s3, s2, s21
	s_mul_hi_u32 s16, s2, s20
	s_add_i32 s3, s16, s3
	s_mul_i32 s2, s2, s20
	s_and_b32 s1, s1, 0xffff
	s_lshl_b64 s[2:3], s[2:3], 3
	s_add_u32 s16, s4, s2
	s_addc_u32 s2, s5, s3
	s_add_u32 s4, s16, s14
	s_mov_b32 s11, 0x20000
	s_addc_u32 s3, s2, s15
	s_and_b32 s22, s18, 0xffff
                                        ; implicit-def: $vgpr5
                                        ; implicit-def: $vgpr5
	;; [unrolled: 1-line block ×4, first 2 shown]
	s_mov_b32 s7, s11
	s_and_b32 s17, s2, 0xffff
	s_and_b32 s5, s3, 0xffff
	s_mov_b32 s23, 0
	v_mov_b32_e32 v1, 0
	v_lshlrev_b32_e32 v2, 1, v0
	s_lshl_b32 s26, s22, 1
	v_lshlrev_b32_e32 v3, 2, v0
	s_lshl_b32 s27, s22, 2
	s_mov_b64 s[24:25], 0
	s_mov_b32 s18, s6
	s_mov_b32 s19, s11
	;; [unrolled: 1-line block ×11, first 2 shown]
	v_mov_b32_e32 v4, 0x3ba10414
	s_brev_b32 s38, -2
	v_mov_b32_e32 v5, 0xb9c68948
	v_mov_b32_e32 v6, 0x7f800000
	s_branch .LBB469_9
.LBB469_8:                              ;   in Loop: Header=BB469_9 Depth=1
	s_or_b64 exec, exec, s[2:3]
	s_waitcnt vmcnt(0)
	v_add_f32_e32 v7, v7, v8
	v_mul_f32_e32 v8, 0.5, v9
	v_bfi_b32 v9, s38, v11, v10
	v_add_f32_e32 v9, 1.0, v9
	v_mul_f32_e32 v8, v8, v9
	v_lshl_add_u64 v[0:1], v[0:1], 0, s[22:23]
	v_fma_mixlo_f16 v7, v7, v8, 0
	v_cmp_le_i64_e32 vcc, s[20:21], v[0:1]
	buffer_store_short v7, v2, s[8:11], 0 offen
	v_add_u32_e32 v2, s26, v2
	s_or_b64 s[24:25], vcc, s[24:25]
	v_add_u32_e32 v3, s27, v3
	s_andn2_b64 exec, exec, s[24:25]
	s_cbranch_execz .LBB469_13
.LBB469_9:                              ; =>This Inner Loop Header: Depth=1
	s_mov_b32 s2, s6
	s_mov_b32 s3, s7
	buffer_load_dword v9, v3, s[16:19], 0 offen
	buffer_load_dword v7, v3, s[4:7], 0 offen
	;; [unrolled: 1-line block ×3, first 2 shown]
	s_mov_b32 s14, s6
	s_mov_b32 s15, s7
	buffer_load_dword v8, v3, s[12:15], 0 offen
                                        ; implicit-def: $vgpr11
	s_waitcnt vmcnt(1)
	v_add_f32_e32 v9, v9, v10
	v_mul_f32_e32 v10, 0x3f3504f3, v9
	v_cmp_nlt_f32_e64 s[2:3], |v10|, 1.0
	s_and_saveexec_b64 s[14:15], s[2:3]
	s_xor_b64 s[2:3], exec, s[14:15]
	s_cbranch_execz .LBB469_11
; %bb.10:                               ;   in Loop: Header=BB469_9 Depth=1
	v_fma_f32 v11, |v10|, s28, v5
	v_fma_f32 v11, |v10|, v11, s29
	;; [unrolled: 1-line block ×6, first 2 shown]
	v_fma_f32 v11, |v10|, v11, |v10|
	v_mul_f32_e32 v12, 0xbfb8aa3b, v11
	v_fma_f32 v13, v11, s35, -v12
	v_rndne_f32_e32 v14, v12
	v_fmac_f32_e32 v13, 0xb2a5705f, v11
	v_sub_f32_e32 v12, v12, v14
	v_add_f32_e32 v12, v12, v13
	v_cvt_i32_f32_e32 v13, v14
	v_exp_f32_e32 v12, v12
	v_cmp_nlt_f32_e32 vcc, s36, v11
	v_ldexp_f32 v12, v12, v13
	s_nop 0
	v_cndmask_b32_e32 v12, 0, v12, vcc
	v_cmp_ngt_f32_e32 vcc, s37, v11
	s_nop 1
	v_cndmask_b32_e32 v11, v6, v12, vcc
	v_sub_f32_e32 v11, 1.0, v11
.LBB469_11:                             ;   in Loop: Header=BB469_9 Depth=1
	s_andn2_saveexec_b64 s[2:3], s[2:3]
	s_cbranch_execz .LBB469_8
; %bb.12:                               ;   in Loop: Header=BB469_9 Depth=1
	v_mul_f32_e32 v11, v10, v10
	v_fmamk_f32 v12, v11, 0xba1345e1, v4
	v_fmaak_f32 v12, v11, v12, 0xbcdac9b8
	v_fmaak_f32 v12, v11, v12, 0x3de703be
	;; [unrolled: 1-line block ×4, first 2 shown]
	v_fma_f32 v11, |v10|, v11, |v10|
	s_branch .LBB469_8
.LBB469_13:
	s_endpgm
	.section	.rodata,"a",@progbits
	.p2align	6, 0x0
	.amdhsa_kernel _ZN5aiter23act_and_mul_bias_kernelIfDF16_lfTnPFfRKT2_EXadL_ZNS_11gelu_kernelIfEEfRKT_EELi1EEEvPT0_PS8_PKT1_PS2_il
		.amdhsa_group_segment_fixed_size 0
		.amdhsa_private_segment_fixed_size 0
		.amdhsa_kernarg_size 304
		.amdhsa_user_sgpr_count 2
		.amdhsa_user_sgpr_dispatch_ptr 0
		.amdhsa_user_sgpr_queue_ptr 0
		.amdhsa_user_sgpr_kernarg_segment_ptr 1
		.amdhsa_user_sgpr_dispatch_id 0
		.amdhsa_user_sgpr_kernarg_preload_length 0
		.amdhsa_user_sgpr_kernarg_preload_offset 0
		.amdhsa_user_sgpr_private_segment_size 0
		.amdhsa_uses_dynamic_stack 0
		.amdhsa_enable_private_segment 0
		.amdhsa_system_sgpr_workgroup_id_x 1
		.amdhsa_system_sgpr_workgroup_id_y 0
		.amdhsa_system_sgpr_workgroup_id_z 0
		.amdhsa_system_sgpr_workgroup_info 0
		.amdhsa_system_vgpr_workitem_id 0
		.amdhsa_next_free_vgpr 15
		.amdhsa_next_free_sgpr 39
		.amdhsa_accum_offset 16
		.amdhsa_reserve_vcc 1
		.amdhsa_float_round_mode_32 0
		.amdhsa_float_round_mode_16_64 0
		.amdhsa_float_denorm_mode_32 3
		.amdhsa_float_denorm_mode_16_64 3
		.amdhsa_dx10_clamp 1
		.amdhsa_ieee_mode 1
		.amdhsa_fp16_overflow 0
		.amdhsa_tg_split 0
		.amdhsa_exception_fp_ieee_invalid_op 0
		.amdhsa_exception_fp_denorm_src 0
		.amdhsa_exception_fp_ieee_div_zero 0
		.amdhsa_exception_fp_ieee_overflow 0
		.amdhsa_exception_fp_ieee_underflow 0
		.amdhsa_exception_fp_ieee_inexact 0
		.amdhsa_exception_int_div_zero 0
	.end_amdhsa_kernel
	.section	.text._ZN5aiter23act_and_mul_bias_kernelIfDF16_lfTnPFfRKT2_EXadL_ZNS_11gelu_kernelIfEEfRKT_EELi1EEEvPT0_PS8_PKT1_PS2_il,"axG",@progbits,_ZN5aiter23act_and_mul_bias_kernelIfDF16_lfTnPFfRKT2_EXadL_ZNS_11gelu_kernelIfEEfRKT_EELi1EEEvPT0_PS8_PKT1_PS2_il,comdat
.Lfunc_end469:
	.size	_ZN5aiter23act_and_mul_bias_kernelIfDF16_lfTnPFfRKT2_EXadL_ZNS_11gelu_kernelIfEEfRKT_EELi1EEEvPT0_PS8_PKT1_PS2_il, .Lfunc_end469-_ZN5aiter23act_and_mul_bias_kernelIfDF16_lfTnPFfRKT2_EXadL_ZNS_11gelu_kernelIfEEfRKT_EELi1EEEvPT0_PS8_PKT1_PS2_il
                                        ; -- End function
	.section	.AMDGPU.csdata,"",@progbits
; Kernel info:
; codeLenInByte = 964
; NumSgprs: 45
; NumVgprs: 15
; NumAgprs: 0
; TotalNumVgprs: 15
; ScratchSize: 0
; MemoryBound: 0
; FloatMode: 240
; IeeeMode: 1
; LDSByteSize: 0 bytes/workgroup (compile time only)
; SGPRBlocks: 5
; VGPRBlocks: 1
; NumSGPRsForWavesPerEU: 45
; NumVGPRsForWavesPerEU: 15
; AccumOffset: 16
; Occupancy: 8
; WaveLimiterHint : 0
; COMPUTE_PGM_RSRC2:SCRATCH_EN: 0
; COMPUTE_PGM_RSRC2:USER_SGPR: 2
; COMPUTE_PGM_RSRC2:TRAP_HANDLER: 0
; COMPUTE_PGM_RSRC2:TGID_X_EN: 1
; COMPUTE_PGM_RSRC2:TGID_Y_EN: 0
; COMPUTE_PGM_RSRC2:TGID_Z_EN: 0
; COMPUTE_PGM_RSRC2:TIDIG_COMP_CNT: 0
; COMPUTE_PGM_RSRC3_GFX90A:ACCUM_OFFSET: 3
; COMPUTE_PGM_RSRC3_GFX90A:TG_SPLIT: 0
	.section	.text._ZN5aiter23act_and_mul_bias_kernelIfflfTnPFfRKT2_EXadL_ZNS_11gelu_kernelIfEEfRKT_EELi16EEEvPT0_PS8_PKT1_PS2_il,"axG",@progbits,_ZN5aiter23act_and_mul_bias_kernelIfflfTnPFfRKT2_EXadL_ZNS_11gelu_kernelIfEEfRKT_EELi16EEEvPT0_PS8_PKT1_PS2_il,comdat
	.protected	_ZN5aiter23act_and_mul_bias_kernelIfflfTnPFfRKT2_EXadL_ZNS_11gelu_kernelIfEEfRKT_EELi16EEEvPT0_PS8_PKT1_PS2_il ; -- Begin function _ZN5aiter23act_and_mul_bias_kernelIfflfTnPFfRKT2_EXadL_ZNS_11gelu_kernelIfEEfRKT_EELi16EEEvPT0_PS8_PKT1_PS2_il
	.globl	_ZN5aiter23act_and_mul_bias_kernelIfflfTnPFfRKT2_EXadL_ZNS_11gelu_kernelIfEEfRKT_EELi16EEEvPT0_PS8_PKT1_PS2_il
	.p2align	8
	.type	_ZN5aiter23act_and_mul_bias_kernelIfflfTnPFfRKT2_EXadL_ZNS_11gelu_kernelIfEEfRKT_EELi16EEEvPT0_PS8_PKT1_PS2_il,@function
_ZN5aiter23act_and_mul_bias_kernelIfflfTnPFfRKT2_EXadL_ZNS_11gelu_kernelIfEEfRKT_EELi16EEEvPT0_PS8_PKT1_PS2_il: ; @_ZN5aiter23act_and_mul_bias_kernelIfflfTnPFfRKT2_EXadL_ZNS_11gelu_kernelIfEEfRKT_EELi16EEEvPT0_PS8_PKT1_PS2_il
; %bb.0:
	s_load_dword s24, s[0:1], 0x20
	s_load_dwordx2 s[4:5], s[0:1], 0x0
	s_load_dwordx2 s[6:7], s[0:1], 0x10
	;; [unrolled: 1-line block ×3, first 2 shown]
	s_mov_b32 s3, 0
	s_waitcnt lgkmcnt(0)
	s_ashr_i32 s25, s24, 31
	s_lshl_b64 s[8:9], s[2:3], 3
	s_add_u32 s6, s6, s8
	s_addc_u32 s7, s7, s9
	s_load_dwordx2 s[8:9], s[6:7], 0x0
	s_mul_hi_u32 s3, s24, s2
	s_mul_i32 s7, s25, s2
	s_add_i32 s11, s3, s7
	s_mul_i32 s10, s24, s2
	s_lshl_b32 s6, s24, 2
	s_lshl_b64 s[10:11], s[10:11], 2
	v_mov_b64_e32 v[2:3], s[12:13]
	s_add_u32 s4, s4, s10
	s_waitcnt lgkmcnt(0)
	v_cmp_gt_i64_e64 s[14:15], s[8:9], -1
	v_cmp_lt_i64_e32 vcc, s[8:9], v[2:3]
	s_addc_u32 s3, s5, s11
	s_and_b64 s[12:13], s[14:15], vcc
	s_and_b32 s5, s3, 0xffff
	s_mov_b64 s[10:11], -1
	s_and_b64 vcc, exec, s[12:13]
	v_lshlrev_b32_e32 v64, 4, v0
	s_cbranch_vccnz .LBB470_5
; %bb.1:
	v_cmp_gt_i32_e32 vcc, s24, v64
	s_and_saveexec_b64 s[10:11], vcc
	s_cbranch_execz .LBB470_4
; %bb.2:
	s_load_dword s3, s[0:1], 0x3c
	s_mov_b32 s13, 0
	s_mov_b32 s16, s13
	;; [unrolled: 1-line block ×3, first 2 shown]
	v_mov_b32_e32 v65, 0
	v_lshlrev_b32_e32 v6, 6, v0
	s_waitcnt lgkmcnt(0)
	s_and_b32 s3, s3, 0xffff
	s_mov_b32 s18, s13
	s_mov_b32 s19, s13
	v_mov_b64_e32 v[0:1], s[16:17]
	s_lshl_b32 s12, s3, 4
	s_lshl_b32 s3, s3, 6
	s_mov_b64 s[14:15], 0
	s_mov_b32 s7, 0x20000
	v_mov_b64_e32 v[2:3], s[18:19]
	v_mov_b64_e32 v[4:5], v[64:65]
.LBB470_3:                              ; =>This Inner Loop Header: Depth=1
	v_lshl_add_u64 v[4:5], s[12:13], 0, v[4:5]
	v_cmp_le_i64_e32 vcc, s[24:25], v[4:5]
	buffer_store_dwordx4 v[0:3], v6, s[4:7], 0 offen
	buffer_store_dwordx4 v[0:3], v6, s[4:7], 16 offen
	;; [unrolled: 1-line block ×4, first 2 shown]
	s_or_b64 s[14:15], vcc, s[14:15]
	v_add_u32_e32 v6, s3, v6
	s_andn2_b64 exec, exec, s[14:15]
	s_cbranch_execnz .LBB470_3
.LBB470_4:
	s_or_b64 exec, exec, s[10:11]
	s_mov_b64 s[10:11], 0
.LBB470_5:
	s_andn2_b64 vcc, exec, s[10:11]
	s_cbranch_vccnz .LBB470_73
; %bb.6:
	v_cmp_gt_i32_e32 vcc, s24, v64
	s_and_saveexec_b64 s[10:11], vcc
	s_cbranch_execz .LBB470_73
; %bb.7:
	s_load_dwordx2 s[10:11], s[0:1], 0x8
	s_load_dwordx2 s[12:13], s[0:1], 0x18
	s_mul_i32 s3, s24, s9
	s_mul_hi_u32 s7, s24, s8
	s_add_i32 s3, s7, s3
	s_mul_i32 s7, s25, s8
	s_add_i32 s9, s3, s7
	s_mul_i32 s8, s24, s8
	s_lshl_b64 s[8:9], s[8:9], 3
	s_waitcnt lgkmcnt(0)
	s_add_u32 s8, s12, s8
	s_addc_u32 s3, s13, s9
	s_lshl_b64 s[14:15], s[24:25], 2
	s_add_u32 s12, s8, s14
	s_addc_u32 s13, s3, s15
	s_and_b32 s9, s3, 0xffff
	s_mul_i32 s3, s2, s25
	s_mul_hi_u32 s16, s2, s24
	s_add_i32 s3, s16, s3
	s_mul_i32 s2, s2, s24
	s_and_b32 s13, s13, 0xffff
	s_lshl_b64 s[2:3], s[2:3], 3
	s_add_u32 s16, s10, s2
	s_addc_u32 s2, s11, s3
	s_add_u32 s20, s16, s14
	s_addc_u32 s3, s2, s15
	s_and_b32 s17, s2, 0xffff
	s_and_b32 s21, s3, 0xffff
	s_mov_b32 s7, 0x20000
	s_add_u32 s0, s0, 48
	v_mov_b32_e32 v65, 0
	s_addc_u32 s1, s1, 0
	s_mov_b64 s[2:3], 0
	s_mov_b32 s11, s7
	s_mov_b32 s10, s6
	;; [unrolled: 1-line block ×14, first 2 shown]
	v_mov_b32_e32 v66, 0x3ba10414
	s_brev_b32 s38, -2
	s_mov_b32 s22, s6
	s_mov_b32 s23, s7
	v_mov_b32_e32 v67, 0xb9c68948
	v_mov_b32_e32 v68, 0x7f800000
                                        ; implicit-def: $vgpr0
                                        ; implicit-def: $vgpr0
	;; [unrolled: 1-line block ×4, first 2 shown]
	s_branch .LBB470_9
.LBB470_8:                              ;   in Loop: Header=BB470_9 Depth=1
	s_or_b64 exec, exec, s[14:15]
	v_bfi_b32 v5, s38, v8, v5
	v_mul_f32_e32 v4, 0.5, v4
	v_add_f32_e32 v5, 1.0, v5
	v_add_f32_e32 v2, v2, v6
	v_bfi_b32 v6, s38, v11, v10
	v_mul_f32_e32 v4, v4, v5
	v_add_f32_e32 v3, v3, v7
	v_mul_f32_e32 v5, 0.5, v9
	v_add_f32_e32 v6, 1.0, v6
	v_mul_f32_e32 v5, v5, v6
	;;#ASMSTART
	v_pk_mul_f32 v[2:3], v[4:5], v[2:3]
	;;#ASMEND
	s_load_dword s14, s[0:1], 0xc
	buffer_store_dwordx4 v[16:19], v69, s[4:7], 0 offen
	buffer_store_dwordx4 v[36:39], v69, s[4:7], 16 offen
	;; [unrolled: 1-line block ×4, first 2 shown]
	s_waitcnt lgkmcnt(0)
	s_and_b32 s14, s14, 0xffff
	s_lshl_b32 s26, s14, 4
	v_lshl_add_u64 v[64:65], s[26:27], 0, v[64:65]
	v_cmp_le_i64_e32 vcc, s[24:25], v[64:65]
	s_or_b64 s[2:3], vcc, s[2:3]
	s_andn2_b64 exec, exec, s[2:3]
	s_cbranch_execz .LBB470_73
.LBB470_9:                              ; =>This Inner Loop Header: Depth=1
	v_lshlrev_b32_e32 v69, 2, v64
	s_mov_b32 s14, s10
	s_mov_b32 s15, s11
	buffer_load_dwordx4 v[56:59], v69, s[16:19], 0 offen
	buffer_load_dwordx4 v[44:47], v69, s[16:19], 16 offen
	;; [unrolled: 1-line block ×16, first 2 shown]
                                        ; implicit-def: $vgpr70
	s_waitcnt vmcnt(7)
	v_add_f32_e32 v56, v56, v60
	v_mul_f32_e32 v60, 0x3f3504f3, v56
	v_cmp_nlt_f32_e64 s[14:15], |v60|, 1.0
	s_and_saveexec_b64 s[40:41], s[14:15]
	s_xor_b64 s[14:15], exec, s[40:41]
	s_cbranch_execz .LBB470_11
; %bb.10:                               ;   in Loop: Header=BB470_9 Depth=1
	v_fma_f32 v70, |v60|, s28, v67
	v_fma_f32 v70, |v60|, v70, s29
	;; [unrolled: 1-line block ×6, first 2 shown]
	v_fma_f32 v70, |v60|, v70, |v60|
	v_mul_f32_e32 v71, 0xbfb8aa3b, v70
	v_fma_f32 v72, v70, s35, -v71
	v_rndne_f32_e32 v73, v71
	v_fmac_f32_e32 v72, 0xb2a5705f, v70
	v_sub_f32_e32 v71, v71, v73
	v_add_f32_e32 v71, v71, v72
	v_cvt_i32_f32_e32 v72, v73
	v_exp_f32_e32 v71, v71
	v_cmp_nlt_f32_e32 vcc, s36, v70
	v_ldexp_f32 v71, v71, v72
	s_nop 0
	v_cndmask_b32_e32 v71, 0, v71, vcc
	v_cmp_ngt_f32_e32 vcc, s37, v70
	s_nop 1
	v_cndmask_b32_e32 v70, v68, v71, vcc
	v_sub_f32_e32 v70, 1.0, v70
.LBB470_11:                             ;   in Loop: Header=BB470_9 Depth=1
	s_andn2_saveexec_b64 s[14:15], s[14:15]
; %bb.12:                               ;   in Loop: Header=BB470_9 Depth=1
	v_mul_f32_e32 v70, v60, v60
	v_fmamk_f32 v71, v70, 0xba1345e1, v66
	v_fmaak_f32 v71, v70, v71, 0xbcdac9b8
	v_fmaak_f32 v71, v70, v71, 0x3de703be
	;; [unrolled: 1-line block ×4, first 2 shown]
	v_fma_f32 v70, |v60|, v70, |v60|
; %bb.13:                               ;   in Loop: Header=BB470_9 Depth=1
	s_or_b64 exec, exec, s[14:15]
	v_add_f32_e32 v57, v57, v61
	v_mul_f32_e32 v61, 0x3f3504f3, v57
	v_cmp_nlt_f32_e64 s[14:15], |v61|, 1.0
                                        ; implicit-def: $vgpr71
	s_and_saveexec_b64 s[40:41], s[14:15]
	s_xor_b64 s[14:15], exec, s[40:41]
	s_cbranch_execz .LBB470_15
; %bb.14:                               ;   in Loop: Header=BB470_9 Depth=1
	v_fma_f32 v71, |v61|, s28, v67
	v_fma_f32 v71, |v61|, v71, s29
	v_fma_f32 v71, |v61|, v71, s30
	v_fma_f32 v71, |v61|, v71, s31
	v_fma_f32 v71, |v61|, v71, s33
	v_fma_f32 v71, |v61|, v71, s34
	v_fma_f32 v71, |v61|, v71, |v61|
	v_mul_f32_e32 v72, 0xbfb8aa3b, v71
	v_fma_f32 v73, v71, s35, -v72
	v_rndne_f32_e32 v74, v72
	v_fmac_f32_e32 v73, 0xb2a5705f, v71
	v_sub_f32_e32 v72, v72, v74
	v_add_f32_e32 v72, v72, v73
	v_cvt_i32_f32_e32 v73, v74
	v_exp_f32_e32 v72, v72
	v_cmp_nlt_f32_e32 vcc, s36, v71
	v_ldexp_f32 v72, v72, v73
	s_nop 0
	v_cndmask_b32_e32 v72, 0, v72, vcc
	v_cmp_ngt_f32_e32 vcc, s37, v71
	s_nop 1
	v_cndmask_b32_e32 v71, v68, v72, vcc
	v_sub_f32_e32 v71, 1.0, v71
.LBB470_15:                             ;   in Loop: Header=BB470_9 Depth=1
	s_andn2_saveexec_b64 s[14:15], s[14:15]
; %bb.16:                               ;   in Loop: Header=BB470_9 Depth=1
	v_mul_f32_e32 v71, v61, v61
	v_fmamk_f32 v72, v71, 0xba1345e1, v66
	v_fmaak_f32 v72, v71, v72, 0xbcdac9b8
	v_fmaak_f32 v72, v71, v72, 0x3de703be
	;; [unrolled: 1-line block ×4, first 2 shown]
	v_fma_f32 v71, |v61|, v71, |v61|
; %bb.17:                               ;   in Loop: Header=BB470_9 Depth=1
	s_or_b64 exec, exec, s[14:15]
	s_waitcnt vmcnt(3)
	v_add_f32_e32 v17, v17, v53
	v_bfi_b32 v53, s38, v71, v61
	v_add_f32_e32 v16, v16, v52
	v_mul_f32_e32 v52, 0.5, v57
	v_add_f32_e32 v53, 1.0, v53
	v_bfi_b32 v60, s38, v70, v60
	v_mul_f32_e32 v57, v52, v53
	v_add_f32_e32 v52, v58, v62
	v_mul_f32_e32 v56, 0.5, v56
	v_add_f32_e32 v60, 1.0, v60
	v_mul_f32_e32 v53, 0x3f3504f3, v52
	v_mul_f32_e32 v56, v56, v60
	v_cmp_nlt_f32_e64 s[14:15], |v53|, 1.0
	;;#ASMSTART
	v_pk_mul_f32 v[16:17], v[56:57], v[16:17]
	;;#ASMEND
                                        ; implicit-def: $vgpr56
	s_and_saveexec_b64 s[40:41], s[14:15]
	s_xor_b64 s[14:15], exec, s[40:41]
	s_cbranch_execz .LBB470_19
; %bb.18:                               ;   in Loop: Header=BB470_9 Depth=1
	v_fma_f32 v56, |v53|, s28, v67
	v_fma_f32 v56, |v53|, v56, s29
	;; [unrolled: 1-line block ×6, first 2 shown]
	v_fma_f32 v56, |v53|, v56, |v53|
	v_mul_f32_e32 v57, 0xbfb8aa3b, v56
	v_fma_f32 v58, v56, s35, -v57
	v_rndne_f32_e32 v60, v57
	v_fmac_f32_e32 v58, 0xb2a5705f, v56
	v_sub_f32_e32 v57, v57, v60
	v_add_f32_e32 v57, v57, v58
	v_cvt_i32_f32_e32 v58, v60
	v_exp_f32_e32 v57, v57
	v_cmp_nlt_f32_e32 vcc, s36, v56
	v_ldexp_f32 v57, v57, v58
	s_nop 0
	v_cndmask_b32_e32 v57, 0, v57, vcc
	v_cmp_ngt_f32_e32 vcc, s37, v56
	s_nop 1
	v_cndmask_b32_e32 v56, v68, v57, vcc
	v_sub_f32_e32 v56, 1.0, v56
.LBB470_19:                             ;   in Loop: Header=BB470_9 Depth=1
	s_andn2_saveexec_b64 s[14:15], s[14:15]
; %bb.20:                               ;   in Loop: Header=BB470_9 Depth=1
	v_mul_f32_e32 v56, v53, v53
	v_fmamk_f32 v57, v56, 0xba1345e1, v66
	v_fmaak_f32 v57, v56, v57, 0xbcdac9b8
	v_fmaak_f32 v57, v56, v57, 0x3de703be
	;; [unrolled: 1-line block ×4, first 2 shown]
	v_fma_f32 v56, |v53|, v56, |v53|
; %bb.21:                               ;   in Loop: Header=BB470_9 Depth=1
	s_or_b64 exec, exec, s[14:15]
	v_add_f32_e32 v57, v59, v63
	v_mul_f32_e32 v58, 0x3f3504f3, v57
	v_cmp_nlt_f32_e64 s[14:15], |v58|, 1.0
                                        ; implicit-def: $vgpr59
	s_and_saveexec_b64 s[40:41], s[14:15]
	s_xor_b64 s[14:15], exec, s[40:41]
	s_cbranch_execz .LBB470_23
; %bb.22:                               ;   in Loop: Header=BB470_9 Depth=1
	v_fma_f32 v59, |v58|, s28, v67
	v_fma_f32 v59, |v58|, v59, s29
	;; [unrolled: 1-line block ×6, first 2 shown]
	v_fma_f32 v59, |v58|, v59, |v58|
	v_mul_f32_e32 v60, 0xbfb8aa3b, v59
	v_fma_f32 v61, v59, s35, -v60
	v_rndne_f32_e32 v62, v60
	v_fmac_f32_e32 v61, 0xb2a5705f, v59
	v_sub_f32_e32 v60, v60, v62
	v_add_f32_e32 v60, v60, v61
	v_cvt_i32_f32_e32 v61, v62
	v_exp_f32_e32 v60, v60
	v_cmp_nlt_f32_e32 vcc, s36, v59
	v_ldexp_f32 v60, v60, v61
	s_nop 0
	v_cndmask_b32_e32 v60, 0, v60, vcc
	v_cmp_ngt_f32_e32 vcc, s37, v59
	s_nop 1
	v_cndmask_b32_e32 v59, v68, v60, vcc
	v_sub_f32_e32 v59, 1.0, v59
.LBB470_23:                             ;   in Loop: Header=BB470_9 Depth=1
	s_andn2_saveexec_b64 s[14:15], s[14:15]
; %bb.24:                               ;   in Loop: Header=BB470_9 Depth=1
	v_mul_f32_e32 v59, v58, v58
	v_fmamk_f32 v60, v59, 0xba1345e1, v66
	v_fmaak_f32 v60, v59, v60, 0xbcdac9b8
	v_fmaak_f32 v60, v59, v60, 0x3de703be
	;; [unrolled: 1-line block ×4, first 2 shown]
	v_fma_f32 v59, |v58|, v59, |v58|
; %bb.25:                               ;   in Loop: Header=BB470_9 Depth=1
	s_or_b64 exec, exec, s[14:15]
	v_bfi_b32 v53, s38, v56, v53
	v_add_f32_e32 v44, v44, v48
	v_mul_f32_e32 v52, 0.5, v52
	v_add_f32_e32 v53, 1.0, v53
	v_add_f32_e32 v18, v18, v54
	v_bfi_b32 v54, s38, v59, v58
	v_mul_f32_e32 v48, 0x3f3504f3, v44
	v_mul_f32_e32 v52, v52, v53
	v_add_f32_e32 v19, v19, v55
	v_mul_f32_e32 v53, 0.5, v57
	v_add_f32_e32 v54, 1.0, v54
	v_cmp_nlt_f32_e64 s[14:15], |v48|, 1.0
	v_mul_f32_e32 v53, v53, v54
	;;#ASMSTART
	v_pk_mul_f32 v[18:19], v[52:53], v[18:19]
	;;#ASMEND
                                        ; implicit-def: $vgpr52
	s_and_saveexec_b64 s[40:41], s[14:15]
	s_xor_b64 s[14:15], exec, s[40:41]
	s_cbranch_execz .LBB470_27
; %bb.26:                               ;   in Loop: Header=BB470_9 Depth=1
	v_fma_f32 v52, |v48|, s28, v67
	v_fma_f32 v52, |v48|, v52, s29
	;; [unrolled: 1-line block ×6, first 2 shown]
	v_fma_f32 v52, |v48|, v52, |v48|
	v_mul_f32_e32 v53, 0xbfb8aa3b, v52
	v_fma_f32 v54, v52, s35, -v53
	v_rndne_f32_e32 v55, v53
	v_fmac_f32_e32 v54, 0xb2a5705f, v52
	v_sub_f32_e32 v53, v53, v55
	v_add_f32_e32 v53, v53, v54
	v_cvt_i32_f32_e32 v54, v55
	v_exp_f32_e32 v53, v53
	v_cmp_nlt_f32_e32 vcc, s36, v52
	v_ldexp_f32 v53, v53, v54
	s_nop 0
	v_cndmask_b32_e32 v53, 0, v53, vcc
	v_cmp_ngt_f32_e32 vcc, s37, v52
	s_nop 1
	v_cndmask_b32_e32 v52, v68, v53, vcc
	v_sub_f32_e32 v52, 1.0, v52
.LBB470_27:                             ;   in Loop: Header=BB470_9 Depth=1
	s_andn2_saveexec_b64 s[14:15], s[14:15]
; %bb.28:                               ;   in Loop: Header=BB470_9 Depth=1
	v_mul_f32_e32 v52, v48, v48
	v_fmamk_f32 v53, v52, 0xba1345e1, v66
	v_fmaak_f32 v53, v52, v53, 0xbcdac9b8
	v_fmaak_f32 v53, v52, v53, 0x3de703be
	;; [unrolled: 1-line block ×4, first 2 shown]
	v_fma_f32 v52, |v48|, v52, |v48|
; %bb.29:                               ;   in Loop: Header=BB470_9 Depth=1
	s_or_b64 exec, exec, s[14:15]
	v_add_f32_e32 v45, v45, v49
	v_mul_f32_e32 v49, 0x3f3504f3, v45
	v_cmp_nlt_f32_e64 s[14:15], |v49|, 1.0
                                        ; implicit-def: $vgpr53
	s_and_saveexec_b64 s[40:41], s[14:15]
	s_xor_b64 s[14:15], exec, s[40:41]
	s_cbranch_execz .LBB470_31
; %bb.30:                               ;   in Loop: Header=BB470_9 Depth=1
	v_fma_f32 v53, |v49|, s28, v67
	v_fma_f32 v53, |v49|, v53, s29
	;; [unrolled: 1-line block ×6, first 2 shown]
	v_fma_f32 v53, |v49|, v53, |v49|
	v_mul_f32_e32 v54, 0xbfb8aa3b, v53
	v_fma_f32 v55, v53, s35, -v54
	v_rndne_f32_e32 v56, v54
	v_fmac_f32_e32 v55, 0xb2a5705f, v53
	v_sub_f32_e32 v54, v54, v56
	v_add_f32_e32 v54, v54, v55
	v_cvt_i32_f32_e32 v55, v56
	v_exp_f32_e32 v54, v54
	v_cmp_nlt_f32_e32 vcc, s36, v53
	v_ldexp_f32 v54, v54, v55
	s_nop 0
	v_cndmask_b32_e32 v54, 0, v54, vcc
	v_cmp_ngt_f32_e32 vcc, s37, v53
	s_nop 1
	v_cndmask_b32_e32 v53, v68, v54, vcc
	v_sub_f32_e32 v53, 1.0, v53
.LBB470_31:                             ;   in Loop: Header=BB470_9 Depth=1
	s_andn2_saveexec_b64 s[14:15], s[14:15]
; %bb.32:                               ;   in Loop: Header=BB470_9 Depth=1
	v_mul_f32_e32 v53, v49, v49
	v_fmamk_f32 v54, v53, 0xba1345e1, v66
	v_fmaak_f32 v54, v53, v54, 0xbcdac9b8
	v_fmaak_f32 v54, v53, v54, 0x3de703be
	v_fmaak_f32 v54, v53, v54, 0xbec09330
	v_fmaak_f32 v53, v53, v54, 0x3e0375d0
	v_fma_f32 v53, |v49|, v53, |v49|
; %bb.33:                               ;   in Loop: Header=BB470_9 Depth=1
	s_or_b64 exec, exec, s[14:15]
	s_waitcnt vmcnt(2)
	v_add_f32_e32 v37, v37, v41
	v_bfi_b32 v41, s38, v53, v49
	v_add_f32_e32 v36, v36, v40
	v_mul_f32_e32 v40, 0.5, v45
	v_add_f32_e32 v41, 1.0, v41
	v_bfi_b32 v48, s38, v52, v48
	v_mul_f32_e32 v45, v40, v41
	v_add_f32_e32 v40, v46, v50
	v_mul_f32_e32 v44, 0.5, v44
	v_add_f32_e32 v48, 1.0, v48
	v_mul_f32_e32 v41, 0x3f3504f3, v40
	v_mul_f32_e32 v44, v44, v48
	v_cmp_nlt_f32_e64 s[14:15], |v41|, 1.0
	;;#ASMSTART
	v_pk_mul_f32 v[36:37], v[44:45], v[36:37]
	;;#ASMEND
                                        ; implicit-def: $vgpr44
	s_and_saveexec_b64 s[40:41], s[14:15]
	s_xor_b64 s[14:15], exec, s[40:41]
	s_cbranch_execz .LBB470_35
; %bb.34:                               ;   in Loop: Header=BB470_9 Depth=1
	v_fma_f32 v44, |v41|, s28, v67
	v_fma_f32 v44, |v41|, v44, s29
	;; [unrolled: 1-line block ×6, first 2 shown]
	v_fma_f32 v44, |v41|, v44, |v41|
	v_mul_f32_e32 v45, 0xbfb8aa3b, v44
	v_fma_f32 v46, v44, s35, -v45
	v_rndne_f32_e32 v48, v45
	v_fmac_f32_e32 v46, 0xb2a5705f, v44
	v_sub_f32_e32 v45, v45, v48
	v_add_f32_e32 v45, v45, v46
	v_cvt_i32_f32_e32 v46, v48
	v_exp_f32_e32 v45, v45
	v_cmp_nlt_f32_e32 vcc, s36, v44
	v_ldexp_f32 v45, v45, v46
	s_nop 0
	v_cndmask_b32_e32 v45, 0, v45, vcc
	v_cmp_ngt_f32_e32 vcc, s37, v44
	s_nop 1
	v_cndmask_b32_e32 v44, v68, v45, vcc
	v_sub_f32_e32 v44, 1.0, v44
.LBB470_35:                             ;   in Loop: Header=BB470_9 Depth=1
	s_andn2_saveexec_b64 s[14:15], s[14:15]
; %bb.36:                               ;   in Loop: Header=BB470_9 Depth=1
	v_mul_f32_e32 v44, v41, v41
	v_fmamk_f32 v45, v44, 0xba1345e1, v66
	v_fmaak_f32 v45, v44, v45, 0xbcdac9b8
	v_fmaak_f32 v45, v44, v45, 0x3de703be
	;; [unrolled: 1-line block ×4, first 2 shown]
	v_fma_f32 v44, |v41|, v44, |v41|
; %bb.37:                               ;   in Loop: Header=BB470_9 Depth=1
	s_or_b64 exec, exec, s[14:15]
	v_add_f32_e32 v45, v47, v51
	v_mul_f32_e32 v46, 0x3f3504f3, v45
	v_cmp_nlt_f32_e64 s[14:15], |v46|, 1.0
                                        ; implicit-def: $vgpr47
	s_and_saveexec_b64 s[40:41], s[14:15]
	s_xor_b64 s[14:15], exec, s[40:41]
	s_cbranch_execz .LBB470_39
; %bb.38:                               ;   in Loop: Header=BB470_9 Depth=1
	v_fma_f32 v47, |v46|, s28, v67
	v_fma_f32 v47, |v46|, v47, s29
	;; [unrolled: 1-line block ×6, first 2 shown]
	v_fma_f32 v47, |v46|, v47, |v46|
	v_mul_f32_e32 v48, 0xbfb8aa3b, v47
	v_fma_f32 v49, v47, s35, -v48
	v_rndne_f32_e32 v50, v48
	v_fmac_f32_e32 v49, 0xb2a5705f, v47
	v_sub_f32_e32 v48, v48, v50
	v_add_f32_e32 v48, v48, v49
	v_cvt_i32_f32_e32 v49, v50
	v_exp_f32_e32 v48, v48
	v_cmp_nlt_f32_e32 vcc, s36, v47
	v_ldexp_f32 v48, v48, v49
	s_nop 0
	v_cndmask_b32_e32 v48, 0, v48, vcc
	v_cmp_ngt_f32_e32 vcc, s37, v47
	s_nop 1
	v_cndmask_b32_e32 v47, v68, v48, vcc
	v_sub_f32_e32 v47, 1.0, v47
.LBB470_39:                             ;   in Loop: Header=BB470_9 Depth=1
	s_andn2_saveexec_b64 s[14:15], s[14:15]
; %bb.40:                               ;   in Loop: Header=BB470_9 Depth=1
	v_mul_f32_e32 v47, v46, v46
	v_fmamk_f32 v48, v47, 0xba1345e1, v66
	v_fmaak_f32 v48, v47, v48, 0xbcdac9b8
	v_fmaak_f32 v48, v47, v48, 0x3de703be
	;; [unrolled: 1-line block ×4, first 2 shown]
	v_fma_f32 v47, |v46|, v47, |v46|
; %bb.41:                               ;   in Loop: Header=BB470_9 Depth=1
	s_or_b64 exec, exec, s[14:15]
	v_bfi_b32 v41, s38, v44, v41
	v_add_f32_e32 v28, v28, v32
	v_mul_f32_e32 v40, 0.5, v40
	v_add_f32_e32 v41, 1.0, v41
	v_add_f32_e32 v38, v38, v42
	v_bfi_b32 v42, s38, v47, v46
	v_mul_f32_e32 v32, 0x3f3504f3, v28
	v_mul_f32_e32 v40, v40, v41
	v_add_f32_e32 v39, v39, v43
	v_mul_f32_e32 v41, 0.5, v45
	v_add_f32_e32 v42, 1.0, v42
	v_cmp_nlt_f32_e64 s[14:15], |v32|, 1.0
	v_mul_f32_e32 v41, v41, v42
	;;#ASMSTART
	v_pk_mul_f32 v[38:39], v[40:41], v[38:39]
	;;#ASMEND
                                        ; implicit-def: $vgpr40
	s_and_saveexec_b64 s[40:41], s[14:15]
	s_xor_b64 s[14:15], exec, s[40:41]
	s_cbranch_execz .LBB470_43
; %bb.42:                               ;   in Loop: Header=BB470_9 Depth=1
	v_fma_f32 v40, |v32|, s28, v67
	v_fma_f32 v40, |v32|, v40, s29
	;; [unrolled: 1-line block ×6, first 2 shown]
	v_fma_f32 v40, |v32|, v40, |v32|
	v_mul_f32_e32 v41, 0xbfb8aa3b, v40
	v_fma_f32 v42, v40, s35, -v41
	v_rndne_f32_e32 v43, v41
	v_fmac_f32_e32 v42, 0xb2a5705f, v40
	v_sub_f32_e32 v41, v41, v43
	v_add_f32_e32 v41, v41, v42
	v_cvt_i32_f32_e32 v42, v43
	v_exp_f32_e32 v41, v41
	v_cmp_nlt_f32_e32 vcc, s36, v40
	v_ldexp_f32 v41, v41, v42
	s_nop 0
	v_cndmask_b32_e32 v41, 0, v41, vcc
	v_cmp_ngt_f32_e32 vcc, s37, v40
	s_nop 1
	v_cndmask_b32_e32 v40, v68, v41, vcc
	v_sub_f32_e32 v40, 1.0, v40
.LBB470_43:                             ;   in Loop: Header=BB470_9 Depth=1
	s_andn2_saveexec_b64 s[14:15], s[14:15]
; %bb.44:                               ;   in Loop: Header=BB470_9 Depth=1
	v_mul_f32_e32 v40, v32, v32
	v_fmamk_f32 v41, v40, 0xba1345e1, v66
	v_fmaak_f32 v41, v40, v41, 0xbcdac9b8
	v_fmaak_f32 v41, v40, v41, 0x3de703be
	;; [unrolled: 1-line block ×4, first 2 shown]
	v_fma_f32 v40, |v32|, v40, |v32|
; %bb.45:                               ;   in Loop: Header=BB470_9 Depth=1
	s_or_b64 exec, exec, s[14:15]
	v_add_f32_e32 v29, v29, v33
	v_mul_f32_e32 v33, 0x3f3504f3, v29
	v_cmp_nlt_f32_e64 s[14:15], |v33|, 1.0
                                        ; implicit-def: $vgpr41
	s_and_saveexec_b64 s[40:41], s[14:15]
	s_xor_b64 s[14:15], exec, s[40:41]
	s_cbranch_execz .LBB470_47
; %bb.46:                               ;   in Loop: Header=BB470_9 Depth=1
	v_fma_f32 v41, |v33|, s28, v67
	v_fma_f32 v41, |v33|, v41, s29
	;; [unrolled: 1-line block ×6, first 2 shown]
	v_fma_f32 v41, |v33|, v41, |v33|
	v_mul_f32_e32 v42, 0xbfb8aa3b, v41
	v_fma_f32 v43, v41, s35, -v42
	v_rndne_f32_e32 v44, v42
	v_fmac_f32_e32 v43, 0xb2a5705f, v41
	v_sub_f32_e32 v42, v42, v44
	v_add_f32_e32 v42, v42, v43
	v_cvt_i32_f32_e32 v43, v44
	v_exp_f32_e32 v42, v42
	v_cmp_nlt_f32_e32 vcc, s36, v41
	v_ldexp_f32 v42, v42, v43
	s_nop 0
	v_cndmask_b32_e32 v42, 0, v42, vcc
	v_cmp_ngt_f32_e32 vcc, s37, v41
	s_nop 1
	v_cndmask_b32_e32 v41, v68, v42, vcc
	v_sub_f32_e32 v41, 1.0, v41
.LBB470_47:                             ;   in Loop: Header=BB470_9 Depth=1
	s_andn2_saveexec_b64 s[14:15], s[14:15]
; %bb.48:                               ;   in Loop: Header=BB470_9 Depth=1
	v_mul_f32_e32 v41, v33, v33
	v_fmamk_f32 v42, v41, 0xba1345e1, v66
	v_fmaak_f32 v42, v41, v42, 0xbcdac9b8
	v_fmaak_f32 v42, v41, v42, 0x3de703be
	;; [unrolled: 1-line block ×4, first 2 shown]
	v_fma_f32 v41, |v33|, v41, |v33|
; %bb.49:                               ;   in Loop: Header=BB470_9 Depth=1
	s_or_b64 exec, exec, s[14:15]
	s_waitcnt vmcnt(1)
	v_add_f32_e32 v21, v21, v25
	v_bfi_b32 v25, s38, v41, v33
	v_add_f32_e32 v20, v20, v24
	v_mul_f32_e32 v24, 0.5, v29
	v_add_f32_e32 v25, 1.0, v25
	v_bfi_b32 v32, s38, v40, v32
	v_mul_f32_e32 v29, v24, v25
	v_add_f32_e32 v24, v30, v34
	v_mul_f32_e32 v28, 0.5, v28
	v_add_f32_e32 v32, 1.0, v32
	v_mul_f32_e32 v25, 0x3f3504f3, v24
	v_mul_f32_e32 v28, v28, v32
	v_cmp_nlt_f32_e64 s[14:15], |v25|, 1.0
	;;#ASMSTART
	v_pk_mul_f32 v[20:21], v[28:29], v[20:21]
	;;#ASMEND
                                        ; implicit-def: $vgpr28
	s_and_saveexec_b64 s[40:41], s[14:15]
	s_xor_b64 s[14:15], exec, s[40:41]
	s_cbranch_execz .LBB470_51
; %bb.50:                               ;   in Loop: Header=BB470_9 Depth=1
	v_fma_f32 v28, |v25|, s28, v67
	v_fma_f32 v28, |v25|, v28, s29
	;; [unrolled: 1-line block ×6, first 2 shown]
	v_fma_f32 v28, |v25|, v28, |v25|
	v_mul_f32_e32 v29, 0xbfb8aa3b, v28
	v_fma_f32 v30, v28, s35, -v29
	v_rndne_f32_e32 v32, v29
	v_fmac_f32_e32 v30, 0xb2a5705f, v28
	v_sub_f32_e32 v29, v29, v32
	v_add_f32_e32 v29, v29, v30
	v_cvt_i32_f32_e32 v30, v32
	v_exp_f32_e32 v29, v29
	v_cmp_nlt_f32_e32 vcc, s36, v28
	v_ldexp_f32 v29, v29, v30
	s_nop 0
	v_cndmask_b32_e32 v29, 0, v29, vcc
	v_cmp_ngt_f32_e32 vcc, s37, v28
	s_nop 1
	v_cndmask_b32_e32 v28, v68, v29, vcc
	v_sub_f32_e32 v28, 1.0, v28
.LBB470_51:                             ;   in Loop: Header=BB470_9 Depth=1
	s_andn2_saveexec_b64 s[14:15], s[14:15]
; %bb.52:                               ;   in Loop: Header=BB470_9 Depth=1
	v_mul_f32_e32 v28, v25, v25
	v_fmamk_f32 v29, v28, 0xba1345e1, v66
	v_fmaak_f32 v29, v28, v29, 0xbcdac9b8
	v_fmaak_f32 v29, v28, v29, 0x3de703be
	;; [unrolled: 1-line block ×4, first 2 shown]
	v_fma_f32 v28, |v25|, v28, |v25|
; %bb.53:                               ;   in Loop: Header=BB470_9 Depth=1
	s_or_b64 exec, exec, s[14:15]
	v_add_f32_e32 v29, v31, v35
	v_mul_f32_e32 v30, 0x3f3504f3, v29
	v_cmp_nlt_f32_e64 s[14:15], |v30|, 1.0
                                        ; implicit-def: $vgpr31
	s_and_saveexec_b64 s[40:41], s[14:15]
	s_xor_b64 s[14:15], exec, s[40:41]
	s_cbranch_execz .LBB470_55
; %bb.54:                               ;   in Loop: Header=BB470_9 Depth=1
	v_fma_f32 v31, |v30|, s28, v67
	v_fma_f32 v31, |v30|, v31, s29
	;; [unrolled: 1-line block ×6, first 2 shown]
	v_fma_f32 v31, |v30|, v31, |v30|
	v_mul_f32_e32 v32, 0xbfb8aa3b, v31
	v_fma_f32 v33, v31, s35, -v32
	v_rndne_f32_e32 v34, v32
	v_fmac_f32_e32 v33, 0xb2a5705f, v31
	v_sub_f32_e32 v32, v32, v34
	v_add_f32_e32 v32, v32, v33
	v_cvt_i32_f32_e32 v33, v34
	v_exp_f32_e32 v32, v32
	v_cmp_nlt_f32_e32 vcc, s36, v31
	v_ldexp_f32 v32, v32, v33
	s_nop 0
	v_cndmask_b32_e32 v32, 0, v32, vcc
	v_cmp_ngt_f32_e32 vcc, s37, v31
	s_nop 1
	v_cndmask_b32_e32 v31, v68, v32, vcc
	v_sub_f32_e32 v31, 1.0, v31
.LBB470_55:                             ;   in Loop: Header=BB470_9 Depth=1
	s_andn2_saveexec_b64 s[14:15], s[14:15]
; %bb.56:                               ;   in Loop: Header=BB470_9 Depth=1
	v_mul_f32_e32 v31, v30, v30
	v_fmamk_f32 v32, v31, 0xba1345e1, v66
	v_fmaak_f32 v32, v31, v32, 0xbcdac9b8
	v_fmaak_f32 v32, v31, v32, 0x3de703be
	;; [unrolled: 1-line block ×4, first 2 shown]
	v_fma_f32 v31, |v30|, v31, |v30|
; %bb.57:                               ;   in Loop: Header=BB470_9 Depth=1
	s_or_b64 exec, exec, s[14:15]
	v_bfi_b32 v25, s38, v28, v25
	v_add_f32_e32 v8, v8, v12
	v_mul_f32_e32 v24, 0.5, v24
	v_add_f32_e32 v25, 1.0, v25
	v_add_f32_e32 v22, v22, v26
	v_bfi_b32 v26, s38, v31, v30
	v_mul_f32_e32 v12, 0x3f3504f3, v8
	v_mul_f32_e32 v24, v24, v25
	v_add_f32_e32 v23, v23, v27
	v_mul_f32_e32 v25, 0.5, v29
	v_add_f32_e32 v26, 1.0, v26
	v_cmp_nlt_f32_e64 s[14:15], |v12|, 1.0
	v_mul_f32_e32 v25, v25, v26
	;;#ASMSTART
	v_pk_mul_f32 v[22:23], v[24:25], v[22:23]
	;;#ASMEND
                                        ; implicit-def: $vgpr24
	s_and_saveexec_b64 s[40:41], s[14:15]
	s_xor_b64 s[14:15], exec, s[40:41]
	s_cbranch_execz .LBB470_59
; %bb.58:                               ;   in Loop: Header=BB470_9 Depth=1
	v_fma_f32 v24, |v12|, s28, v67
	v_fma_f32 v24, |v12|, v24, s29
	;; [unrolled: 1-line block ×6, first 2 shown]
	v_fma_f32 v24, |v12|, v24, |v12|
	v_mul_f32_e32 v25, 0xbfb8aa3b, v24
	v_fma_f32 v26, v24, s35, -v25
	v_rndne_f32_e32 v27, v25
	v_fmac_f32_e32 v26, 0xb2a5705f, v24
	v_sub_f32_e32 v25, v25, v27
	v_add_f32_e32 v25, v25, v26
	v_cvt_i32_f32_e32 v26, v27
	v_exp_f32_e32 v25, v25
	v_cmp_nlt_f32_e32 vcc, s36, v24
	v_ldexp_f32 v25, v25, v26
	s_nop 0
	v_cndmask_b32_e32 v25, 0, v25, vcc
	v_cmp_ngt_f32_e32 vcc, s37, v24
	s_nop 1
	v_cndmask_b32_e32 v24, v68, v25, vcc
	v_sub_f32_e32 v24, 1.0, v24
.LBB470_59:                             ;   in Loop: Header=BB470_9 Depth=1
	s_andn2_saveexec_b64 s[14:15], s[14:15]
; %bb.60:                               ;   in Loop: Header=BB470_9 Depth=1
	v_mul_f32_e32 v24, v12, v12
	v_fmamk_f32 v25, v24, 0xba1345e1, v66
	v_fmaak_f32 v25, v24, v25, 0xbcdac9b8
	v_fmaak_f32 v25, v24, v25, 0x3de703be
	v_fmaak_f32 v25, v24, v25, 0xbec09330
	v_fmaak_f32 v24, v24, v25, 0x3e0375d0
	v_fma_f32 v24, |v12|, v24, |v12|
; %bb.61:                               ;   in Loop: Header=BB470_9 Depth=1
	s_or_b64 exec, exec, s[14:15]
	v_add_f32_e32 v9, v9, v13
	v_mul_f32_e32 v13, 0x3f3504f3, v9
	v_cmp_nlt_f32_e64 s[14:15], |v13|, 1.0
                                        ; implicit-def: $vgpr25
	s_and_saveexec_b64 s[40:41], s[14:15]
	s_xor_b64 s[14:15], exec, s[40:41]
	s_cbranch_execz .LBB470_63
; %bb.62:                               ;   in Loop: Header=BB470_9 Depth=1
	v_fma_f32 v25, |v13|, s28, v67
	v_fma_f32 v25, |v13|, v25, s29
	;; [unrolled: 1-line block ×6, first 2 shown]
	v_fma_f32 v25, |v13|, v25, |v13|
	v_mul_f32_e32 v26, 0xbfb8aa3b, v25
	v_fma_f32 v27, v25, s35, -v26
	v_rndne_f32_e32 v28, v26
	v_fmac_f32_e32 v27, 0xb2a5705f, v25
	v_sub_f32_e32 v26, v26, v28
	v_add_f32_e32 v26, v26, v27
	v_cvt_i32_f32_e32 v27, v28
	v_exp_f32_e32 v26, v26
	v_cmp_nlt_f32_e32 vcc, s36, v25
	v_ldexp_f32 v26, v26, v27
	s_nop 0
	v_cndmask_b32_e32 v26, 0, v26, vcc
	v_cmp_ngt_f32_e32 vcc, s37, v25
	s_nop 1
	v_cndmask_b32_e32 v25, v68, v26, vcc
	v_sub_f32_e32 v25, 1.0, v25
.LBB470_63:                             ;   in Loop: Header=BB470_9 Depth=1
	s_andn2_saveexec_b64 s[14:15], s[14:15]
; %bb.64:                               ;   in Loop: Header=BB470_9 Depth=1
	v_mul_f32_e32 v25, v13, v13
	v_fmamk_f32 v26, v25, 0xba1345e1, v66
	v_fmaak_f32 v26, v25, v26, 0xbcdac9b8
	v_fmaak_f32 v26, v25, v26, 0x3de703be
	;; [unrolled: 1-line block ×4, first 2 shown]
	v_fma_f32 v25, |v13|, v25, |v13|
; %bb.65:                               ;   in Loop: Header=BB470_9 Depth=1
	s_or_b64 exec, exec, s[14:15]
	s_waitcnt vmcnt(0)
	v_add_f32_e32 v1, v1, v5
	v_bfi_b32 v5, s38, v25, v13
	v_add_f32_e32 v0, v0, v4
	v_mul_f32_e32 v4, 0.5, v9
	v_add_f32_e32 v5, 1.0, v5
	v_bfi_b32 v12, s38, v24, v12
	v_mul_f32_e32 v9, v4, v5
	v_add_f32_e32 v4, v10, v14
	v_mul_f32_e32 v8, 0.5, v8
	v_add_f32_e32 v12, 1.0, v12
	v_mul_f32_e32 v5, 0x3f3504f3, v4
	v_mul_f32_e32 v8, v8, v12
	v_cmp_nlt_f32_e64 s[14:15], |v5|, 1.0
	;;#ASMSTART
	v_pk_mul_f32 v[0:1], v[8:9], v[0:1]
	;;#ASMEND
                                        ; implicit-def: $vgpr8
	s_and_saveexec_b64 s[40:41], s[14:15]
	s_xor_b64 s[14:15], exec, s[40:41]
	s_cbranch_execz .LBB470_67
; %bb.66:                               ;   in Loop: Header=BB470_9 Depth=1
	v_fma_f32 v8, |v5|, s28, v67
	v_fma_f32 v8, |v5|, v8, s29
	v_fma_f32 v8, |v5|, v8, s30
	v_fma_f32 v8, |v5|, v8, s31
	v_fma_f32 v8, |v5|, v8, s33
	v_fma_f32 v8, |v5|, v8, s34
	v_fma_f32 v8, |v5|, v8, |v5|
	v_mul_f32_e32 v9, 0xbfb8aa3b, v8
	v_fma_f32 v10, v8, s35, -v9
	v_rndne_f32_e32 v12, v9
	v_fmac_f32_e32 v10, 0xb2a5705f, v8
	v_sub_f32_e32 v9, v9, v12
	v_add_f32_e32 v9, v9, v10
	v_cvt_i32_f32_e32 v10, v12
	v_exp_f32_e32 v9, v9
	v_cmp_nlt_f32_e32 vcc, s36, v8
	v_ldexp_f32 v9, v9, v10
	s_nop 0
	v_cndmask_b32_e32 v9, 0, v9, vcc
	v_cmp_ngt_f32_e32 vcc, s37, v8
	s_nop 1
	v_cndmask_b32_e32 v8, v68, v9, vcc
	v_sub_f32_e32 v8, 1.0, v8
.LBB470_67:                             ;   in Loop: Header=BB470_9 Depth=1
	s_andn2_saveexec_b64 s[14:15], s[14:15]
; %bb.68:                               ;   in Loop: Header=BB470_9 Depth=1
	v_mul_f32_e32 v8, v5, v5
	v_fmamk_f32 v9, v8, 0xba1345e1, v66
	v_fmaak_f32 v9, v8, v9, 0xbcdac9b8
	v_fmaak_f32 v9, v8, v9, 0x3de703be
	;; [unrolled: 1-line block ×4, first 2 shown]
	v_fma_f32 v8, |v5|, v8, |v5|
; %bb.69:                               ;   in Loop: Header=BB470_9 Depth=1
	s_or_b64 exec, exec, s[14:15]
	v_add_f32_e32 v9, v11, v15
	v_mul_f32_e32 v10, 0x3f3504f3, v9
	v_cmp_nlt_f32_e64 s[14:15], |v10|, 1.0
                                        ; implicit-def: $vgpr11
	s_and_saveexec_b64 s[40:41], s[14:15]
	s_xor_b64 s[14:15], exec, s[40:41]
	s_cbranch_execz .LBB470_71
; %bb.70:                               ;   in Loop: Header=BB470_9 Depth=1
	v_fma_f32 v11, |v10|, s28, v67
	v_fma_f32 v11, |v10|, v11, s29
	;; [unrolled: 1-line block ×6, first 2 shown]
	v_fma_f32 v11, |v10|, v11, |v10|
	v_mul_f32_e32 v12, 0xbfb8aa3b, v11
	v_fma_f32 v13, v11, s35, -v12
	v_rndne_f32_e32 v14, v12
	v_fmac_f32_e32 v13, 0xb2a5705f, v11
	v_sub_f32_e32 v12, v12, v14
	v_add_f32_e32 v12, v12, v13
	v_cvt_i32_f32_e32 v13, v14
	v_exp_f32_e32 v12, v12
	v_cmp_nlt_f32_e32 vcc, s36, v11
	v_ldexp_f32 v12, v12, v13
	s_nop 0
	v_cndmask_b32_e32 v12, 0, v12, vcc
	v_cmp_ngt_f32_e32 vcc, s37, v11
	s_nop 1
	v_cndmask_b32_e32 v11, v68, v12, vcc
	v_sub_f32_e32 v11, 1.0, v11
.LBB470_71:                             ;   in Loop: Header=BB470_9 Depth=1
	s_andn2_saveexec_b64 s[14:15], s[14:15]
	s_cbranch_execz .LBB470_8
; %bb.72:                               ;   in Loop: Header=BB470_9 Depth=1
	v_mul_f32_e32 v11, v10, v10
	v_fmamk_f32 v12, v11, 0xba1345e1, v66
	v_fmaak_f32 v12, v11, v12, 0xbcdac9b8
	v_fmaak_f32 v12, v11, v12, 0x3de703be
	;; [unrolled: 1-line block ×4, first 2 shown]
	v_fma_f32 v11, |v10|, v11, |v10|
	s_branch .LBB470_8
.LBB470_73:
	s_endpgm
	.section	.rodata,"a",@progbits
	.p2align	6, 0x0
	.amdhsa_kernel _ZN5aiter23act_and_mul_bias_kernelIfflfTnPFfRKT2_EXadL_ZNS_11gelu_kernelIfEEfRKT_EELi16EEEvPT0_PS8_PKT1_PS2_il
		.amdhsa_group_segment_fixed_size 0
		.amdhsa_private_segment_fixed_size 0
		.amdhsa_kernarg_size 304
		.amdhsa_user_sgpr_count 2
		.amdhsa_user_sgpr_dispatch_ptr 0
		.amdhsa_user_sgpr_queue_ptr 0
		.amdhsa_user_sgpr_kernarg_segment_ptr 1
		.amdhsa_user_sgpr_dispatch_id 0
		.amdhsa_user_sgpr_kernarg_preload_length 0
		.amdhsa_user_sgpr_kernarg_preload_offset 0
		.amdhsa_user_sgpr_private_segment_size 0
		.amdhsa_uses_dynamic_stack 0
		.amdhsa_enable_private_segment 0
		.amdhsa_system_sgpr_workgroup_id_x 1
		.amdhsa_system_sgpr_workgroup_id_y 0
		.amdhsa_system_sgpr_workgroup_id_z 0
		.amdhsa_system_sgpr_workgroup_info 0
		.amdhsa_system_vgpr_workitem_id 0
		.amdhsa_next_free_vgpr 75
		.amdhsa_next_free_sgpr 42
		.amdhsa_accum_offset 76
		.amdhsa_reserve_vcc 1
		.amdhsa_float_round_mode_32 0
		.amdhsa_float_round_mode_16_64 0
		.amdhsa_float_denorm_mode_32 3
		.amdhsa_float_denorm_mode_16_64 3
		.amdhsa_dx10_clamp 1
		.amdhsa_ieee_mode 1
		.amdhsa_fp16_overflow 0
		.amdhsa_tg_split 0
		.amdhsa_exception_fp_ieee_invalid_op 0
		.amdhsa_exception_fp_denorm_src 0
		.amdhsa_exception_fp_ieee_div_zero 0
		.amdhsa_exception_fp_ieee_overflow 0
		.amdhsa_exception_fp_ieee_underflow 0
		.amdhsa_exception_fp_ieee_inexact 0
		.amdhsa_exception_int_div_zero 0
	.end_amdhsa_kernel
	.section	.text._ZN5aiter23act_and_mul_bias_kernelIfflfTnPFfRKT2_EXadL_ZNS_11gelu_kernelIfEEfRKT_EELi16EEEvPT0_PS8_PKT1_PS2_il,"axG",@progbits,_ZN5aiter23act_and_mul_bias_kernelIfflfTnPFfRKT2_EXadL_ZNS_11gelu_kernelIfEEfRKT_EELi16EEEvPT0_PS8_PKT1_PS2_il,comdat
.Lfunc_end470:
	.size	_ZN5aiter23act_and_mul_bias_kernelIfflfTnPFfRKT2_EXadL_ZNS_11gelu_kernelIfEEfRKT_EELi16EEEvPT0_PS8_PKT1_PS2_il, .Lfunc_end470-_ZN5aiter23act_and_mul_bias_kernelIfflfTnPFfRKT2_EXadL_ZNS_11gelu_kernelIfEEfRKT_EELi16EEEvPT0_PS8_PKT1_PS2_il
                                        ; -- End function
	.section	.AMDGPU.csdata,"",@progbits
; Kernel info:
; codeLenInByte = 4964
; NumSgprs: 48
; NumVgprs: 75
; NumAgprs: 0
; TotalNumVgprs: 75
; ScratchSize: 0
; MemoryBound: 0
; FloatMode: 240
; IeeeMode: 1
; LDSByteSize: 0 bytes/workgroup (compile time only)
; SGPRBlocks: 5
; VGPRBlocks: 9
; NumSGPRsForWavesPerEU: 48
; NumVGPRsForWavesPerEU: 75
; AccumOffset: 76
; Occupancy: 6
; WaveLimiterHint : 0
; COMPUTE_PGM_RSRC2:SCRATCH_EN: 0
; COMPUTE_PGM_RSRC2:USER_SGPR: 2
; COMPUTE_PGM_RSRC2:TRAP_HANDLER: 0
; COMPUTE_PGM_RSRC2:TGID_X_EN: 1
; COMPUTE_PGM_RSRC2:TGID_Y_EN: 0
; COMPUTE_PGM_RSRC2:TGID_Z_EN: 0
; COMPUTE_PGM_RSRC2:TIDIG_COMP_CNT: 0
; COMPUTE_PGM_RSRC3_GFX90A:ACCUM_OFFSET: 18
; COMPUTE_PGM_RSRC3_GFX90A:TG_SPLIT: 0
	.section	.text._ZN5aiter23act_and_mul_bias_kernelIfflfTnPFfRKT2_EXadL_ZNS_11gelu_kernelIfEEfRKT_EELi8EEEvPT0_PS8_PKT1_PS2_il,"axG",@progbits,_ZN5aiter23act_and_mul_bias_kernelIfflfTnPFfRKT2_EXadL_ZNS_11gelu_kernelIfEEfRKT_EELi8EEEvPT0_PS8_PKT1_PS2_il,comdat
	.protected	_ZN5aiter23act_and_mul_bias_kernelIfflfTnPFfRKT2_EXadL_ZNS_11gelu_kernelIfEEfRKT_EELi8EEEvPT0_PS8_PKT1_PS2_il ; -- Begin function _ZN5aiter23act_and_mul_bias_kernelIfflfTnPFfRKT2_EXadL_ZNS_11gelu_kernelIfEEfRKT_EELi8EEEvPT0_PS8_PKT1_PS2_il
	.globl	_ZN5aiter23act_and_mul_bias_kernelIfflfTnPFfRKT2_EXadL_ZNS_11gelu_kernelIfEEfRKT_EELi8EEEvPT0_PS8_PKT1_PS2_il
	.p2align	8
	.type	_ZN5aiter23act_and_mul_bias_kernelIfflfTnPFfRKT2_EXadL_ZNS_11gelu_kernelIfEEfRKT_EELi8EEEvPT0_PS8_PKT1_PS2_il,@function
_ZN5aiter23act_and_mul_bias_kernelIfflfTnPFfRKT2_EXadL_ZNS_11gelu_kernelIfEEfRKT_EELi8EEEvPT0_PS8_PKT1_PS2_il: ; @_ZN5aiter23act_and_mul_bias_kernelIfflfTnPFfRKT2_EXadL_ZNS_11gelu_kernelIfEEfRKT_EELi8EEEvPT0_PS8_PKT1_PS2_il
; %bb.0:
	s_load_dword s24, s[0:1], 0x20
	s_load_dwordx2 s[4:5], s[0:1], 0x0
	s_load_dwordx2 s[6:7], s[0:1], 0x10
	;; [unrolled: 1-line block ×3, first 2 shown]
	s_mov_b32 s3, 0
	s_waitcnt lgkmcnt(0)
	s_ashr_i32 s25, s24, 31
	s_lshl_b64 s[8:9], s[2:3], 3
	s_add_u32 s6, s6, s8
	s_addc_u32 s7, s7, s9
	s_load_dwordx2 s[8:9], s[6:7], 0x0
	s_mul_hi_u32 s3, s24, s2
	s_mul_i32 s7, s25, s2
	s_add_i32 s11, s3, s7
	s_mul_i32 s10, s24, s2
	s_lshl_b32 s6, s24, 2
	s_lshl_b64 s[10:11], s[10:11], 2
	v_mov_b64_e32 v[2:3], s[12:13]
	s_add_u32 s4, s4, s10
	s_waitcnt lgkmcnt(0)
	v_cmp_gt_i64_e64 s[14:15], s[8:9], -1
	v_cmp_lt_i64_e32 vcc, s[8:9], v[2:3]
	s_addc_u32 s3, s5, s11
	s_and_b64 s[12:13], s[14:15], vcc
	s_and_b32 s5, s3, 0xffff
	s_mov_b64 s[10:11], -1
	s_and_b64 vcc, exec, s[12:13]
	v_lshlrev_b32_e32 v32, 3, v0
	s_cbranch_vccnz .LBB471_5
; %bb.1:
	v_cmp_gt_i32_e32 vcc, s24, v32
	s_and_saveexec_b64 s[10:11], vcc
	s_cbranch_execz .LBB471_4
; %bb.2:
	s_load_dword s3, s[0:1], 0x3c
	s_mov_b32 s13, 0
	s_mov_b32 s16, s13
	;; [unrolled: 1-line block ×3, first 2 shown]
	v_mov_b32_e32 v33, 0
	v_lshlrev_b32_e32 v6, 5, v0
	s_waitcnt lgkmcnt(0)
	s_and_b32 s3, s3, 0xffff
	s_mov_b32 s18, s13
	s_mov_b32 s19, s13
	v_mov_b64_e32 v[0:1], s[16:17]
	s_lshl_b32 s12, s3, 3
	s_lshl_b32 s3, s3, 5
	s_mov_b64 s[14:15], 0
	s_mov_b32 s7, 0x20000
	v_mov_b64_e32 v[2:3], s[18:19]
	v_mov_b64_e32 v[4:5], v[32:33]
.LBB471_3:                              ; =>This Inner Loop Header: Depth=1
	v_lshl_add_u64 v[4:5], s[12:13], 0, v[4:5]
	v_cmp_le_i64_e32 vcc, s[24:25], v[4:5]
	buffer_store_dwordx4 v[0:3], v6, s[4:7], 0 offen
	buffer_store_dwordx4 v[0:3], v6, s[4:7], 16 offen
	s_or_b64 s[14:15], vcc, s[14:15]
	v_add_u32_e32 v6, s3, v6
	s_andn2_b64 exec, exec, s[14:15]
	s_cbranch_execnz .LBB471_3
.LBB471_4:
	s_or_b64 exec, exec, s[10:11]
	s_mov_b64 s[10:11], 0
.LBB471_5:
	s_andn2_b64 vcc, exec, s[10:11]
	s_cbranch_vccnz .LBB471_41
; %bb.6:
	v_cmp_gt_i32_e32 vcc, s24, v32
	s_and_saveexec_b64 s[10:11], vcc
	s_cbranch_execz .LBB471_41
; %bb.7:
	s_load_dwordx2 s[10:11], s[0:1], 0x8
	s_load_dwordx2 s[12:13], s[0:1], 0x18
	s_mul_i32 s3, s24, s9
	s_mul_hi_u32 s7, s24, s8
	s_add_i32 s3, s7, s3
	s_mul_i32 s7, s25, s8
	s_add_i32 s9, s3, s7
	s_mul_i32 s8, s24, s8
	s_lshl_b64 s[8:9], s[8:9], 3
	s_waitcnt lgkmcnt(0)
	s_add_u32 s8, s12, s8
	s_addc_u32 s3, s13, s9
	s_lshl_b64 s[14:15], s[24:25], 2
	s_add_u32 s12, s8, s14
	s_addc_u32 s13, s3, s15
	s_and_b32 s9, s3, 0xffff
	s_mul_i32 s3, s2, s25
	s_mul_hi_u32 s16, s2, s24
	s_add_i32 s3, s16, s3
	s_mul_i32 s2, s2, s24
	s_and_b32 s13, s13, 0xffff
	s_lshl_b64 s[2:3], s[2:3], 3
	s_add_u32 s16, s10, s2
	s_addc_u32 s2, s11, s3
	s_add_u32 s20, s16, s14
	s_addc_u32 s3, s2, s15
	s_and_b32 s17, s2, 0xffff
	s_and_b32 s21, s3, 0xffff
	s_mov_b32 s7, 0x20000
	s_add_u32 s0, s0, 48
	v_mov_b32_e32 v33, 0
	s_addc_u32 s1, s1, 0
	s_mov_b64 s[2:3], 0
	s_mov_b32 s11, s7
	s_mov_b32 s10, s6
	;; [unrolled: 1-line block ×14, first 2 shown]
	v_mov_b32_e32 v34, 0x3ba10414
	s_brev_b32 s38, -2
	s_mov_b32 s22, s6
	s_mov_b32 s23, s7
	v_mov_b32_e32 v35, 0xb9c68948
	v_mov_b32_e32 v36, 0x7f800000
                                        ; implicit-def: $vgpr0
                                        ; implicit-def: $vgpr0
	;; [unrolled: 1-line block ×4, first 2 shown]
	s_branch .LBB471_9
.LBB471_8:                              ;   in Loop: Header=BB471_9 Depth=1
	s_or_b64 exec, exec, s[14:15]
	v_bfi_b32 v5, s38, v8, v5
	v_mul_f32_e32 v4, 0.5, v4
	v_add_f32_e32 v5, 1.0, v5
	v_add_f32_e32 v2, v2, v6
	v_bfi_b32 v6, s38, v11, v10
	v_mul_f32_e32 v4, v4, v5
	v_add_f32_e32 v3, v3, v7
	v_mul_f32_e32 v5, 0.5, v9
	v_add_f32_e32 v6, 1.0, v6
	v_mul_f32_e32 v5, v5, v6
	;;#ASMSTART
	v_pk_mul_f32 v[2:3], v[4:5], v[2:3]
	;;#ASMEND
	s_load_dword s14, s[0:1], 0xc
	buffer_store_dwordx4 v[16:19], v37, s[4:7], 0 offen
	buffer_store_dwordx4 v[0:3], v37, s[4:7], 16 offen
	s_waitcnt lgkmcnt(0)
	s_and_b32 s14, s14, 0xffff
	s_lshl_b32 s26, s14, 3
	v_lshl_add_u64 v[32:33], s[26:27], 0, v[32:33]
	v_cmp_le_i64_e32 vcc, s[24:25], v[32:33]
	s_or_b64 s[2:3], vcc, s[2:3]
	s_andn2_b64 exec, exec, s[2:3]
	s_cbranch_execz .LBB471_41
.LBB471_9:                              ; =>This Inner Loop Header: Depth=1
	v_lshlrev_b32_e32 v37, 2, v32
	buffer_load_dwordx4 v[24:27], v37, s[16:19], 0 offen
	buffer_load_dwordx4 v[8:11], v37, s[16:19], 16 offen
	;; [unrolled: 1-line block ×6, first 2 shown]
	s_mov_b32 s14, s10
	s_mov_b32 s15, s11
	buffer_load_dwordx4 v[20:23], v37, s[12:15], 0 offen
	buffer_load_dwordx4 v[4:7], v37, s[12:15], 16 offen
                                        ; implicit-def: $vgpr38
	s_waitcnt vmcnt(3)
	v_add_f32_e32 v24, v24, v28
	v_mul_f32_e32 v28, 0x3f3504f3, v24
	v_cmp_nlt_f32_e64 s[14:15], |v28|, 1.0
	s_and_saveexec_b64 s[40:41], s[14:15]
	s_xor_b64 s[14:15], exec, s[40:41]
	s_cbranch_execz .LBB471_11
; %bb.10:                               ;   in Loop: Header=BB471_9 Depth=1
	v_fma_f32 v38, |v28|, s28, v35
	v_fma_f32 v38, |v28|, v38, s29
	;; [unrolled: 1-line block ×6, first 2 shown]
	v_fma_f32 v38, |v28|, v38, |v28|
	v_mul_f32_e32 v39, 0xbfb8aa3b, v38
	v_fma_f32 v40, v38, s35, -v39
	v_rndne_f32_e32 v41, v39
	v_fmac_f32_e32 v40, 0xb2a5705f, v38
	v_sub_f32_e32 v39, v39, v41
	v_add_f32_e32 v39, v39, v40
	v_cvt_i32_f32_e32 v40, v41
	v_exp_f32_e32 v39, v39
	v_cmp_nlt_f32_e32 vcc, s36, v38
	v_ldexp_f32 v39, v39, v40
	s_nop 0
	v_cndmask_b32_e32 v39, 0, v39, vcc
	v_cmp_ngt_f32_e32 vcc, s37, v38
	s_nop 1
	v_cndmask_b32_e32 v38, v36, v39, vcc
	v_sub_f32_e32 v38, 1.0, v38
.LBB471_11:                             ;   in Loop: Header=BB471_9 Depth=1
	s_andn2_saveexec_b64 s[14:15], s[14:15]
; %bb.12:                               ;   in Loop: Header=BB471_9 Depth=1
	v_mul_f32_e32 v38, v28, v28
	v_fmamk_f32 v39, v38, 0xba1345e1, v34
	v_fmaak_f32 v39, v38, v39, 0xbcdac9b8
	v_fmaak_f32 v39, v38, v39, 0x3de703be
	;; [unrolled: 1-line block ×4, first 2 shown]
	v_fma_f32 v38, |v28|, v38, |v28|
; %bb.13:                               ;   in Loop: Header=BB471_9 Depth=1
	s_or_b64 exec, exec, s[14:15]
	v_add_f32_e32 v25, v25, v29
	v_mul_f32_e32 v29, 0x3f3504f3, v25
	v_cmp_nlt_f32_e64 s[14:15], |v29|, 1.0
                                        ; implicit-def: $vgpr39
	s_and_saveexec_b64 s[40:41], s[14:15]
	s_xor_b64 s[14:15], exec, s[40:41]
	s_cbranch_execz .LBB471_15
; %bb.14:                               ;   in Loop: Header=BB471_9 Depth=1
	v_fma_f32 v39, |v29|, s28, v35
	v_fma_f32 v39, |v29|, v39, s29
	;; [unrolled: 1-line block ×6, first 2 shown]
	v_fma_f32 v39, |v29|, v39, |v29|
	v_mul_f32_e32 v40, 0xbfb8aa3b, v39
	v_fma_f32 v41, v39, s35, -v40
	v_rndne_f32_e32 v42, v40
	v_fmac_f32_e32 v41, 0xb2a5705f, v39
	v_sub_f32_e32 v40, v40, v42
	v_add_f32_e32 v40, v40, v41
	v_cvt_i32_f32_e32 v41, v42
	v_exp_f32_e32 v40, v40
	v_cmp_nlt_f32_e32 vcc, s36, v39
	v_ldexp_f32 v40, v40, v41
	s_nop 0
	v_cndmask_b32_e32 v40, 0, v40, vcc
	v_cmp_ngt_f32_e32 vcc, s37, v39
	s_nop 1
	v_cndmask_b32_e32 v39, v36, v40, vcc
	v_sub_f32_e32 v39, 1.0, v39
.LBB471_15:                             ;   in Loop: Header=BB471_9 Depth=1
	s_andn2_saveexec_b64 s[14:15], s[14:15]
; %bb.16:                               ;   in Loop: Header=BB471_9 Depth=1
	v_mul_f32_e32 v39, v29, v29
	v_fmamk_f32 v40, v39, 0xba1345e1, v34
	v_fmaak_f32 v40, v39, v40, 0xbcdac9b8
	v_fmaak_f32 v40, v39, v40, 0x3de703be
	;; [unrolled: 1-line block ×4, first 2 shown]
	v_fma_f32 v39, |v29|, v39, |v29|
; %bb.17:                               ;   in Loop: Header=BB471_9 Depth=1
	s_or_b64 exec, exec, s[14:15]
	s_waitcnt vmcnt(1)
	v_add_f32_e32 v17, v17, v21
	v_bfi_b32 v21, s38, v39, v29
	v_add_f32_e32 v16, v16, v20
	v_mul_f32_e32 v20, 0.5, v25
	v_add_f32_e32 v21, 1.0, v21
	v_bfi_b32 v28, s38, v38, v28
	v_mul_f32_e32 v25, v20, v21
	v_add_f32_e32 v20, v26, v30
	v_mul_f32_e32 v24, 0.5, v24
	v_add_f32_e32 v28, 1.0, v28
	v_mul_f32_e32 v21, 0x3f3504f3, v20
	v_mul_f32_e32 v24, v24, v28
	v_cmp_nlt_f32_e64 s[14:15], |v21|, 1.0
	;;#ASMSTART
	v_pk_mul_f32 v[16:17], v[24:25], v[16:17]
	;;#ASMEND
                                        ; implicit-def: $vgpr24
	s_and_saveexec_b64 s[40:41], s[14:15]
	s_xor_b64 s[14:15], exec, s[40:41]
	s_cbranch_execz .LBB471_19
; %bb.18:                               ;   in Loop: Header=BB471_9 Depth=1
	v_fma_f32 v24, |v21|, s28, v35
	v_fma_f32 v24, |v21|, v24, s29
	;; [unrolled: 1-line block ×6, first 2 shown]
	v_fma_f32 v24, |v21|, v24, |v21|
	v_mul_f32_e32 v25, 0xbfb8aa3b, v24
	v_fma_f32 v26, v24, s35, -v25
	v_rndne_f32_e32 v28, v25
	v_fmac_f32_e32 v26, 0xb2a5705f, v24
	v_sub_f32_e32 v25, v25, v28
	v_add_f32_e32 v25, v25, v26
	v_cvt_i32_f32_e32 v26, v28
	v_exp_f32_e32 v25, v25
	v_cmp_nlt_f32_e32 vcc, s36, v24
	v_ldexp_f32 v25, v25, v26
	s_nop 0
	v_cndmask_b32_e32 v25, 0, v25, vcc
	v_cmp_ngt_f32_e32 vcc, s37, v24
	s_nop 1
	v_cndmask_b32_e32 v24, v36, v25, vcc
	v_sub_f32_e32 v24, 1.0, v24
.LBB471_19:                             ;   in Loop: Header=BB471_9 Depth=1
	s_andn2_saveexec_b64 s[14:15], s[14:15]
; %bb.20:                               ;   in Loop: Header=BB471_9 Depth=1
	v_mul_f32_e32 v24, v21, v21
	v_fmamk_f32 v25, v24, 0xba1345e1, v34
	v_fmaak_f32 v25, v24, v25, 0xbcdac9b8
	v_fmaak_f32 v25, v24, v25, 0x3de703be
	;; [unrolled: 1-line block ×4, first 2 shown]
	v_fma_f32 v24, |v21|, v24, |v21|
; %bb.21:                               ;   in Loop: Header=BB471_9 Depth=1
	s_or_b64 exec, exec, s[14:15]
	v_add_f32_e32 v25, v27, v31
	v_mul_f32_e32 v26, 0x3f3504f3, v25
	v_cmp_nlt_f32_e64 s[14:15], |v26|, 1.0
                                        ; implicit-def: $vgpr27
	s_and_saveexec_b64 s[40:41], s[14:15]
	s_xor_b64 s[14:15], exec, s[40:41]
	s_cbranch_execz .LBB471_23
; %bb.22:                               ;   in Loop: Header=BB471_9 Depth=1
	v_fma_f32 v27, |v26|, s28, v35
	v_fma_f32 v27, |v26|, v27, s29
	;; [unrolled: 1-line block ×6, first 2 shown]
	v_fma_f32 v27, |v26|, v27, |v26|
	v_mul_f32_e32 v28, 0xbfb8aa3b, v27
	v_fma_f32 v29, v27, s35, -v28
	v_rndne_f32_e32 v30, v28
	v_fmac_f32_e32 v29, 0xb2a5705f, v27
	v_sub_f32_e32 v28, v28, v30
	v_add_f32_e32 v28, v28, v29
	v_cvt_i32_f32_e32 v29, v30
	v_exp_f32_e32 v28, v28
	v_cmp_nlt_f32_e32 vcc, s36, v27
	v_ldexp_f32 v28, v28, v29
	s_nop 0
	v_cndmask_b32_e32 v28, 0, v28, vcc
	v_cmp_ngt_f32_e32 vcc, s37, v27
	s_nop 1
	v_cndmask_b32_e32 v27, v36, v28, vcc
	v_sub_f32_e32 v27, 1.0, v27
.LBB471_23:                             ;   in Loop: Header=BB471_9 Depth=1
	s_andn2_saveexec_b64 s[14:15], s[14:15]
; %bb.24:                               ;   in Loop: Header=BB471_9 Depth=1
	v_mul_f32_e32 v27, v26, v26
	v_fmamk_f32 v28, v27, 0xba1345e1, v34
	v_fmaak_f32 v28, v27, v28, 0xbcdac9b8
	v_fmaak_f32 v28, v27, v28, 0x3de703be
	;; [unrolled: 1-line block ×4, first 2 shown]
	v_fma_f32 v27, |v26|, v27, |v26|
; %bb.25:                               ;   in Loop: Header=BB471_9 Depth=1
	s_or_b64 exec, exec, s[14:15]
	v_bfi_b32 v21, s38, v24, v21
	v_add_f32_e32 v8, v8, v12
	v_mul_f32_e32 v20, 0.5, v20
	v_add_f32_e32 v21, 1.0, v21
	v_add_f32_e32 v18, v18, v22
	v_bfi_b32 v22, s38, v27, v26
	v_mul_f32_e32 v12, 0x3f3504f3, v8
	v_mul_f32_e32 v20, v20, v21
	v_add_f32_e32 v19, v19, v23
	v_mul_f32_e32 v21, 0.5, v25
	v_add_f32_e32 v22, 1.0, v22
	v_cmp_nlt_f32_e64 s[14:15], |v12|, 1.0
	v_mul_f32_e32 v21, v21, v22
	;;#ASMSTART
	v_pk_mul_f32 v[18:19], v[20:21], v[18:19]
	;;#ASMEND
                                        ; implicit-def: $vgpr20
	s_and_saveexec_b64 s[40:41], s[14:15]
	s_xor_b64 s[14:15], exec, s[40:41]
	s_cbranch_execz .LBB471_27
; %bb.26:                               ;   in Loop: Header=BB471_9 Depth=1
	v_fma_f32 v20, |v12|, s28, v35
	v_fma_f32 v20, |v12|, v20, s29
	v_fma_f32 v20, |v12|, v20, s30
	v_fma_f32 v20, |v12|, v20, s31
	v_fma_f32 v20, |v12|, v20, s33
	v_fma_f32 v20, |v12|, v20, s34
	v_fma_f32 v20, |v12|, v20, |v12|
	v_mul_f32_e32 v21, 0xbfb8aa3b, v20
	v_fma_f32 v22, v20, s35, -v21
	v_rndne_f32_e32 v23, v21
	v_fmac_f32_e32 v22, 0xb2a5705f, v20
	v_sub_f32_e32 v21, v21, v23
	v_add_f32_e32 v21, v21, v22
	v_cvt_i32_f32_e32 v22, v23
	v_exp_f32_e32 v21, v21
	v_cmp_nlt_f32_e32 vcc, s36, v20
	v_ldexp_f32 v21, v21, v22
	s_nop 0
	v_cndmask_b32_e32 v21, 0, v21, vcc
	v_cmp_ngt_f32_e32 vcc, s37, v20
	s_nop 1
	v_cndmask_b32_e32 v20, v36, v21, vcc
	v_sub_f32_e32 v20, 1.0, v20
.LBB471_27:                             ;   in Loop: Header=BB471_9 Depth=1
	s_andn2_saveexec_b64 s[14:15], s[14:15]
; %bb.28:                               ;   in Loop: Header=BB471_9 Depth=1
	v_mul_f32_e32 v20, v12, v12
	v_fmamk_f32 v21, v20, 0xba1345e1, v34
	v_fmaak_f32 v21, v20, v21, 0xbcdac9b8
	v_fmaak_f32 v21, v20, v21, 0x3de703be
	;; [unrolled: 1-line block ×4, first 2 shown]
	v_fma_f32 v20, |v12|, v20, |v12|
; %bb.29:                               ;   in Loop: Header=BB471_9 Depth=1
	s_or_b64 exec, exec, s[14:15]
	v_add_f32_e32 v9, v9, v13
	v_mul_f32_e32 v13, 0x3f3504f3, v9
	v_cmp_nlt_f32_e64 s[14:15], |v13|, 1.0
                                        ; implicit-def: $vgpr21
	s_and_saveexec_b64 s[40:41], s[14:15]
	s_xor_b64 s[14:15], exec, s[40:41]
	s_cbranch_execz .LBB471_31
; %bb.30:                               ;   in Loop: Header=BB471_9 Depth=1
	v_fma_f32 v21, |v13|, s28, v35
	v_fma_f32 v21, |v13|, v21, s29
	;; [unrolled: 1-line block ×6, first 2 shown]
	v_fma_f32 v21, |v13|, v21, |v13|
	v_mul_f32_e32 v22, 0xbfb8aa3b, v21
	v_fma_f32 v23, v21, s35, -v22
	v_rndne_f32_e32 v24, v22
	v_fmac_f32_e32 v23, 0xb2a5705f, v21
	v_sub_f32_e32 v22, v22, v24
	v_add_f32_e32 v22, v22, v23
	v_cvt_i32_f32_e32 v23, v24
	v_exp_f32_e32 v22, v22
	v_cmp_nlt_f32_e32 vcc, s36, v21
	v_ldexp_f32 v22, v22, v23
	s_nop 0
	v_cndmask_b32_e32 v22, 0, v22, vcc
	v_cmp_ngt_f32_e32 vcc, s37, v21
	s_nop 1
	v_cndmask_b32_e32 v21, v36, v22, vcc
	v_sub_f32_e32 v21, 1.0, v21
.LBB471_31:                             ;   in Loop: Header=BB471_9 Depth=1
	s_andn2_saveexec_b64 s[14:15], s[14:15]
; %bb.32:                               ;   in Loop: Header=BB471_9 Depth=1
	v_mul_f32_e32 v21, v13, v13
	v_fmamk_f32 v22, v21, 0xba1345e1, v34
	v_fmaak_f32 v22, v21, v22, 0xbcdac9b8
	v_fmaak_f32 v22, v21, v22, 0x3de703be
	;; [unrolled: 1-line block ×4, first 2 shown]
	v_fma_f32 v21, |v13|, v21, |v13|
; %bb.33:                               ;   in Loop: Header=BB471_9 Depth=1
	s_or_b64 exec, exec, s[14:15]
	s_waitcnt vmcnt(0)
	v_add_f32_e32 v1, v1, v5
	v_bfi_b32 v5, s38, v21, v13
	v_add_f32_e32 v0, v0, v4
	v_mul_f32_e32 v4, 0.5, v9
	v_add_f32_e32 v5, 1.0, v5
	v_bfi_b32 v12, s38, v20, v12
	v_mul_f32_e32 v9, v4, v5
	v_add_f32_e32 v4, v10, v14
	v_mul_f32_e32 v8, 0.5, v8
	v_add_f32_e32 v12, 1.0, v12
	v_mul_f32_e32 v5, 0x3f3504f3, v4
	v_mul_f32_e32 v8, v8, v12
	v_cmp_nlt_f32_e64 s[14:15], |v5|, 1.0
	;;#ASMSTART
	v_pk_mul_f32 v[0:1], v[8:9], v[0:1]
	;;#ASMEND
                                        ; implicit-def: $vgpr8
	s_and_saveexec_b64 s[40:41], s[14:15]
	s_xor_b64 s[14:15], exec, s[40:41]
	s_cbranch_execz .LBB471_35
; %bb.34:                               ;   in Loop: Header=BB471_9 Depth=1
	v_fma_f32 v8, |v5|, s28, v35
	v_fma_f32 v8, |v5|, v8, s29
	;; [unrolled: 1-line block ×6, first 2 shown]
	v_fma_f32 v8, |v5|, v8, |v5|
	v_mul_f32_e32 v9, 0xbfb8aa3b, v8
	v_fma_f32 v10, v8, s35, -v9
	v_rndne_f32_e32 v12, v9
	v_fmac_f32_e32 v10, 0xb2a5705f, v8
	v_sub_f32_e32 v9, v9, v12
	v_add_f32_e32 v9, v9, v10
	v_cvt_i32_f32_e32 v10, v12
	v_exp_f32_e32 v9, v9
	v_cmp_nlt_f32_e32 vcc, s36, v8
	v_ldexp_f32 v9, v9, v10
	s_nop 0
	v_cndmask_b32_e32 v9, 0, v9, vcc
	v_cmp_ngt_f32_e32 vcc, s37, v8
	s_nop 1
	v_cndmask_b32_e32 v8, v36, v9, vcc
	v_sub_f32_e32 v8, 1.0, v8
.LBB471_35:                             ;   in Loop: Header=BB471_9 Depth=1
	s_andn2_saveexec_b64 s[14:15], s[14:15]
; %bb.36:                               ;   in Loop: Header=BB471_9 Depth=1
	v_mul_f32_e32 v8, v5, v5
	v_fmamk_f32 v9, v8, 0xba1345e1, v34
	v_fmaak_f32 v9, v8, v9, 0xbcdac9b8
	v_fmaak_f32 v9, v8, v9, 0x3de703be
	;; [unrolled: 1-line block ×4, first 2 shown]
	v_fma_f32 v8, |v5|, v8, |v5|
; %bb.37:                               ;   in Loop: Header=BB471_9 Depth=1
	s_or_b64 exec, exec, s[14:15]
	v_add_f32_e32 v9, v11, v15
	v_mul_f32_e32 v10, 0x3f3504f3, v9
	v_cmp_nlt_f32_e64 s[14:15], |v10|, 1.0
                                        ; implicit-def: $vgpr11
	s_and_saveexec_b64 s[40:41], s[14:15]
	s_xor_b64 s[14:15], exec, s[40:41]
	s_cbranch_execz .LBB471_39
; %bb.38:                               ;   in Loop: Header=BB471_9 Depth=1
	v_fma_f32 v11, |v10|, s28, v35
	v_fma_f32 v11, |v10|, v11, s29
	;; [unrolled: 1-line block ×6, first 2 shown]
	v_fma_f32 v11, |v10|, v11, |v10|
	v_mul_f32_e32 v12, 0xbfb8aa3b, v11
	v_fma_f32 v13, v11, s35, -v12
	v_rndne_f32_e32 v14, v12
	v_fmac_f32_e32 v13, 0xb2a5705f, v11
	v_sub_f32_e32 v12, v12, v14
	v_add_f32_e32 v12, v12, v13
	v_cvt_i32_f32_e32 v13, v14
	v_exp_f32_e32 v12, v12
	v_cmp_nlt_f32_e32 vcc, s36, v11
	v_ldexp_f32 v12, v12, v13
	s_nop 0
	v_cndmask_b32_e32 v12, 0, v12, vcc
	v_cmp_ngt_f32_e32 vcc, s37, v11
	s_nop 1
	v_cndmask_b32_e32 v11, v36, v12, vcc
	v_sub_f32_e32 v11, 1.0, v11
.LBB471_39:                             ;   in Loop: Header=BB471_9 Depth=1
	s_andn2_saveexec_b64 s[14:15], s[14:15]
	s_cbranch_execz .LBB471_8
; %bb.40:                               ;   in Loop: Header=BB471_9 Depth=1
	v_mul_f32_e32 v11, v10, v10
	v_fmamk_f32 v12, v11, 0xba1345e1, v34
	v_fmaak_f32 v12, v11, v12, 0xbcdac9b8
	v_fmaak_f32 v12, v11, v12, 0x3de703be
	;; [unrolled: 1-line block ×4, first 2 shown]
	v_fma_f32 v11, |v10|, v11, |v10|
	s_branch .LBB471_8
.LBB471_41:
	s_endpgm
	.section	.rodata,"a",@progbits
	.p2align	6, 0x0
	.amdhsa_kernel _ZN5aiter23act_and_mul_bias_kernelIfflfTnPFfRKT2_EXadL_ZNS_11gelu_kernelIfEEfRKT_EELi8EEEvPT0_PS8_PKT1_PS2_il
		.amdhsa_group_segment_fixed_size 0
		.amdhsa_private_segment_fixed_size 0
		.amdhsa_kernarg_size 304
		.amdhsa_user_sgpr_count 2
		.amdhsa_user_sgpr_dispatch_ptr 0
		.amdhsa_user_sgpr_queue_ptr 0
		.amdhsa_user_sgpr_kernarg_segment_ptr 1
		.amdhsa_user_sgpr_dispatch_id 0
		.amdhsa_user_sgpr_kernarg_preload_length 0
		.amdhsa_user_sgpr_kernarg_preload_offset 0
		.amdhsa_user_sgpr_private_segment_size 0
		.amdhsa_uses_dynamic_stack 0
		.amdhsa_enable_private_segment 0
		.amdhsa_system_sgpr_workgroup_id_x 1
		.amdhsa_system_sgpr_workgroup_id_y 0
		.amdhsa_system_sgpr_workgroup_id_z 0
		.amdhsa_system_sgpr_workgroup_info 0
		.amdhsa_system_vgpr_workitem_id 0
		.amdhsa_next_free_vgpr 43
		.amdhsa_next_free_sgpr 42
		.amdhsa_accum_offset 44
		.amdhsa_reserve_vcc 1
		.amdhsa_float_round_mode_32 0
		.amdhsa_float_round_mode_16_64 0
		.amdhsa_float_denorm_mode_32 3
		.amdhsa_float_denorm_mode_16_64 3
		.amdhsa_dx10_clamp 1
		.amdhsa_ieee_mode 1
		.amdhsa_fp16_overflow 0
		.amdhsa_tg_split 0
		.amdhsa_exception_fp_ieee_invalid_op 0
		.amdhsa_exception_fp_denorm_src 0
		.amdhsa_exception_fp_ieee_div_zero 0
		.amdhsa_exception_fp_ieee_overflow 0
		.amdhsa_exception_fp_ieee_underflow 0
		.amdhsa_exception_fp_ieee_inexact 0
		.amdhsa_exception_int_div_zero 0
	.end_amdhsa_kernel
	.section	.text._ZN5aiter23act_and_mul_bias_kernelIfflfTnPFfRKT2_EXadL_ZNS_11gelu_kernelIfEEfRKT_EELi8EEEvPT0_PS8_PKT1_PS2_il,"axG",@progbits,_ZN5aiter23act_and_mul_bias_kernelIfflfTnPFfRKT2_EXadL_ZNS_11gelu_kernelIfEEfRKT_EELi8EEEvPT0_PS8_PKT1_PS2_il,comdat
.Lfunc_end471:
	.size	_ZN5aiter23act_and_mul_bias_kernelIfflfTnPFfRKT2_EXadL_ZNS_11gelu_kernelIfEEfRKT_EELi8EEEvPT0_PS8_PKT1_PS2_il, .Lfunc_end471-_ZN5aiter23act_and_mul_bias_kernelIfflfTnPFfRKT2_EXadL_ZNS_11gelu_kernelIfEEfRKT_EELi8EEEvPT0_PS8_PKT1_PS2_il
                                        ; -- End function
	.section	.AMDGPU.csdata,"",@progbits
; Kernel info:
; codeLenInByte = 2812
; NumSgprs: 48
; NumVgprs: 43
; NumAgprs: 0
; TotalNumVgprs: 43
; ScratchSize: 0
; MemoryBound: 0
; FloatMode: 240
; IeeeMode: 1
; LDSByteSize: 0 bytes/workgroup (compile time only)
; SGPRBlocks: 5
; VGPRBlocks: 5
; NumSGPRsForWavesPerEU: 48
; NumVGPRsForWavesPerEU: 43
; AccumOffset: 44
; Occupancy: 8
; WaveLimiterHint : 0
; COMPUTE_PGM_RSRC2:SCRATCH_EN: 0
; COMPUTE_PGM_RSRC2:USER_SGPR: 2
; COMPUTE_PGM_RSRC2:TRAP_HANDLER: 0
; COMPUTE_PGM_RSRC2:TGID_X_EN: 1
; COMPUTE_PGM_RSRC2:TGID_Y_EN: 0
; COMPUTE_PGM_RSRC2:TGID_Z_EN: 0
; COMPUTE_PGM_RSRC2:TIDIG_COMP_CNT: 0
; COMPUTE_PGM_RSRC3_GFX90A:ACCUM_OFFSET: 10
; COMPUTE_PGM_RSRC3_GFX90A:TG_SPLIT: 0
	.section	.text._ZN5aiter23act_and_mul_bias_kernelIfflfTnPFfRKT2_EXadL_ZNS_11gelu_kernelIfEEfRKT_EELi4EEEvPT0_PS8_PKT1_PS2_il,"axG",@progbits,_ZN5aiter23act_and_mul_bias_kernelIfflfTnPFfRKT2_EXadL_ZNS_11gelu_kernelIfEEfRKT_EELi4EEEvPT0_PS8_PKT1_PS2_il,comdat
	.protected	_ZN5aiter23act_and_mul_bias_kernelIfflfTnPFfRKT2_EXadL_ZNS_11gelu_kernelIfEEfRKT_EELi4EEEvPT0_PS8_PKT1_PS2_il ; -- Begin function _ZN5aiter23act_and_mul_bias_kernelIfflfTnPFfRKT2_EXadL_ZNS_11gelu_kernelIfEEfRKT_EELi4EEEvPT0_PS8_PKT1_PS2_il
	.globl	_ZN5aiter23act_and_mul_bias_kernelIfflfTnPFfRKT2_EXadL_ZNS_11gelu_kernelIfEEfRKT_EELi4EEEvPT0_PS8_PKT1_PS2_il
	.p2align	8
	.type	_ZN5aiter23act_and_mul_bias_kernelIfflfTnPFfRKT2_EXadL_ZNS_11gelu_kernelIfEEfRKT_EELi4EEEvPT0_PS8_PKT1_PS2_il,@function
_ZN5aiter23act_and_mul_bias_kernelIfflfTnPFfRKT2_EXadL_ZNS_11gelu_kernelIfEEfRKT_EELi4EEEvPT0_PS8_PKT1_PS2_il: ; @_ZN5aiter23act_and_mul_bias_kernelIfflfTnPFfRKT2_EXadL_ZNS_11gelu_kernelIfEEfRKT_EELi4EEEvPT0_PS8_PKT1_PS2_il
; %bb.0:
	s_load_dword s24, s[0:1], 0x20
	s_load_dwordx2 s[4:5], s[0:1], 0x0
	s_load_dwordx2 s[6:7], s[0:1], 0x10
	;; [unrolled: 1-line block ×3, first 2 shown]
	s_mov_b32 s3, 0
	s_waitcnt lgkmcnt(0)
	s_ashr_i32 s25, s24, 31
	s_lshl_b64 s[8:9], s[2:3], 3
	s_add_u32 s6, s6, s8
	s_addc_u32 s7, s7, s9
	s_load_dwordx2 s[8:9], s[6:7], 0x0
	s_mul_hi_u32 s3, s24, s2
	s_mul_i32 s7, s25, s2
	s_add_i32 s11, s3, s7
	s_mul_i32 s10, s24, s2
	s_lshl_b32 s6, s24, 2
	s_lshl_b64 s[10:11], s[10:11], 2
	v_mov_b64_e32 v[2:3], s[12:13]
	s_add_u32 s4, s4, s10
	s_waitcnt lgkmcnt(0)
	v_cmp_gt_i64_e64 s[14:15], s[8:9], -1
	v_cmp_lt_i64_e32 vcc, s[8:9], v[2:3]
	s_addc_u32 s3, s5, s11
	s_and_b64 s[12:13], s[14:15], vcc
	s_and_b32 s5, s3, 0xffff
	s_mov_b64 s[10:11], -1
	s_and_b64 vcc, exec, s[12:13]
	v_lshlrev_b32_e32 v16, 2, v0
	s_cbranch_vccnz .LBB472_5
; %bb.1:
	v_cmp_gt_i32_e32 vcc, s24, v16
	s_and_saveexec_b64 s[10:11], vcc
	s_cbranch_execz .LBB472_4
; %bb.2:
	s_load_dword s3, s[0:1], 0x3c
	v_mov_b32_e32 v17, 0
	s_mov_b32 s13, 0
	v_lshlrev_b32_e32 v6, 4, v0
	s_mov_b64 s[14:15], 0
	s_waitcnt lgkmcnt(0)
	s_and_b32 s3, s3, 0xffff
	s_lshl_b32 s12, s3, 2
	s_lshl_b32 s3, s3, 4
	s_mov_b32 s7, 0x20000
	v_mov_b32_e32 v0, v17
	v_mov_b32_e32 v1, v17
	;; [unrolled: 1-line block ×4, first 2 shown]
	v_mov_b64_e32 v[4:5], v[16:17]
.LBB472_3:                              ; =>This Inner Loop Header: Depth=1
	v_lshl_add_u64 v[4:5], s[12:13], 0, v[4:5]
	v_cmp_le_i64_e32 vcc, s[24:25], v[4:5]
	buffer_store_dwordx4 v[0:3], v6, s[4:7], 0 offen
	s_or_b64 s[14:15], vcc, s[14:15]
	v_add_u32_e32 v6, s3, v6
	s_andn2_b64 exec, exec, s[14:15]
	s_cbranch_execnz .LBB472_3
.LBB472_4:
	s_or_b64 exec, exec, s[10:11]
	s_mov_b64 s[10:11], 0
.LBB472_5:
	s_andn2_b64 vcc, exec, s[10:11]
	s_cbranch_vccnz .LBB472_25
; %bb.6:
	v_cmp_gt_i32_e32 vcc, s24, v16
	s_and_saveexec_b64 s[10:11], vcc
	s_cbranch_execz .LBB472_25
; %bb.7:
	s_load_dwordx2 s[10:11], s[0:1], 0x8
	s_load_dwordx2 s[12:13], s[0:1], 0x18
	s_mul_i32 s3, s24, s9
	s_mul_hi_u32 s7, s24, s8
	s_add_i32 s3, s7, s3
	s_mul_i32 s7, s25, s8
	s_add_i32 s9, s3, s7
	s_mul_i32 s8, s24, s8
	s_lshl_b64 s[8:9], s[8:9], 3
	s_waitcnt lgkmcnt(0)
	s_add_u32 s8, s12, s8
	s_addc_u32 s3, s13, s9
	s_lshl_b64 s[14:15], s[24:25], 2
	s_add_u32 s12, s8, s14
	s_addc_u32 s13, s3, s15
	s_and_b32 s9, s3, 0xffff
	s_mul_i32 s3, s2, s25
	s_mul_hi_u32 s16, s2, s24
	s_add_i32 s3, s16, s3
	s_mul_i32 s2, s2, s24
	s_and_b32 s13, s13, 0xffff
	s_lshl_b64 s[2:3], s[2:3], 3
	s_add_u32 s16, s10, s2
	s_addc_u32 s2, s11, s3
	s_add_u32 s20, s16, s14
	s_addc_u32 s3, s2, s15
	s_and_b32 s17, s2, 0xffff
	s_and_b32 s21, s3, 0xffff
	s_mov_b32 s7, 0x20000
	s_add_u32 s0, s0, 48
	v_mov_b32_e32 v17, 0
	s_addc_u32 s1, s1, 0
	s_mov_b64 s[2:3], 0
	s_mov_b32 s11, s7
	s_mov_b32 s10, s6
	;; [unrolled: 1-line block ×14, first 2 shown]
	v_mov_b32_e32 v18, 0x3ba10414
	s_brev_b32 s38, -2
	s_mov_b32 s22, s6
	s_mov_b32 s23, s7
	v_mov_b32_e32 v19, 0xb9c68948
	v_mov_b32_e32 v20, 0x7f800000
                                        ; implicit-def: $vgpr0
                                        ; implicit-def: $vgpr0
	;; [unrolled: 1-line block ×4, first 2 shown]
	s_branch .LBB472_9
.LBB472_8:                              ;   in Loop: Header=BB472_9 Depth=1
	s_or_b64 exec, exec, s[14:15]
	v_bfi_b32 v5, s38, v8, v5
	v_mul_f32_e32 v4, 0.5, v4
	v_add_f32_e32 v5, 1.0, v5
	v_add_f32_e32 v2, v2, v6
	v_bfi_b32 v6, s38, v11, v10
	v_mul_f32_e32 v4, v4, v5
	v_add_f32_e32 v3, v3, v7
	v_mul_f32_e32 v5, 0.5, v9
	v_add_f32_e32 v6, 1.0, v6
	v_mul_f32_e32 v5, v5, v6
	;;#ASMSTART
	v_pk_mul_f32 v[2:3], v[4:5], v[2:3]
	;;#ASMEND
	s_load_dword s14, s[0:1], 0xc
	buffer_store_dwordx4 v[0:3], v21, s[4:7], 0 offen
	s_waitcnt lgkmcnt(0)
	s_and_b32 s14, s14, 0xffff
	s_lshl_b32 s26, s14, 2
	v_lshl_add_u64 v[16:17], s[26:27], 0, v[16:17]
	v_cmp_le_i64_e32 vcc, s[24:25], v[16:17]
	s_or_b64 s[2:3], vcc, s[2:3]
	s_andn2_b64 exec, exec, s[2:3]
	s_cbranch_execz .LBB472_25
.LBB472_9:                              ; =>This Inner Loop Header: Depth=1
	v_lshlrev_b32_e32 v21, 2, v16
	buffer_load_dwordx4 v[8:11], v21, s[16:19], 0 offen
	buffer_load_dwordx4 v[0:3], v21, s[20:23], 0 offen
	;; [unrolled: 1-line block ×3, first 2 shown]
	s_mov_b32 s14, s10
	s_mov_b32 s15, s11
	buffer_load_dwordx4 v[4:7], v21, s[12:15], 0 offen
                                        ; implicit-def: $vgpr22
	s_waitcnt vmcnt(1)
	v_add_f32_e32 v8, v8, v12
	v_mul_f32_e32 v12, 0x3f3504f3, v8
	v_cmp_nlt_f32_e64 s[14:15], |v12|, 1.0
	s_and_saveexec_b64 s[40:41], s[14:15]
	s_xor_b64 s[14:15], exec, s[40:41]
	s_cbranch_execz .LBB472_11
; %bb.10:                               ;   in Loop: Header=BB472_9 Depth=1
	v_fma_f32 v22, |v12|, s28, v19
	v_fma_f32 v22, |v12|, v22, s29
	;; [unrolled: 1-line block ×6, first 2 shown]
	v_fma_f32 v22, |v12|, v22, |v12|
	v_mul_f32_e32 v23, 0xbfb8aa3b, v22
	v_fma_f32 v24, v22, s35, -v23
	v_rndne_f32_e32 v25, v23
	v_fmac_f32_e32 v24, 0xb2a5705f, v22
	v_sub_f32_e32 v23, v23, v25
	v_add_f32_e32 v23, v23, v24
	v_cvt_i32_f32_e32 v24, v25
	v_exp_f32_e32 v23, v23
	v_cmp_nlt_f32_e32 vcc, s36, v22
	v_ldexp_f32 v23, v23, v24
	s_nop 0
	v_cndmask_b32_e32 v23, 0, v23, vcc
	v_cmp_ngt_f32_e32 vcc, s37, v22
	s_nop 1
	v_cndmask_b32_e32 v22, v20, v23, vcc
	v_sub_f32_e32 v22, 1.0, v22
.LBB472_11:                             ;   in Loop: Header=BB472_9 Depth=1
	s_andn2_saveexec_b64 s[14:15], s[14:15]
; %bb.12:                               ;   in Loop: Header=BB472_9 Depth=1
	v_mul_f32_e32 v22, v12, v12
	v_fmamk_f32 v23, v22, 0xba1345e1, v18
	v_fmaak_f32 v23, v22, v23, 0xbcdac9b8
	v_fmaak_f32 v23, v22, v23, 0x3de703be
	;; [unrolled: 1-line block ×4, first 2 shown]
	v_fma_f32 v22, |v12|, v22, |v12|
; %bb.13:                               ;   in Loop: Header=BB472_9 Depth=1
	s_or_b64 exec, exec, s[14:15]
	v_add_f32_e32 v9, v9, v13
	v_mul_f32_e32 v13, 0x3f3504f3, v9
	v_cmp_nlt_f32_e64 s[14:15], |v13|, 1.0
                                        ; implicit-def: $vgpr23
	s_and_saveexec_b64 s[40:41], s[14:15]
	s_xor_b64 s[14:15], exec, s[40:41]
	s_cbranch_execz .LBB472_15
; %bb.14:                               ;   in Loop: Header=BB472_9 Depth=1
	v_fma_f32 v23, |v13|, s28, v19
	v_fma_f32 v23, |v13|, v23, s29
	;; [unrolled: 1-line block ×6, first 2 shown]
	v_fma_f32 v23, |v13|, v23, |v13|
	v_mul_f32_e32 v24, 0xbfb8aa3b, v23
	v_fma_f32 v25, v23, s35, -v24
	v_rndne_f32_e32 v26, v24
	v_fmac_f32_e32 v25, 0xb2a5705f, v23
	v_sub_f32_e32 v24, v24, v26
	v_add_f32_e32 v24, v24, v25
	v_cvt_i32_f32_e32 v25, v26
	v_exp_f32_e32 v24, v24
	v_cmp_nlt_f32_e32 vcc, s36, v23
	v_ldexp_f32 v24, v24, v25
	s_nop 0
	v_cndmask_b32_e32 v24, 0, v24, vcc
	v_cmp_ngt_f32_e32 vcc, s37, v23
	s_nop 1
	v_cndmask_b32_e32 v23, v20, v24, vcc
	v_sub_f32_e32 v23, 1.0, v23
.LBB472_15:                             ;   in Loop: Header=BB472_9 Depth=1
	s_andn2_saveexec_b64 s[14:15], s[14:15]
; %bb.16:                               ;   in Loop: Header=BB472_9 Depth=1
	v_mul_f32_e32 v23, v13, v13
	v_fmamk_f32 v24, v23, 0xba1345e1, v18
	v_fmaak_f32 v24, v23, v24, 0xbcdac9b8
	v_fmaak_f32 v24, v23, v24, 0x3de703be
	;; [unrolled: 1-line block ×4, first 2 shown]
	v_fma_f32 v23, |v13|, v23, |v13|
; %bb.17:                               ;   in Loop: Header=BB472_9 Depth=1
	s_or_b64 exec, exec, s[14:15]
	s_waitcnt vmcnt(0)
	v_add_f32_e32 v1, v1, v5
	v_bfi_b32 v5, s38, v23, v13
	v_add_f32_e32 v0, v0, v4
	v_mul_f32_e32 v4, 0.5, v9
	v_add_f32_e32 v5, 1.0, v5
	v_bfi_b32 v12, s38, v22, v12
	v_mul_f32_e32 v9, v4, v5
	v_add_f32_e32 v4, v10, v14
	v_mul_f32_e32 v8, 0.5, v8
	v_add_f32_e32 v12, 1.0, v12
	v_mul_f32_e32 v5, 0x3f3504f3, v4
	v_mul_f32_e32 v8, v8, v12
	v_cmp_nlt_f32_e64 s[14:15], |v5|, 1.0
	;;#ASMSTART
	v_pk_mul_f32 v[0:1], v[8:9], v[0:1]
	;;#ASMEND
                                        ; implicit-def: $vgpr8
	s_and_saveexec_b64 s[40:41], s[14:15]
	s_xor_b64 s[14:15], exec, s[40:41]
	s_cbranch_execz .LBB472_19
; %bb.18:                               ;   in Loop: Header=BB472_9 Depth=1
	v_fma_f32 v8, |v5|, s28, v19
	v_fma_f32 v8, |v5|, v8, s29
	;; [unrolled: 1-line block ×6, first 2 shown]
	v_fma_f32 v8, |v5|, v8, |v5|
	v_mul_f32_e32 v9, 0xbfb8aa3b, v8
	v_fma_f32 v10, v8, s35, -v9
	v_rndne_f32_e32 v12, v9
	v_fmac_f32_e32 v10, 0xb2a5705f, v8
	v_sub_f32_e32 v9, v9, v12
	v_add_f32_e32 v9, v9, v10
	v_cvt_i32_f32_e32 v10, v12
	v_exp_f32_e32 v9, v9
	v_cmp_nlt_f32_e32 vcc, s36, v8
	v_ldexp_f32 v9, v9, v10
	s_nop 0
	v_cndmask_b32_e32 v9, 0, v9, vcc
	v_cmp_ngt_f32_e32 vcc, s37, v8
	s_nop 1
	v_cndmask_b32_e32 v8, v20, v9, vcc
	v_sub_f32_e32 v8, 1.0, v8
.LBB472_19:                             ;   in Loop: Header=BB472_9 Depth=1
	s_andn2_saveexec_b64 s[14:15], s[14:15]
; %bb.20:                               ;   in Loop: Header=BB472_9 Depth=1
	v_mul_f32_e32 v8, v5, v5
	v_fmamk_f32 v9, v8, 0xba1345e1, v18
	v_fmaak_f32 v9, v8, v9, 0xbcdac9b8
	v_fmaak_f32 v9, v8, v9, 0x3de703be
	;; [unrolled: 1-line block ×4, first 2 shown]
	v_fma_f32 v8, |v5|, v8, |v5|
; %bb.21:                               ;   in Loop: Header=BB472_9 Depth=1
	s_or_b64 exec, exec, s[14:15]
	v_add_f32_e32 v9, v11, v15
	v_mul_f32_e32 v10, 0x3f3504f3, v9
	v_cmp_nlt_f32_e64 s[14:15], |v10|, 1.0
                                        ; implicit-def: $vgpr11
	s_and_saveexec_b64 s[40:41], s[14:15]
	s_xor_b64 s[14:15], exec, s[40:41]
	s_cbranch_execz .LBB472_23
; %bb.22:                               ;   in Loop: Header=BB472_9 Depth=1
	v_fma_f32 v11, |v10|, s28, v19
	v_fma_f32 v11, |v10|, v11, s29
	;; [unrolled: 1-line block ×6, first 2 shown]
	v_fma_f32 v11, |v10|, v11, |v10|
	v_mul_f32_e32 v12, 0xbfb8aa3b, v11
	v_fma_f32 v13, v11, s35, -v12
	v_rndne_f32_e32 v14, v12
	v_fmac_f32_e32 v13, 0xb2a5705f, v11
	v_sub_f32_e32 v12, v12, v14
	v_add_f32_e32 v12, v12, v13
	v_cvt_i32_f32_e32 v13, v14
	v_exp_f32_e32 v12, v12
	v_cmp_nlt_f32_e32 vcc, s36, v11
	v_ldexp_f32 v12, v12, v13
	s_nop 0
	v_cndmask_b32_e32 v12, 0, v12, vcc
	v_cmp_ngt_f32_e32 vcc, s37, v11
	s_nop 1
	v_cndmask_b32_e32 v11, v20, v12, vcc
	v_sub_f32_e32 v11, 1.0, v11
.LBB472_23:                             ;   in Loop: Header=BB472_9 Depth=1
	s_andn2_saveexec_b64 s[14:15], s[14:15]
	s_cbranch_execz .LBB472_8
; %bb.24:                               ;   in Loop: Header=BB472_9 Depth=1
	v_mul_f32_e32 v11, v10, v10
	v_fmamk_f32 v12, v11, 0xba1345e1, v18
	v_fmaak_f32 v12, v11, v12, 0xbcdac9b8
	v_fmaak_f32 v12, v11, v12, 0x3de703be
	;; [unrolled: 1-line block ×4, first 2 shown]
	v_fma_f32 v11, |v10|, v11, |v10|
	s_branch .LBB472_8
.LBB472_25:
	s_endpgm
	.section	.rodata,"a",@progbits
	.p2align	6, 0x0
	.amdhsa_kernel _ZN5aiter23act_and_mul_bias_kernelIfflfTnPFfRKT2_EXadL_ZNS_11gelu_kernelIfEEfRKT_EELi4EEEvPT0_PS8_PKT1_PS2_il
		.amdhsa_group_segment_fixed_size 0
		.amdhsa_private_segment_fixed_size 0
		.amdhsa_kernarg_size 304
		.amdhsa_user_sgpr_count 2
		.amdhsa_user_sgpr_dispatch_ptr 0
		.amdhsa_user_sgpr_queue_ptr 0
		.amdhsa_user_sgpr_kernarg_segment_ptr 1
		.amdhsa_user_sgpr_dispatch_id 0
		.amdhsa_user_sgpr_kernarg_preload_length 0
		.amdhsa_user_sgpr_kernarg_preload_offset 0
		.amdhsa_user_sgpr_private_segment_size 0
		.amdhsa_uses_dynamic_stack 0
		.amdhsa_enable_private_segment 0
		.amdhsa_system_sgpr_workgroup_id_x 1
		.amdhsa_system_sgpr_workgroup_id_y 0
		.amdhsa_system_sgpr_workgroup_id_z 0
		.amdhsa_system_sgpr_workgroup_info 0
		.amdhsa_system_vgpr_workitem_id 0
		.amdhsa_next_free_vgpr 27
		.amdhsa_next_free_sgpr 42
		.amdhsa_accum_offset 28
		.amdhsa_reserve_vcc 1
		.amdhsa_float_round_mode_32 0
		.amdhsa_float_round_mode_16_64 0
		.amdhsa_float_denorm_mode_32 3
		.amdhsa_float_denorm_mode_16_64 3
		.amdhsa_dx10_clamp 1
		.amdhsa_ieee_mode 1
		.amdhsa_fp16_overflow 0
		.amdhsa_tg_split 0
		.amdhsa_exception_fp_ieee_invalid_op 0
		.amdhsa_exception_fp_denorm_src 0
		.amdhsa_exception_fp_ieee_div_zero 0
		.amdhsa_exception_fp_ieee_overflow 0
		.amdhsa_exception_fp_ieee_underflow 0
		.amdhsa_exception_fp_ieee_inexact 0
		.amdhsa_exception_int_div_zero 0
	.end_amdhsa_kernel
	.section	.text._ZN5aiter23act_and_mul_bias_kernelIfflfTnPFfRKT2_EXadL_ZNS_11gelu_kernelIfEEfRKT_EELi4EEEvPT0_PS8_PKT1_PS2_il,"axG",@progbits,_ZN5aiter23act_and_mul_bias_kernelIfflfTnPFfRKT2_EXadL_ZNS_11gelu_kernelIfEEfRKT_EELi4EEEvPT0_PS8_PKT1_PS2_il,comdat
.Lfunc_end472:
	.size	_ZN5aiter23act_and_mul_bias_kernelIfflfTnPFfRKT2_EXadL_ZNS_11gelu_kernelIfEEfRKT_EELi4EEEvPT0_PS8_PKT1_PS2_il, .Lfunc_end472-_ZN5aiter23act_and_mul_bias_kernelIfflfTnPFfRKT2_EXadL_ZNS_11gelu_kernelIfEEfRKT_EELi4EEEvPT0_PS8_PKT1_PS2_il
                                        ; -- End function
	.section	.AMDGPU.csdata,"",@progbits
; Kernel info:
; codeLenInByte = 1728
; NumSgprs: 48
; NumVgprs: 27
; NumAgprs: 0
; TotalNumVgprs: 27
; ScratchSize: 0
; MemoryBound: 0
; FloatMode: 240
; IeeeMode: 1
; LDSByteSize: 0 bytes/workgroup (compile time only)
; SGPRBlocks: 5
; VGPRBlocks: 3
; NumSGPRsForWavesPerEU: 48
; NumVGPRsForWavesPerEU: 27
; AccumOffset: 28
; Occupancy: 8
; WaveLimiterHint : 0
; COMPUTE_PGM_RSRC2:SCRATCH_EN: 0
; COMPUTE_PGM_RSRC2:USER_SGPR: 2
; COMPUTE_PGM_RSRC2:TRAP_HANDLER: 0
; COMPUTE_PGM_RSRC2:TGID_X_EN: 1
; COMPUTE_PGM_RSRC2:TGID_Y_EN: 0
; COMPUTE_PGM_RSRC2:TGID_Z_EN: 0
; COMPUTE_PGM_RSRC2:TIDIG_COMP_CNT: 0
; COMPUTE_PGM_RSRC3_GFX90A:ACCUM_OFFSET: 6
; COMPUTE_PGM_RSRC3_GFX90A:TG_SPLIT: 0
	.section	.text._ZN5aiter23act_and_mul_bias_kernelIfflfTnPFfRKT2_EXadL_ZNS_11gelu_kernelIfEEfRKT_EELi2EEEvPT0_PS8_PKT1_PS2_il,"axG",@progbits,_ZN5aiter23act_and_mul_bias_kernelIfflfTnPFfRKT2_EXadL_ZNS_11gelu_kernelIfEEfRKT_EELi2EEEvPT0_PS8_PKT1_PS2_il,comdat
	.protected	_ZN5aiter23act_and_mul_bias_kernelIfflfTnPFfRKT2_EXadL_ZNS_11gelu_kernelIfEEfRKT_EELi2EEEvPT0_PS8_PKT1_PS2_il ; -- Begin function _ZN5aiter23act_and_mul_bias_kernelIfflfTnPFfRKT2_EXadL_ZNS_11gelu_kernelIfEEfRKT_EELi2EEEvPT0_PS8_PKT1_PS2_il
	.globl	_ZN5aiter23act_and_mul_bias_kernelIfflfTnPFfRKT2_EXadL_ZNS_11gelu_kernelIfEEfRKT_EELi2EEEvPT0_PS8_PKT1_PS2_il
	.p2align	8
	.type	_ZN5aiter23act_and_mul_bias_kernelIfflfTnPFfRKT2_EXadL_ZNS_11gelu_kernelIfEEfRKT_EELi2EEEvPT0_PS8_PKT1_PS2_il,@function
_ZN5aiter23act_and_mul_bias_kernelIfflfTnPFfRKT2_EXadL_ZNS_11gelu_kernelIfEEfRKT_EELi2EEEvPT0_PS8_PKT1_PS2_il: ; @_ZN5aiter23act_and_mul_bias_kernelIfflfTnPFfRKT2_EXadL_ZNS_11gelu_kernelIfEEfRKT_EELi2EEEvPT0_PS8_PKT1_PS2_il
; %bb.0:
	s_load_dword s24, s[0:1], 0x20
	s_load_dwordx2 s[4:5], s[0:1], 0x0
	s_load_dwordx2 s[6:7], s[0:1], 0x10
	;; [unrolled: 1-line block ×3, first 2 shown]
	s_mov_b32 s3, 0
	s_waitcnt lgkmcnt(0)
	s_ashr_i32 s25, s24, 31
	s_lshl_b64 s[8:9], s[2:3], 3
	s_add_u32 s6, s6, s8
	s_addc_u32 s7, s7, s9
	s_load_dwordx2 s[8:9], s[6:7], 0x0
	s_mul_hi_u32 s3, s24, s2
	s_mul_i32 s7, s25, s2
	s_add_i32 s11, s3, s7
	s_mul_i32 s10, s24, s2
	s_lshl_b32 s6, s24, 2
	s_lshl_b64 s[10:11], s[10:11], 2
	v_mov_b64_e32 v[2:3], s[12:13]
	s_add_u32 s4, s4, s10
	s_waitcnt lgkmcnt(0)
	v_cmp_gt_i64_e64 s[14:15], s[8:9], -1
	v_cmp_lt_i64_e32 vcc, s[8:9], v[2:3]
	s_addc_u32 s3, s5, s11
	s_and_b64 s[12:13], s[14:15], vcc
	s_and_b32 s5, s3, 0xffff
	s_mov_b64 s[10:11], -1
	s_and_b64 vcc, exec, s[12:13]
	v_lshlrev_b32_e32 v2, 1, v0
	s_cbranch_vccnz .LBB473_5
; %bb.1:
	v_cmp_gt_i32_e32 vcc, s24, v2
	s_and_saveexec_b64 s[10:11], vcc
	s_cbranch_execz .LBB473_4
; %bb.2:
	s_load_dword s3, s[0:1], 0x3c
	v_mov_b32_e32 v3, 0
	s_mov_b32 s13, 0
	v_lshlrev_b32_e32 v6, 3, v0
	s_mov_b64 s[14:15], 0
	s_waitcnt lgkmcnt(0)
	s_and_b32 s3, s3, 0xffff
	s_lshl_b32 s12, s3, 1
	s_lshl_b32 s3, s3, 3
	s_mov_b32 s7, 0x20000
	v_mov_b32_e32 v0, v3
	v_mov_b32_e32 v1, v3
	v_mov_b64_e32 v[4:5], v[2:3]
.LBB473_3:                              ; =>This Inner Loop Header: Depth=1
	v_lshl_add_u64 v[4:5], s[12:13], 0, v[4:5]
	v_cmp_le_i64_e32 vcc, s[24:25], v[4:5]
	buffer_store_dwordx2 v[0:1], v6, s[4:7], 0 offen
	s_or_b64 s[14:15], vcc, s[14:15]
	v_add_u32_e32 v6, s3, v6
	s_andn2_b64 exec, exec, s[14:15]
	s_cbranch_execnz .LBB473_3
.LBB473_4:
	s_or_b64 exec, exec, s[10:11]
	s_mov_b64 s[10:11], 0
.LBB473_5:
	s_andn2_b64 vcc, exec, s[10:11]
	s_cbranch_vccnz .LBB473_13
; %bb.6:
	v_cmp_gt_i32_e32 vcc, s24, v2
	s_and_saveexec_b64 s[10:11], vcc
	s_cbranch_execz .LBB473_13
; %bb.7:
	s_load_dwordx2 s[10:11], s[0:1], 0x8
	s_load_dwordx2 s[12:13], s[0:1], 0x18
	s_mul_i32 s3, s24, s9
	s_mul_hi_u32 s7, s24, s8
	s_add_i32 s3, s7, s3
	s_mul_i32 s7, s25, s8
	s_add_i32 s9, s3, s7
	s_mul_i32 s8, s24, s8
	s_lshl_b64 s[8:9], s[8:9], 3
	s_waitcnt lgkmcnt(0)
	s_add_u32 s8, s12, s8
	s_addc_u32 s3, s13, s9
	s_lshl_b64 s[14:15], s[24:25], 2
	s_add_u32 s12, s8, s14
	s_addc_u32 s13, s3, s15
	s_and_b32 s9, s3, 0xffff
	s_mul_i32 s3, s2, s25
	s_mul_hi_u32 s16, s2, s24
	s_add_i32 s3, s16, s3
	s_mul_i32 s2, s2, s24
	s_and_b32 s13, s13, 0xffff
	s_lshl_b64 s[2:3], s[2:3], 3
	s_add_u32 s16, s10, s2
	s_addc_u32 s2, s11, s3
	s_add_u32 s20, s16, s14
	s_addc_u32 s3, s2, s15
	s_and_b32 s17, s2, 0xffff
	s_and_b32 s21, s3, 0xffff
	s_mov_b32 s7, 0x20000
	s_add_u32 s0, s0, 48
	v_mov_b32_e32 v3, 0
	s_addc_u32 s1, s1, 0
	s_mov_b64 s[2:3], 0
	s_mov_b32 s11, s7
	s_mov_b32 s10, s6
	;; [unrolled: 1-line block ×15, first 2 shown]
	v_mov_b32_e32 v12, 0x3ba10414
	v_mov_b32_e32 v13, 0xb9c68948
	;; [unrolled: 1-line block ×3, first 2 shown]
	s_brev_b32 s39, -2
	s_mov_b32 s22, s6
	s_mov_b32 s23, s7
                                        ; implicit-def: $vgpr0
                                        ; implicit-def: $vgpr0
	;; [unrolled: 1-line block ×4, first 2 shown]
	s_branch .LBB473_9
.LBB473_8:                              ;   in Loop: Header=BB473_9 Depth=1
	s_or_b64 exec, exec, s[14:15]
	v_fma_f32 v10, |v1|, s29, v13
	v_fma_f32 v10, |v1|, v10, s30
	;; [unrolled: 1-line block ×6, first 2 shown]
	v_fma_f32 v10, |v1|, v10, |v1|
	v_mul_f32_e32 v17, 0xbfb8aa3b, v10
	v_fma_f32 v18, v10, s36, -v17
	v_rndne_f32_e32 v19, v17
	v_fmac_f32_e32 v18, 0xb2a5705f, v10
	v_sub_f32_e32 v17, v17, v19
	v_add_f32_e32 v17, v17, v18
	v_exp_f32_e32 v17, v17
	v_cvt_i32_f32_e32 v18, v19
	s_waitcnt vmcnt(0)
	v_pk_add_f32 v[4:5], v[4:5], v[8:9]
	v_fmamk_f32 v9, v11, 0xba1345e1, v12
	v_fmaak_f32 v9, v11, v9, 0xbcdac9b8
	v_ldexp_f32 v8, v17, v18
	v_cmp_nlt_f32_e32 vcc, s37, v10
	v_fmaak_f32 v9, v11, v9, 0x3de703be
	v_fmaak_f32 v9, v11, v9, 0xbec09330
	v_cndmask_b32_e32 v8, 0, v8, vcc
	v_cmp_ngt_f32_e32 vcc, s38, v10
	v_fmaak_f32 v9, v11, v9, 0x3e0375d0
	v_fma_f32 v9, |v1|, v9, |v1|
	v_cndmask_b32_e32 v8, v14, v8, vcc
	v_sub_f32_e32 v8, 1.0, v8
	v_cmp_lt_f32_e64 vcc, |v1|, 1.0
	v_bfi_b32 v0, s39, v16, v0
	v_mul_f32_e32 v7, 0.5, v7
	v_cndmask_b32_e32 v8, v8, v9, vcc
	v_bfi_b32 v1, s39, v8, v1
	v_mul_f32_e32 v6, 0.5, v6
	v_pk_add_f32 v[0:1], v[0:1], 1.0 op_sel_hi:[1,0]
	s_nop 0
	v_pk_mul_f32 v[0:1], v[6:7], v[0:1]
	s_nop 0
	;;#ASMSTART
	v_pk_mul_f32 v[0:1], v[0:1], v[4:5]
	;;#ASMEND
	s_load_dword s14, s[0:1], 0xc
	buffer_store_dwordx2 v[0:1], v15, s[4:7], 0 offen
	s_waitcnt lgkmcnt(0)
	s_and_b32 s14, s14, 0xffff
	s_lshl_b32 s26, s14, 1
	v_lshl_add_u64 v[2:3], s[26:27], 0, v[2:3]
	v_cmp_le_i64_e32 vcc, s[24:25], v[2:3]
	s_or_b64 s[2:3], vcc, s[2:3]
	s_andn2_b64 exec, exec, s[2:3]
	s_cbranch_execz .LBB473_13
.LBB473_9:                              ; =>This Inner Loop Header: Depth=1
	v_lshlrev_b32_e32 v15, 2, v2
	buffer_load_dwordx2 v[0:1], v15, s[16:19], 0 offen
	buffer_load_dwordx2 v[4:5], v15, s[20:23], 0 offen
	;; [unrolled: 1-line block ×3, first 2 shown]
	s_mov_b32 s14, s10
	s_mov_b32 s15, s11
	buffer_load_dwordx2 v[8:9], v15, s[12:15], 0 offen
                                        ; implicit-def: $vgpr16
	s_waitcnt vmcnt(1)
	v_pk_add_f32 v[6:7], v[0:1], v[6:7]
	s_nop 0
	v_pk_mul_f32 v[0:1], v[6:7], s[28:29] op_sel_hi:[1,0]
	s_nop 0
	v_cmp_nlt_f32_e64 s[14:15], |v0|, 1.0
	s_and_saveexec_b64 s[40:41], s[14:15]
	s_xor_b64 s[14:15], exec, s[40:41]
	s_cbranch_execz .LBB473_11
; %bb.10:                               ;   in Loop: Header=BB473_9 Depth=1
	v_fma_f32 v10, |v0|, s29, v13
	v_fma_f32 v10, |v0|, v10, s30
	;; [unrolled: 1-line block ×6, first 2 shown]
	v_fma_f32 v10, |v0|, v10, |v0|
	v_mul_f32_e32 v11, 0xbfb8aa3b, v10
	v_fma_f32 v16, v10, s36, -v11
	v_rndne_f32_e32 v17, v11
	v_fmac_f32_e32 v16, 0xb2a5705f, v10
	v_sub_f32_e32 v11, v11, v17
	v_add_f32_e32 v11, v11, v16
	v_cvt_i32_f32_e32 v16, v17
	v_exp_f32_e32 v11, v11
	v_cmp_nlt_f32_e32 vcc, s37, v10
	v_ldexp_f32 v11, v11, v16
	s_nop 0
	v_cndmask_b32_e32 v11, 0, v11, vcc
	v_cmp_ngt_f32_e32 vcc, s38, v10
	s_nop 1
	v_cndmask_b32_e32 v10, v14, v11, vcc
	v_sub_f32_e32 v16, 1.0, v10
.LBB473_11:                             ;   in Loop: Header=BB473_9 Depth=1
	s_or_saveexec_b64 s[14:15], s[14:15]
	v_pk_mul_f32 v[10:11], v[0:1], v[0:1]
	s_xor_b64 exec, exec, s[14:15]
	s_cbranch_execz .LBB473_8
; %bb.12:                               ;   in Loop: Header=BB473_9 Depth=1
	v_fmamk_f32 v16, v10, 0xba1345e1, v12
	v_fmaak_f32 v16, v10, v16, 0xbcdac9b8
	v_fmaak_f32 v16, v10, v16, 0x3de703be
	;; [unrolled: 1-line block ×4, first 2 shown]
	v_fma_f32 v16, |v0|, v10, |v0|
	s_branch .LBB473_8
.LBB473_13:
	s_endpgm
	.section	.rodata,"a",@progbits
	.p2align	6, 0x0
	.amdhsa_kernel _ZN5aiter23act_and_mul_bias_kernelIfflfTnPFfRKT2_EXadL_ZNS_11gelu_kernelIfEEfRKT_EELi2EEEvPT0_PS8_PKT1_PS2_il
		.amdhsa_group_segment_fixed_size 0
		.amdhsa_private_segment_fixed_size 0
		.amdhsa_kernarg_size 304
		.amdhsa_user_sgpr_count 2
		.amdhsa_user_sgpr_dispatch_ptr 0
		.amdhsa_user_sgpr_queue_ptr 0
		.amdhsa_user_sgpr_kernarg_segment_ptr 1
		.amdhsa_user_sgpr_dispatch_id 0
		.amdhsa_user_sgpr_kernarg_preload_length 0
		.amdhsa_user_sgpr_kernarg_preload_offset 0
		.amdhsa_user_sgpr_private_segment_size 0
		.amdhsa_uses_dynamic_stack 0
		.amdhsa_enable_private_segment 0
		.amdhsa_system_sgpr_workgroup_id_x 1
		.amdhsa_system_sgpr_workgroup_id_y 0
		.amdhsa_system_sgpr_workgroup_id_z 0
		.amdhsa_system_sgpr_workgroup_info 0
		.amdhsa_system_vgpr_workitem_id 0
		.amdhsa_next_free_vgpr 20
		.amdhsa_next_free_sgpr 42
		.amdhsa_accum_offset 20
		.amdhsa_reserve_vcc 1
		.amdhsa_float_round_mode_32 0
		.amdhsa_float_round_mode_16_64 0
		.amdhsa_float_denorm_mode_32 3
		.amdhsa_float_denorm_mode_16_64 3
		.amdhsa_dx10_clamp 1
		.amdhsa_ieee_mode 1
		.amdhsa_fp16_overflow 0
		.amdhsa_tg_split 0
		.amdhsa_exception_fp_ieee_invalid_op 0
		.amdhsa_exception_fp_denorm_src 0
		.amdhsa_exception_fp_ieee_div_zero 0
		.amdhsa_exception_fp_ieee_overflow 0
		.amdhsa_exception_fp_ieee_underflow 0
		.amdhsa_exception_fp_ieee_inexact 0
		.amdhsa_exception_int_div_zero 0
	.end_amdhsa_kernel
	.section	.text._ZN5aiter23act_and_mul_bias_kernelIfflfTnPFfRKT2_EXadL_ZNS_11gelu_kernelIfEEfRKT_EELi2EEEvPT0_PS8_PKT1_PS2_il,"axG",@progbits,_ZN5aiter23act_and_mul_bias_kernelIfflfTnPFfRKT2_EXadL_ZNS_11gelu_kernelIfEEfRKT_EELi2EEEvPT0_PS8_PKT1_PS2_il,comdat
.Lfunc_end473:
	.size	_ZN5aiter23act_and_mul_bias_kernelIfflfTnPFfRKT2_EXadL_ZNS_11gelu_kernelIfEEfRKT_EELi2EEEvPT0_PS8_PKT1_PS2_il, .Lfunc_end473-_ZN5aiter23act_and_mul_bias_kernelIfflfTnPFfRKT2_EXadL_ZNS_11gelu_kernelIfEEfRKT_EELi2EEEvPT0_PS8_PKT1_PS2_il
                                        ; -- End function
	.section	.AMDGPU.csdata,"",@progbits
; Kernel info:
; codeLenInByte = 1204
; NumSgprs: 48
; NumVgprs: 20
; NumAgprs: 0
; TotalNumVgprs: 20
; ScratchSize: 0
; MemoryBound: 0
; FloatMode: 240
; IeeeMode: 1
; LDSByteSize: 0 bytes/workgroup (compile time only)
; SGPRBlocks: 5
; VGPRBlocks: 2
; NumSGPRsForWavesPerEU: 48
; NumVGPRsForWavesPerEU: 20
; AccumOffset: 20
; Occupancy: 8
; WaveLimiterHint : 0
; COMPUTE_PGM_RSRC2:SCRATCH_EN: 0
; COMPUTE_PGM_RSRC2:USER_SGPR: 2
; COMPUTE_PGM_RSRC2:TRAP_HANDLER: 0
; COMPUTE_PGM_RSRC2:TGID_X_EN: 1
; COMPUTE_PGM_RSRC2:TGID_Y_EN: 0
; COMPUTE_PGM_RSRC2:TGID_Z_EN: 0
; COMPUTE_PGM_RSRC2:TIDIG_COMP_CNT: 0
; COMPUTE_PGM_RSRC3_GFX90A:ACCUM_OFFSET: 4
; COMPUTE_PGM_RSRC3_GFX90A:TG_SPLIT: 0
	.section	.text._ZN5aiter23act_and_mul_bias_kernelIfflfTnPFfRKT2_EXadL_ZNS_11gelu_kernelIfEEfRKT_EELi1EEEvPT0_PS8_PKT1_PS2_il,"axG",@progbits,_ZN5aiter23act_and_mul_bias_kernelIfflfTnPFfRKT2_EXadL_ZNS_11gelu_kernelIfEEfRKT_EELi1EEEvPT0_PS8_PKT1_PS2_il,comdat
	.protected	_ZN5aiter23act_and_mul_bias_kernelIfflfTnPFfRKT2_EXadL_ZNS_11gelu_kernelIfEEfRKT_EELi1EEEvPT0_PS8_PKT1_PS2_il ; -- Begin function _ZN5aiter23act_and_mul_bias_kernelIfflfTnPFfRKT2_EXadL_ZNS_11gelu_kernelIfEEfRKT_EELi1EEEvPT0_PS8_PKT1_PS2_il
	.globl	_ZN5aiter23act_and_mul_bias_kernelIfflfTnPFfRKT2_EXadL_ZNS_11gelu_kernelIfEEfRKT_EELi1EEEvPT0_PS8_PKT1_PS2_il
	.p2align	8
	.type	_ZN5aiter23act_and_mul_bias_kernelIfflfTnPFfRKT2_EXadL_ZNS_11gelu_kernelIfEEfRKT_EELi1EEEvPT0_PS8_PKT1_PS2_il,@function
_ZN5aiter23act_and_mul_bias_kernelIfflfTnPFfRKT2_EXadL_ZNS_11gelu_kernelIfEEfRKT_EELi1EEEvPT0_PS8_PKT1_PS2_il: ; @_ZN5aiter23act_and_mul_bias_kernelIfflfTnPFfRKT2_EXadL_ZNS_11gelu_kernelIfEEfRKT_EELi1EEEvPT0_PS8_PKT1_PS2_il
; %bb.0:
	s_load_dword s20, s[0:1], 0x20
	s_load_dwordx2 s[4:5], s[0:1], 0x0
	s_load_dwordx2 s[6:7], s[0:1], 0x10
	;; [unrolled: 1-line block ×3, first 2 shown]
	s_mov_b32 s3, 0
	s_waitcnt lgkmcnt(0)
	s_ashr_i32 s21, s20, 31
	s_lshl_b64 s[8:9], s[2:3], 3
	s_add_u32 s6, s6, s8
	s_addc_u32 s7, s7, s9
	s_load_dwordx2 s[6:7], s[6:7], 0x0
	s_mul_hi_u32 s3, s20, s2
	s_mul_i32 s8, s21, s2
	s_add_i32 s9, s3, s8
	s_mul_i32 s8, s20, s2
	s_lshl_b32 s10, s20, 2
	s_lshl_b64 s[8:9], s[8:9], 2
	s_add_u32 s8, s4, s8
	v_mov_b64_e32 v[2:3], s[14:15]
	s_addc_u32 s3, s5, s9
	s_waitcnt lgkmcnt(0)
	v_cmp_gt_i64_e64 s[4:5], s[6:7], -1
	v_cmp_lt_i64_e32 vcc, s[6:7], v[2:3]
	s_and_b64 s[4:5], s[4:5], vcc
	s_and_b32 s9, s3, 0xffff
	s_mov_b64 s[12:13], -1
	s_and_b64 vcc, exec, s[4:5]
	v_cmp_gt_i32_e64 s[4:5], s20, v0
	s_cbranch_vccnz .LBB474_5
; %bb.1:
	s_and_saveexec_b64 s[12:13], s[4:5]
	s_cbranch_execz .LBB474_4
; %bb.2:
	s_load_dword s3, s[0:1], 0x3c
	v_mov_b32_e32 v1, 0
	s_mov_b32 s5, 0
	v_lshlrev_b32_e32 v4, 2, v0
	s_mov_b64 s[14:15], 0
	s_waitcnt lgkmcnt(0)
	s_and_b32 s4, s3, 0xffff
	s_lshl_b32 s3, s4, 2
	s_mov_b32 s11, 0x20000
	v_mov_b64_e32 v[2:3], v[0:1]
.LBB474_3:                              ; =>This Inner Loop Header: Depth=1
	v_lshl_add_u64 v[2:3], v[2:3], 0, s[4:5]
	v_cmp_le_i64_e32 vcc, s[20:21], v[2:3]
	buffer_store_dword v1, v4, s[8:11], 0 offen
	s_or_b64 s[14:15], vcc, s[14:15]
	v_add_u32_e32 v4, s3, v4
	s_andn2_b64 exec, exec, s[14:15]
	s_cbranch_execnz .LBB474_3
.LBB474_4:
	s_or_b64 exec, exec, s[12:13]
	s_mov_b64 s[12:13], 0
.LBB474_5:
	s_andn2_b64 vcc, exec, s[12:13]
	s_cbranch_vccnz .LBB474_13
; %bb.6:
	v_cmp_gt_i32_e32 vcc, s20, v0
	s_and_saveexec_b64 s[4:5], vcc
	s_cbranch_execz .LBB474_13
; %bb.7:
	s_mul_i32 s3, s20, s7
	s_mul_hi_u32 s4, s20, s6
	s_add_i32 s3, s4, s3
	s_load_dwordx2 s[12:13], s[0:1], 0x8
	s_load_dwordx2 s[4:5], s[0:1], 0x18
	s_mul_i32 s7, s21, s6
	s_add_i32 s7, s3, s7
	s_mul_i32 s6, s20, s6
	s_lshl_b64 s[6:7], s[6:7], 3
	s_load_dword s14, s[0:1], 0x3c
	s_waitcnt lgkmcnt(0)
	s_add_u32 s0, s4, s6
	s_addc_u32 s1, s5, s7
	s_lshl_b64 s[6:7], s[20:21], 2
	s_add_u32 s4, s0, s6
	s_addc_u32 s3, s1, s7
	s_and_b32 s5, s3, 0xffff
	s_mul_i32 s3, s2, s21
	s_mul_hi_u32 s15, s2, s20
	s_add_i32 s3, s15, s3
	s_mul_i32 s2, s2, s20
	s_and_b32 s1, s1, 0xffff
	s_lshl_b64 s[2:3], s[2:3], 3
	s_add_u32 s12, s12, s2
	s_addc_u32 s2, s13, s3
	s_add_u32 s16, s12, s6
	s_mov_b32 s11, 0x20000
	s_addc_u32 s3, s2, s7
	s_and_b32 s22, s14, 0xffff
                                        ; implicit-def: $vgpr4
                                        ; implicit-def: $vgpr4
	;; [unrolled: 1-line block ×4, first 2 shown]
	s_and_b32 s13, s2, 0xffff
	s_and_b32 s17, s3, 0xffff
	s_mov_b32 s23, 0
	v_mov_b32_e32 v1, 0
	v_lshlrev_b32_e32 v2, 2, v0
	s_lshl_b32 s26, s22, 2
	s_mov_b64 s[24:25], 0
	s_mov_b32 s19, s11
	s_mov_b32 s18, s10
	;; [unrolled: 1-line block ×13, first 2 shown]
	v_mov_b32_e32 v3, 0x3ba10414
	s_brev_b32 s37, -2
	v_mov_b32_e32 v4, 0xb9c68948
	v_mov_b32_e32 v5, 0x7f800000
	s_branch .LBB474_9
.LBB474_8:                              ;   in Loop: Header=BB474_9 Depth=1
	s_or_b64 exec, exec, s[2:3]
	s_waitcnt vmcnt(0)
	v_add_f32_e32 v6, v6, v7
	v_mul_f32_e32 v7, 0.5, v8
	v_bfi_b32 v8, s37, v10, v9
	v_add_f32_e32 v8, 1.0, v8
	v_mul_f32_e32 v7, v7, v8
	v_lshl_add_u64 v[0:1], v[0:1], 0, s[22:23]
	v_mul_f32_e32 v6, v6, v7
	v_cmp_le_i64_e32 vcc, s[20:21], v[0:1]
	buffer_store_dword v6, v2, s[8:11], 0 offen
	s_or_b64 s[24:25], vcc, s[24:25]
	v_add_u32_e32 v2, s26, v2
	s_andn2_b64 exec, exec, s[24:25]
	s_cbranch_execz .LBB474_13
.LBB474_9:                              ; =>This Inner Loop Header: Depth=1
	s_mov_b32 s2, s18
	s_mov_b32 s3, s19
	buffer_load_dword v8, v2, s[12:15], 0 offen
	buffer_load_dword v6, v2, s[16:19], 0 offen
	;; [unrolled: 1-line block ×3, first 2 shown]
	s_mov_b32 s6, s18
	s_mov_b32 s7, s19
	buffer_load_dword v7, v2, s[4:7], 0 offen
                                        ; implicit-def: $vgpr10
	s_waitcnt vmcnt(1)
	v_add_f32_e32 v8, v8, v9
	v_mul_f32_e32 v9, 0x3f3504f3, v8
	v_cmp_nlt_f32_e64 s[2:3], |v9|, 1.0
	s_and_saveexec_b64 s[6:7], s[2:3]
	s_xor_b64 s[2:3], exec, s[6:7]
	s_cbranch_execz .LBB474_11
; %bb.10:                               ;   in Loop: Header=BB474_9 Depth=1
	v_fma_f32 v10, |v9|, s27, v4
	v_fma_f32 v10, |v9|, v10, s28
	;; [unrolled: 1-line block ×6, first 2 shown]
	v_fma_f32 v10, |v9|, v10, |v9|
	v_mul_f32_e32 v11, 0xbfb8aa3b, v10
	v_fma_f32 v12, v10, s34, -v11
	v_rndne_f32_e32 v13, v11
	v_fmac_f32_e32 v12, 0xb2a5705f, v10
	v_sub_f32_e32 v11, v11, v13
	v_add_f32_e32 v11, v11, v12
	v_cvt_i32_f32_e32 v12, v13
	v_exp_f32_e32 v11, v11
	v_cmp_nlt_f32_e32 vcc, s35, v10
	v_ldexp_f32 v11, v11, v12
	s_nop 0
	v_cndmask_b32_e32 v11, 0, v11, vcc
	v_cmp_ngt_f32_e32 vcc, s36, v10
	s_nop 1
	v_cndmask_b32_e32 v10, v5, v11, vcc
	v_sub_f32_e32 v10, 1.0, v10
.LBB474_11:                             ;   in Loop: Header=BB474_9 Depth=1
	s_andn2_saveexec_b64 s[2:3], s[2:3]
	s_cbranch_execz .LBB474_8
; %bb.12:                               ;   in Loop: Header=BB474_9 Depth=1
	v_mul_f32_e32 v10, v9, v9
	v_fmamk_f32 v11, v10, 0xba1345e1, v3
	v_fmaak_f32 v11, v10, v11, 0xbcdac9b8
	v_fmaak_f32 v11, v10, v11, 0x3de703be
	;; [unrolled: 1-line block ×4, first 2 shown]
	v_fma_f32 v10, |v9|, v10, |v9|
	s_branch .LBB474_8
.LBB474_13:
	s_endpgm
	.section	.rodata,"a",@progbits
	.p2align	6, 0x0
	.amdhsa_kernel _ZN5aiter23act_and_mul_bias_kernelIfflfTnPFfRKT2_EXadL_ZNS_11gelu_kernelIfEEfRKT_EELi1EEEvPT0_PS8_PKT1_PS2_il
		.amdhsa_group_segment_fixed_size 0
		.amdhsa_private_segment_fixed_size 0
		.amdhsa_kernarg_size 304
		.amdhsa_user_sgpr_count 2
		.amdhsa_user_sgpr_dispatch_ptr 0
		.amdhsa_user_sgpr_queue_ptr 0
		.amdhsa_user_sgpr_kernarg_segment_ptr 1
		.amdhsa_user_sgpr_dispatch_id 0
		.amdhsa_user_sgpr_kernarg_preload_length 0
		.amdhsa_user_sgpr_kernarg_preload_offset 0
		.amdhsa_user_sgpr_private_segment_size 0
		.amdhsa_uses_dynamic_stack 0
		.amdhsa_enable_private_segment 0
		.amdhsa_system_sgpr_workgroup_id_x 1
		.amdhsa_system_sgpr_workgroup_id_y 0
		.amdhsa_system_sgpr_workgroup_id_z 0
		.amdhsa_system_sgpr_workgroup_info 0
		.amdhsa_system_vgpr_workitem_id 0
		.amdhsa_next_free_vgpr 14
		.amdhsa_next_free_sgpr 38
		.amdhsa_accum_offset 16
		.amdhsa_reserve_vcc 1
		.amdhsa_float_round_mode_32 0
		.amdhsa_float_round_mode_16_64 0
		.amdhsa_float_denorm_mode_32 3
		.amdhsa_float_denorm_mode_16_64 3
		.amdhsa_dx10_clamp 1
		.amdhsa_ieee_mode 1
		.amdhsa_fp16_overflow 0
		.amdhsa_tg_split 0
		.amdhsa_exception_fp_ieee_invalid_op 0
		.amdhsa_exception_fp_denorm_src 0
		.amdhsa_exception_fp_ieee_div_zero 0
		.amdhsa_exception_fp_ieee_overflow 0
		.amdhsa_exception_fp_ieee_underflow 0
		.amdhsa_exception_fp_ieee_inexact 0
		.amdhsa_exception_int_div_zero 0
	.end_amdhsa_kernel
	.section	.text._ZN5aiter23act_and_mul_bias_kernelIfflfTnPFfRKT2_EXadL_ZNS_11gelu_kernelIfEEfRKT_EELi1EEEvPT0_PS8_PKT1_PS2_il,"axG",@progbits,_ZN5aiter23act_and_mul_bias_kernelIfflfTnPFfRKT2_EXadL_ZNS_11gelu_kernelIfEEfRKT_EELi1EEEvPT0_PS8_PKT1_PS2_il,comdat
.Lfunc_end474:
	.size	_ZN5aiter23act_and_mul_bias_kernelIfflfTnPFfRKT2_EXadL_ZNS_11gelu_kernelIfEEfRKT_EELi1EEEvPT0_PS8_PKT1_PS2_il, .Lfunc_end474-_ZN5aiter23act_and_mul_bias_kernelIfflfTnPFfRKT2_EXadL_ZNS_11gelu_kernelIfEEfRKT_EELi1EEEvPT0_PS8_PKT1_PS2_il
                                        ; -- End function
	.section	.AMDGPU.csdata,"",@progbits
; Kernel info:
; codeLenInByte = 932
; NumSgprs: 44
; NumVgprs: 14
; NumAgprs: 0
; TotalNumVgprs: 14
; ScratchSize: 0
; MemoryBound: 0
; FloatMode: 240
; IeeeMode: 1
; LDSByteSize: 0 bytes/workgroup (compile time only)
; SGPRBlocks: 5
; VGPRBlocks: 1
; NumSGPRsForWavesPerEU: 44
; NumVGPRsForWavesPerEU: 14
; AccumOffset: 16
; Occupancy: 8
; WaveLimiterHint : 0
; COMPUTE_PGM_RSRC2:SCRATCH_EN: 0
; COMPUTE_PGM_RSRC2:USER_SGPR: 2
; COMPUTE_PGM_RSRC2:TRAP_HANDLER: 0
; COMPUTE_PGM_RSRC2:TGID_X_EN: 1
; COMPUTE_PGM_RSRC2:TGID_Y_EN: 0
; COMPUTE_PGM_RSRC2:TGID_Z_EN: 0
; COMPUTE_PGM_RSRC2:TIDIG_COMP_CNT: 0
; COMPUTE_PGM_RSRC3_GFX90A:ACCUM_OFFSET: 3
; COMPUTE_PGM_RSRC3_GFX90A:TG_SPLIT: 0
	.section	.text._ZN5aiter23act_and_mul_bias_kernelIDF16_DF16_lfTnPFfRKT2_EXadL_ZNS_11gelu_kernelIfEEfRKT_EELi32EEEvPT0_PS8_PKT1_PS2_il,"axG",@progbits,_ZN5aiter23act_and_mul_bias_kernelIDF16_DF16_lfTnPFfRKT2_EXadL_ZNS_11gelu_kernelIfEEfRKT_EELi32EEEvPT0_PS8_PKT1_PS2_il,comdat
	.protected	_ZN5aiter23act_and_mul_bias_kernelIDF16_DF16_lfTnPFfRKT2_EXadL_ZNS_11gelu_kernelIfEEfRKT_EELi32EEEvPT0_PS8_PKT1_PS2_il ; -- Begin function _ZN5aiter23act_and_mul_bias_kernelIDF16_DF16_lfTnPFfRKT2_EXadL_ZNS_11gelu_kernelIfEEfRKT_EELi32EEEvPT0_PS8_PKT1_PS2_il
	.globl	_ZN5aiter23act_and_mul_bias_kernelIDF16_DF16_lfTnPFfRKT2_EXadL_ZNS_11gelu_kernelIfEEfRKT_EELi32EEEvPT0_PS8_PKT1_PS2_il
	.p2align	8
	.type	_ZN5aiter23act_and_mul_bias_kernelIDF16_DF16_lfTnPFfRKT2_EXadL_ZNS_11gelu_kernelIfEEfRKT_EELi32EEEvPT0_PS8_PKT1_PS2_il,@function
_ZN5aiter23act_and_mul_bias_kernelIDF16_DF16_lfTnPFfRKT2_EXadL_ZNS_11gelu_kernelIfEEfRKT_EELi32EEEvPT0_PS8_PKT1_PS2_il: ; @_ZN5aiter23act_and_mul_bias_kernelIDF16_DF16_lfTnPFfRKT2_EXadL_ZNS_11gelu_kernelIfEEfRKT_EELi32EEEvPT0_PS8_PKT1_PS2_il
; %bb.0:
	s_load_dword s24, s[0:1], 0x20
	s_load_dwordx2 s[4:5], s[0:1], 0x0
	s_load_dwordx2 s[6:7], s[0:1], 0x10
	;; [unrolled: 1-line block ×3, first 2 shown]
	s_mov_b32 s3, 0
	s_waitcnt lgkmcnt(0)
	s_ashr_i32 s25, s24, 31
	s_lshl_b64 s[8:9], s[2:3], 3
	s_add_u32 s6, s6, s8
	s_addc_u32 s7, s7, s9
	s_add_i32 s3, s24, 1
	s_load_dwordx2 s[8:9], s[6:7], 0x0
	s_lshr_b32 s6, s3, 31
	s_add_i32 s3, s3, s6
	s_lshl_b32 s3, s3, 1
	s_and_b32 s6, s3, -4
	s_mul_hi_u32 s3, s24, s2
	s_mul_i32 s7, s25, s2
	s_add_i32 s11, s3, s7
	s_mul_i32 s10, s24, s2
	s_lshl_b64 s[10:11], s[10:11], 1
	v_mov_b64_e32 v[2:3], s[12:13]
	s_add_u32 s4, s4, s10
	s_waitcnt lgkmcnt(0)
	v_cmp_gt_i64_e64 s[14:15], s[8:9], -1
	v_cmp_lt_i64_e32 vcc, s[8:9], v[2:3]
	s_addc_u32 s3, s5, s11
	s_and_b64 s[12:13], s[14:15], vcc
	s_and_b32 s5, s3, 0xffff
	s_mov_b64 s[10:11], -1
	s_and_b64 vcc, exec, s[12:13]
	v_lshlrev_b32_e32 v96, 5, v0
	s_cbranch_vccnz .LBB475_5
; %bb.1:
	v_cmp_gt_i32_e32 vcc, s24, v96
	s_and_saveexec_b64 s[10:11], vcc
	s_cbranch_execz .LBB475_4
; %bb.2:
	s_load_dword s3, s[0:1], 0x3c
	s_mov_b32 s13, 0
	s_mov_b32 s16, s13
	s_mov_b32 s17, s13
	v_mov_b32_e32 v97, 0
	v_lshlrev_b32_e32 v6, 6, v0
	s_waitcnt lgkmcnt(0)
	s_and_b32 s3, s3, 0xffff
	s_mov_b32 s18, s13
	s_mov_b32 s19, s13
	v_mov_b64_e32 v[0:1], s[16:17]
	s_lshl_b32 s12, s3, 5
	s_lshl_b32 s3, s3, 6
	s_mov_b64 s[14:15], 0
	s_mov_b32 s7, 0x20000
	v_mov_b64_e32 v[2:3], s[18:19]
	v_mov_b64_e32 v[4:5], v[96:97]
.LBB475_3:                              ; =>This Inner Loop Header: Depth=1
	v_lshl_add_u64 v[4:5], s[12:13], 0, v[4:5]
	v_cmp_le_i64_e32 vcc, s[24:25], v[4:5]
	buffer_store_dwordx4 v[0:3], v6, s[4:7], 0 offen
	buffer_store_dwordx4 v[0:3], v6, s[4:7], 16 offen
	;; [unrolled: 1-line block ×4, first 2 shown]
	s_or_b64 s[14:15], vcc, s[14:15]
	v_add_u32_e32 v6, s3, v6
	s_andn2_b64 exec, exec, s[14:15]
	s_cbranch_execnz .LBB475_3
.LBB475_4:
	s_or_b64 exec, exec, s[10:11]
	s_mov_b64 s[10:11], 0
.LBB475_5:
	s_andn2_b64 vcc, exec, s[10:11]
	s_cbranch_vccnz .LBB475_137
; %bb.6:
	v_cmp_gt_i32_e32 vcc, s24, v96
	s_and_saveexec_b64 s[10:11], vcc
	s_cbranch_execz .LBB475_137
; %bb.7:
	s_load_dwordx2 s[14:15], s[0:1], 0x8
	s_load_dwordx2 s[10:11], s[0:1], 0x18
	s_mul_i32 s3, s24, s9
	s_mul_hi_u32 s7, s24, s8
	s_add_i32 s3, s7, s3
	s_mul_i32 s7, s25, s8
	s_add_i32 s9, s3, s7
	s_mul_i32 s8, s24, s8
	s_lshl_b64 s[8:9], s[8:9], 3
	s_waitcnt lgkmcnt(0)
	s_add_u32 s8, s10, s8
	s_addc_u32 s3, s11, s9
	s_lshl_b64 s[10:11], s[24:25], 2
	s_add_u32 s12, s8, s10
	s_addc_u32 s13, s3, s11
	s_and_b32 s9, s3, 0xffff
	s_mul_i32 s3, s2, s25
	s_mul_hi_u32 s16, s2, s24
	s_add_i32 s3, s16, s3
	s_mul_i32 s2, s2, s24
	s_lshl_b32 s10, s24, 2
	s_and_b32 s13, s13, 0xffff
	s_lshl_b64 s[2:3], s[2:3], 2
	s_add_u32 s16, s14, s2
	s_addc_u32 s14, s15, s3
	s_lshl_b64 s[2:3], s[24:25], 1
	s_add_u32 s20, s16, s2
	s_addc_u32 s2, s14, s3
	s_and_b32 s17, s14, 0xffff
	s_and_b32 s21, s2, 0xffff
	s_mov_b32 s7, 0x20000
	s_add_u32 s0, s0, 48
	s_mov_b32 s11, s7
	s_mov_b64 s[22:23], s[6:7]
	v_mov_b32_e32 v97, 0
	s_addc_u32 s1, s1, 0
	s_mov_b64 s[2:3], 0
	s_mov_b32 s19, s7
	s_mov_b32 s18, s6
	;; [unrolled: 1-line block ×3, first 2 shown]
	s_movk_i32 s28, 0x50
	s_movk_i32 s29, 0x60
	;; [unrolled: 1-line block ×3, first 2 shown]
	s_mov_b32 s31, 0x378e98ab
	s_mov_b32 s33, 0x3b7cd369
	;; [unrolled: 1-line block ×9, first 2 shown]
	v_mov_b32_e32 v98, 0x3ba10414
	s_brev_b32 s41, -2
	v_mov_b32_e32 v99, 0xb9c68948
	v_mov_b32_e32 v100, 0x7f800000
                                        ; implicit-def: $vgpr0
                                        ; implicit-def: $vgpr0
	;; [unrolled: 1-line block ×4, first 2 shown]
	s_branch .LBB475_9
.LBB475_8:                              ;   in Loop: Header=BB475_9 Depth=1
	s_or_b64 exec, exec, s[14:15]
	v_cvt_f32_f16_sdwa v13, v3 dst_sel:DWORD dst_unused:UNUSED_PAD src0_sel:WORD_1
	v_bfi_b32 v2, s41, v12, v2
	v_cvt_f16_f32_e32 v14, v1
	v_bfi_b32 v1, s41, v11, v10
	v_add_f32_e32 v7, v7, v13
	v_cvt_f16_f32_e32 v13, v0
	v_cvt_f32_f16_e32 v0, v3
	v_mul_f32_e32 v8, 0.5, v8
	v_add_f32_e32 v2, 1.0, v2
	v_add_f32_e32 v1, 1.0, v1
	v_add_f32_e32 v6, v6, v0
	v_mul_f32_e32 v0, 0.5, v9
	v_mul_f32_e32 v2, v8, v2
	v_mul_f32_e32 v3, v0, v1
	;;#ASMSTART
	v_pk_mul_f32 v[0:1], v[2:3], v[6:7]
	;;#ASMEND
	s_load_dword s14, s[0:1], 0xc
	v_cvt_f16_f32_e32 v31, v88
	v_cvt_f16_f32_e32 v32, v89
	;; [unrolled: 1-line block ×30, first 2 shown]
	s_waitcnt lgkmcnt(0)
	s_and_b32 s14, s14, 0xffff
	v_pack_b32_f16 v3, v37, v38
	v_pack_b32_f16 v2, v35, v36
	;; [unrolled: 1-line block ×4, first 2 shown]
	s_lshl_b32 s26, s14, 5
	buffer_store_dwordx4 v[0:3], v101, s[4:7], 0 offen
	v_lshl_add_u64 v[96:97], s[26:27], 0, v[96:97]
	v_cmp_le_i64_e32 vcc, s[24:25], v[96:97]
	v_pack_b32_f16 v3, v29, v30
	v_pack_b32_f16 v2, v27, v28
	;; [unrolled: 1-line block ×4, first 2 shown]
	buffer_store_dwordx4 v[0:3], v101, s[4:7], 16 offen
	s_or_b64 s[2:3], vcc, s[2:3]
	s_nop 0
	v_pack_b32_f16 v3, v21, v22
	v_pack_b32_f16 v2, v19, v20
	;; [unrolled: 1-line block ×4, first 2 shown]
	buffer_store_dwordx4 v[0:3], v101, s[4:7], 32 offen
	s_nop 1
	v_pack_b32_f16 v3, v6, v7
	v_pack_b32_f16 v2, v4, v5
	;; [unrolled: 1-line block ×4, first 2 shown]
	buffer_store_dwordx4 v[0:3], v101, s[4:7], 48 offen
	s_andn2_b64 exec, exec, s[2:3]
	s_cbranch_execz .LBB475_137
.LBB475_9:                              ; =>This Inner Loop Header: Depth=1
	v_lshlrev_b32_e32 v101, 1, v96
	v_lshlrev_b32_e32 v4, 2, v96
	s_mov_b32 s14, s10
	s_mov_b32 s15, s11
	buffer_load_dwordx4 v[80:83], v101, s[16:19], 0 offen
	buffer_load_dwordx4 v[56:59], v101, s[16:19], 16 offen
	;; [unrolled: 1-line block ×23, first 2 shown]
	s_nop 0
	buffer_load_dwordx4 v[4:7], v4, s[12:15], s30 offen
                                        ; implicit-def: $vgpr103
	s_waitcnt vmcnt(23)
	v_cvt_f32_f16_e32 v102, v80
	s_waitcnt vmcnt(15)
	v_add_f32_e32 v92, v92, v102
	v_mul_f32_e32 v102, 0x3f3504f3, v92
	v_cmp_nlt_f32_e64 s[14:15], |v102|, 1.0
	s_and_saveexec_b64 s[42:43], s[14:15]
	s_xor_b64 s[14:15], exec, s[42:43]
	s_cbranch_execz .LBB475_11
; %bb.10:                               ;   in Loop: Header=BB475_9 Depth=1
	v_fma_f32 v103, |v102|, s31, v99
	v_fma_f32 v103, |v102|, v103, s33
	;; [unrolled: 1-line block ×6, first 2 shown]
	v_fma_f32 v103, |v102|, v103, |v102|
	v_mul_f32_e32 v104, 0xbfb8aa3b, v103
	v_fma_f32 v105, v103, s38, -v104
	v_rndne_f32_e32 v106, v104
	v_fmac_f32_e32 v105, 0xb2a5705f, v103
	v_sub_f32_e32 v104, v104, v106
	v_add_f32_e32 v104, v104, v105
	v_cvt_i32_f32_e32 v105, v106
	v_exp_f32_e32 v104, v104
	v_cmp_nlt_f32_e32 vcc, s39, v103
	v_ldexp_f32 v104, v104, v105
	s_nop 0
	v_cndmask_b32_e32 v104, 0, v104, vcc
	v_cmp_ngt_f32_e32 vcc, s40, v103
	s_nop 1
	v_cndmask_b32_e32 v103, v100, v104, vcc
	v_sub_f32_e32 v103, 1.0, v103
.LBB475_11:                             ;   in Loop: Header=BB475_9 Depth=1
	s_andn2_saveexec_b64 s[14:15], s[14:15]
; %bb.12:                               ;   in Loop: Header=BB475_9 Depth=1
	v_mul_f32_e32 v103, v102, v102
	v_fmamk_f32 v104, v103, 0xba1345e1, v98
	v_fmaak_f32 v104, v103, v104, 0xbcdac9b8
	v_fmaak_f32 v104, v103, v104, 0x3de703be
	;; [unrolled: 1-line block ×4, first 2 shown]
	v_fma_f32 v103, |v102|, v103, |v102|
; %bb.13:                               ;   in Loop: Header=BB475_9 Depth=1
	s_or_b64 exec, exec, s[14:15]
	v_cvt_f32_f16_sdwa v80, v80 dst_sel:DWORD dst_unused:UNUSED_PAD src0_sel:WORD_1
                                        ; implicit-def: $vgpr104
	v_add_f32_e32 v80, v93, v80
	v_mul_f32_e32 v93, 0x3f3504f3, v80
	v_cmp_nlt_f32_e64 s[14:15], |v93|, 1.0
	s_and_saveexec_b64 s[42:43], s[14:15]
	s_xor_b64 s[14:15], exec, s[42:43]
	s_cbranch_execz .LBB475_15
; %bb.14:                               ;   in Loop: Header=BB475_9 Depth=1
	v_fma_f32 v104, |v93|, s31, v99
	v_fma_f32 v104, |v93|, v104, s33
	;; [unrolled: 1-line block ×6, first 2 shown]
	v_fma_f32 v104, |v93|, v104, |v93|
	v_mul_f32_e32 v105, 0xbfb8aa3b, v104
	v_fma_f32 v106, v104, s38, -v105
	v_rndne_f32_e32 v107, v105
	v_fmac_f32_e32 v106, 0xb2a5705f, v104
	v_sub_f32_e32 v105, v105, v107
	v_add_f32_e32 v105, v105, v106
	v_cvt_i32_f32_e32 v106, v107
	v_exp_f32_e32 v105, v105
	v_cmp_nlt_f32_e32 vcc, s39, v104
	v_ldexp_f32 v105, v105, v106
	s_nop 0
	v_cndmask_b32_e32 v105, 0, v105, vcc
	v_cmp_ngt_f32_e32 vcc, s40, v104
	s_nop 1
	v_cndmask_b32_e32 v104, v100, v105, vcc
	v_sub_f32_e32 v104, 1.0, v104
.LBB475_15:                             ;   in Loop: Header=BB475_9 Depth=1
	s_andn2_saveexec_b64 s[14:15], s[14:15]
; %bb.16:                               ;   in Loop: Header=BB475_9 Depth=1
	v_mul_f32_e32 v104, v93, v93
	v_fmamk_f32 v105, v104, 0xba1345e1, v98
	v_fmaak_f32 v105, v104, v105, 0xbcdac9b8
	v_fmaak_f32 v105, v104, v105, 0x3de703be
	;; [unrolled: 1-line block ×4, first 2 shown]
	v_fma_f32 v104, |v93|, v104, |v93|
; %bb.17:                               ;   in Loop: Header=BB475_9 Depth=1
	s_or_b64 exec, exec, s[14:15]
	v_bfi_b32 v102, s41, v103, v102
	v_cvt_f32_f16_sdwa v103, v72 dst_sel:DWORD dst_unused:UNUSED_PAD src0_sel:WORD_1
	v_cvt_f32_f16_e32 v72, v72
	v_mul_f32_e32 v92, 0.5, v92
	v_add_f32_e32 v102, 1.0, v102
	v_mul_f32_e32 v92, v92, v102
	v_cvt_f32_f16_e32 v102, v81
	s_waitcnt vmcnt(7)
	v_add_f32_e32 v88, v88, v72
	v_mul_f32_e32 v72, 0.5, v80
	v_bfi_b32 v80, s41, v104, v93
	v_add_f32_e32 v80, 1.0, v80
	v_mul_f32_e32 v93, v72, v80
	v_add_f32_e32 v72, v94, v102
	v_mul_f32_e32 v80, 0x3f3504f3, v72
	v_add_f32_e32 v89, v89, v103
	v_cmp_nlt_f32_e64 s[14:15], |v80|, 1.0
	;;#ASMSTART
	v_pk_mul_f32 v[88:89], v[92:93], v[88:89]
	;;#ASMEND
                                        ; implicit-def: $vgpr92
	s_and_saveexec_b64 s[42:43], s[14:15]
	s_xor_b64 s[14:15], exec, s[42:43]
	s_cbranch_execz .LBB475_19
; %bb.18:                               ;   in Loop: Header=BB475_9 Depth=1
	v_fma_f32 v92, |v80|, s31, v99
	v_fma_f32 v92, |v80|, v92, s33
	;; [unrolled: 1-line block ×6, first 2 shown]
	v_fma_f32 v92, |v80|, v92, |v80|
	v_mul_f32_e32 v93, 0xbfb8aa3b, v92
	v_fma_f32 v94, v92, s38, -v93
	v_rndne_f32_e32 v102, v93
	v_fmac_f32_e32 v94, 0xb2a5705f, v92
	v_sub_f32_e32 v93, v93, v102
	v_add_f32_e32 v93, v93, v94
	v_cvt_i32_f32_e32 v94, v102
	v_exp_f32_e32 v93, v93
	v_cmp_nlt_f32_e32 vcc, s39, v92
	v_ldexp_f32 v93, v93, v94
	s_nop 0
	v_cndmask_b32_e32 v93, 0, v93, vcc
	v_cmp_ngt_f32_e32 vcc, s40, v92
	s_nop 1
	v_cndmask_b32_e32 v92, v100, v93, vcc
	v_sub_f32_e32 v92, 1.0, v92
.LBB475_19:                             ;   in Loop: Header=BB475_9 Depth=1
	s_andn2_saveexec_b64 s[14:15], s[14:15]
; %bb.20:                               ;   in Loop: Header=BB475_9 Depth=1
	v_mul_f32_e32 v92, v80, v80
	v_fmamk_f32 v93, v92, 0xba1345e1, v98
	v_fmaak_f32 v93, v92, v93, 0xbcdac9b8
	v_fmaak_f32 v93, v92, v93, 0x3de703be
	v_fmaak_f32 v93, v92, v93, 0xbec09330
	v_fmaak_f32 v92, v92, v93, 0x3e0375d0
	v_fma_f32 v92, |v80|, v92, |v80|
; %bb.21:                               ;   in Loop: Header=BB475_9 Depth=1
	s_or_b64 exec, exec, s[14:15]
	v_cvt_f32_f16_sdwa v81, v81 dst_sel:DWORD dst_unused:UNUSED_PAD src0_sel:WORD_1
                                        ; implicit-def: $vgpr94
	v_add_f32_e32 v81, v95, v81
	v_mul_f32_e32 v93, 0x3f3504f3, v81
	v_cmp_nlt_f32_e64 s[14:15], |v93|, 1.0
	s_and_saveexec_b64 s[42:43], s[14:15]
	s_xor_b64 s[14:15], exec, s[42:43]
	s_cbranch_execz .LBB475_23
; %bb.22:                               ;   in Loop: Header=BB475_9 Depth=1
	v_fma_f32 v94, |v93|, s31, v99
	v_fma_f32 v94, |v93|, v94, s33
	;; [unrolled: 1-line block ×6, first 2 shown]
	v_fma_f32 v94, |v93|, v94, |v93|
	v_mul_f32_e32 v95, 0xbfb8aa3b, v94
	v_fma_f32 v102, v94, s38, -v95
	v_rndne_f32_e32 v103, v95
	v_fmac_f32_e32 v102, 0xb2a5705f, v94
	v_sub_f32_e32 v95, v95, v103
	v_add_f32_e32 v95, v95, v102
	v_cvt_i32_f32_e32 v102, v103
	v_exp_f32_e32 v95, v95
	v_cmp_nlt_f32_e32 vcc, s39, v94
	v_ldexp_f32 v95, v95, v102
	s_nop 0
	v_cndmask_b32_e32 v95, 0, v95, vcc
	v_cmp_ngt_f32_e32 vcc, s40, v94
	s_nop 1
	v_cndmask_b32_e32 v94, v100, v95, vcc
	v_sub_f32_e32 v94, 1.0, v94
.LBB475_23:                             ;   in Loop: Header=BB475_9 Depth=1
	s_andn2_saveexec_b64 s[14:15], s[14:15]
; %bb.24:                               ;   in Loop: Header=BB475_9 Depth=1
	v_mul_f32_e32 v94, v93, v93
	v_fmamk_f32 v95, v94, 0xba1345e1, v98
	v_fmaak_f32 v95, v94, v95, 0xbcdac9b8
	v_fmaak_f32 v95, v94, v95, 0x3de703be
	;; [unrolled: 1-line block ×4, first 2 shown]
	v_fma_f32 v94, |v93|, v94, |v93|
; %bb.25:                               ;   in Loop: Header=BB475_9 Depth=1
	s_or_b64 exec, exec, s[14:15]
	v_bfi_b32 v80, s41, v92, v80
	v_cvt_f32_f16_sdwa v92, v73 dst_sel:DWORD dst_unused:UNUSED_PAD src0_sel:WORD_1
	v_cvt_f32_f16_e32 v73, v73
	v_mul_f32_e32 v72, 0.5, v72
	v_add_f32_e32 v80, 1.0, v80
	v_mul_f32_e32 v72, v72, v80
	v_add_f32_e32 v90, v90, v73
	v_mul_f32_e32 v73, 0.5, v81
	v_cvt_f32_f16_e32 v81, v82
	v_bfi_b32 v80, s41, v94, v93
	v_add_f32_e32 v80, 1.0, v80
	v_mul_f32_e32 v73, v73, v80
	v_add_f32_e32 v80, v84, v81
	v_mul_f32_e32 v81, 0x3f3504f3, v80
	v_cmp_nlt_f32_e64 s[14:15], |v81|, 1.0
	v_add_f32_e32 v91, v91, v92
	;;#ASMSTART
	v_pk_mul_f32 v[72:73], v[72:73], v[90:91]
	;;#ASMEND
                                        ; implicit-def: $vgpr84
	s_and_saveexec_b64 s[42:43], s[14:15]
	s_xor_b64 s[14:15], exec, s[42:43]
	s_cbranch_execz .LBB475_27
; %bb.26:                               ;   in Loop: Header=BB475_9 Depth=1
	v_fma_f32 v84, |v81|, s31, v99
	v_fma_f32 v84, |v81|, v84, s33
	;; [unrolled: 1-line block ×6, first 2 shown]
	v_fma_f32 v84, |v81|, v84, |v81|
	v_mul_f32_e32 v90, 0xbfb8aa3b, v84
	v_fma_f32 v91, v84, s38, -v90
	v_rndne_f32_e32 v92, v90
	v_fmac_f32_e32 v91, 0xb2a5705f, v84
	v_sub_f32_e32 v90, v90, v92
	v_add_f32_e32 v90, v90, v91
	v_cvt_i32_f32_e32 v91, v92
	v_exp_f32_e32 v90, v90
	v_cmp_nlt_f32_e32 vcc, s39, v84
	v_ldexp_f32 v90, v90, v91
	s_nop 0
	v_cndmask_b32_e32 v90, 0, v90, vcc
	v_cmp_ngt_f32_e32 vcc, s40, v84
	s_nop 1
	v_cndmask_b32_e32 v84, v100, v90, vcc
	v_sub_f32_e32 v84, 1.0, v84
.LBB475_27:                             ;   in Loop: Header=BB475_9 Depth=1
	s_andn2_saveexec_b64 s[14:15], s[14:15]
; %bb.28:                               ;   in Loop: Header=BB475_9 Depth=1
	v_mul_f32_e32 v84, v81, v81
	v_fmamk_f32 v90, v84, 0xba1345e1, v98
	v_fmaak_f32 v90, v84, v90, 0xbcdac9b8
	v_fmaak_f32 v90, v84, v90, 0x3de703be
	;; [unrolled: 1-line block ×4, first 2 shown]
	v_fma_f32 v84, |v81|, v84, |v81|
; %bb.29:                               ;   in Loop: Header=BB475_9 Depth=1
	s_or_b64 exec, exec, s[14:15]
	v_cvt_f32_f16_sdwa v82, v82 dst_sel:DWORD dst_unused:UNUSED_PAD src0_sel:WORD_1
                                        ; implicit-def: $vgpr90
	v_add_f32_e32 v82, v85, v82
	v_mul_f32_e32 v85, 0x3f3504f3, v82
	v_cmp_nlt_f32_e64 s[14:15], |v85|, 1.0
	s_and_saveexec_b64 s[42:43], s[14:15]
	s_xor_b64 s[14:15], exec, s[42:43]
	s_cbranch_execz .LBB475_31
; %bb.30:                               ;   in Loop: Header=BB475_9 Depth=1
	v_fma_f32 v90, |v85|, s31, v99
	v_fma_f32 v90, |v85|, v90, s33
	;; [unrolled: 1-line block ×6, first 2 shown]
	v_fma_f32 v90, |v85|, v90, |v85|
	v_mul_f32_e32 v91, 0xbfb8aa3b, v90
	v_fma_f32 v92, v90, s38, -v91
	v_rndne_f32_e32 v93, v91
	v_fmac_f32_e32 v92, 0xb2a5705f, v90
	v_sub_f32_e32 v91, v91, v93
	v_add_f32_e32 v91, v91, v92
	v_cvt_i32_f32_e32 v92, v93
	v_exp_f32_e32 v91, v91
	v_cmp_nlt_f32_e32 vcc, s39, v90
	v_ldexp_f32 v91, v91, v92
	s_nop 0
	v_cndmask_b32_e32 v91, 0, v91, vcc
	v_cmp_ngt_f32_e32 vcc, s40, v90
	s_nop 1
	v_cndmask_b32_e32 v90, v100, v91, vcc
	v_sub_f32_e32 v90, 1.0, v90
.LBB475_31:                             ;   in Loop: Header=BB475_9 Depth=1
	s_andn2_saveexec_b64 s[14:15], s[14:15]
; %bb.32:                               ;   in Loop: Header=BB475_9 Depth=1
	v_mul_f32_e32 v90, v85, v85
	v_fmamk_f32 v91, v90, 0xba1345e1, v98
	v_fmaak_f32 v91, v90, v91, 0xbcdac9b8
	v_fmaak_f32 v91, v90, v91, 0x3de703be
	;; [unrolled: 1-line block ×4, first 2 shown]
	v_fma_f32 v90, |v85|, v90, |v85|
; %bb.33:                               ;   in Loop: Header=BB475_9 Depth=1
	s_or_b64 exec, exec, s[14:15]
	v_bfi_b32 v81, s41, v84, v81
	v_cvt_f32_f16_sdwa v84, v74 dst_sel:DWORD dst_unused:UNUSED_PAD src0_sel:WORD_1
	v_cvt_f32_f16_e32 v74, v74
	v_mul_f32_e32 v80, 0.5, v80
	v_add_f32_e32 v81, 1.0, v81
	v_mul_f32_e32 v80, v80, v81
	s_waitcnt vmcnt(6)
	v_add_f32_e32 v76, v76, v74
	v_mul_f32_e32 v74, 0.5, v82
	v_cvt_f32_f16_e32 v82, v83
	v_bfi_b32 v81, s41, v90, v85
	v_add_f32_e32 v81, 1.0, v81
	v_add_f32_e32 v77, v77, v84
	v_mul_f32_e32 v81, v74, v81
	v_add_f32_e32 v74, v86, v82
	;;#ASMSTART
	v_pk_mul_f32 v[76:77], v[80:81], v[76:77]
	;;#ASMEND
	v_mul_f32_e32 v80, 0x3f3504f3, v74
	v_cmp_nlt_f32_e64 s[14:15], |v80|, 1.0
                                        ; implicit-def: $vgpr81
	s_and_saveexec_b64 s[42:43], s[14:15]
	s_xor_b64 s[14:15], exec, s[42:43]
	s_cbranch_execz .LBB475_35
; %bb.34:                               ;   in Loop: Header=BB475_9 Depth=1
	v_fma_f32 v81, |v80|, s31, v99
	v_fma_f32 v81, |v80|, v81, s33
	;; [unrolled: 1-line block ×6, first 2 shown]
	v_fma_f32 v81, |v80|, v81, |v80|
	v_mul_f32_e32 v82, 0xbfb8aa3b, v81
	v_fma_f32 v84, v81, s38, -v82
	v_rndne_f32_e32 v85, v82
	v_fmac_f32_e32 v84, 0xb2a5705f, v81
	v_sub_f32_e32 v82, v82, v85
	v_add_f32_e32 v82, v82, v84
	v_cvt_i32_f32_e32 v84, v85
	v_exp_f32_e32 v82, v82
	v_cmp_nlt_f32_e32 vcc, s39, v81
	v_ldexp_f32 v82, v82, v84
	s_nop 0
	v_cndmask_b32_e32 v82, 0, v82, vcc
	v_cmp_ngt_f32_e32 vcc, s40, v81
	s_nop 1
	v_cndmask_b32_e32 v81, v100, v82, vcc
	v_sub_f32_e32 v81, 1.0, v81
.LBB475_35:                             ;   in Loop: Header=BB475_9 Depth=1
	s_andn2_saveexec_b64 s[14:15], s[14:15]
; %bb.36:                               ;   in Loop: Header=BB475_9 Depth=1
	v_mul_f32_e32 v81, v80, v80
	v_fmamk_f32 v82, v81, 0xba1345e1, v98
	v_fmaak_f32 v82, v81, v82, 0xbcdac9b8
	v_fmaak_f32 v82, v81, v82, 0x3de703be
	;; [unrolled: 1-line block ×4, first 2 shown]
	v_fma_f32 v81, |v80|, v81, |v80|
; %bb.37:                               ;   in Loop: Header=BB475_9 Depth=1
	s_or_b64 exec, exec, s[14:15]
	v_cvt_f32_f16_sdwa v82, v83 dst_sel:DWORD dst_unused:UNUSED_PAD src0_sel:WORD_1
                                        ; implicit-def: $vgpr84
	v_add_f32_e32 v82, v87, v82
	v_mul_f32_e32 v83, 0x3f3504f3, v82
	v_cmp_nlt_f32_e64 s[14:15], |v83|, 1.0
	s_and_saveexec_b64 s[42:43], s[14:15]
	s_xor_b64 s[14:15], exec, s[42:43]
	s_cbranch_execz .LBB475_39
; %bb.38:                               ;   in Loop: Header=BB475_9 Depth=1
	v_fma_f32 v84, |v83|, s31, v99
	v_fma_f32 v84, |v83|, v84, s33
	;; [unrolled: 1-line block ×6, first 2 shown]
	v_fma_f32 v84, |v83|, v84, |v83|
	v_mul_f32_e32 v85, 0xbfb8aa3b, v84
	v_fma_f32 v86, v84, s38, -v85
	v_rndne_f32_e32 v87, v85
	v_fmac_f32_e32 v86, 0xb2a5705f, v84
	v_sub_f32_e32 v85, v85, v87
	v_add_f32_e32 v85, v85, v86
	v_cvt_i32_f32_e32 v86, v87
	v_exp_f32_e32 v85, v85
	v_cmp_nlt_f32_e32 vcc, s39, v84
	v_ldexp_f32 v85, v85, v86
	s_nop 0
	v_cndmask_b32_e32 v85, 0, v85, vcc
	v_cmp_ngt_f32_e32 vcc, s40, v84
	s_nop 1
	v_cndmask_b32_e32 v84, v100, v85, vcc
	v_sub_f32_e32 v84, 1.0, v84
.LBB475_39:                             ;   in Loop: Header=BB475_9 Depth=1
	s_andn2_saveexec_b64 s[14:15], s[14:15]
; %bb.40:                               ;   in Loop: Header=BB475_9 Depth=1
	v_mul_f32_e32 v84, v83, v83
	v_fmamk_f32 v85, v84, 0xba1345e1, v98
	v_fmaak_f32 v85, v84, v85, 0xbcdac9b8
	v_fmaak_f32 v85, v84, v85, 0x3de703be
	v_fmaak_f32 v85, v84, v85, 0xbec09330
	v_fmaak_f32 v84, v84, v85, 0x3e0375d0
	v_fma_f32 v84, |v83|, v84, |v83|
; %bb.41:                               ;   in Loop: Header=BB475_9 Depth=1
	s_or_b64 exec, exec, s[14:15]
	v_bfi_b32 v80, s41, v81, v80
	v_cvt_f32_f16_sdwa v81, v75 dst_sel:DWORD dst_unused:UNUSED_PAD src0_sel:WORD_1
	v_cvt_f32_f16_e32 v75, v75
	v_mul_f32_e32 v74, 0.5, v74
	v_add_f32_e32 v80, 1.0, v80
	v_add_f32_e32 v79, v79, v81
	v_cvt_f32_f16_e32 v81, v56
	v_mul_f32_e32 v74, v74, v80
	v_bfi_b32 v80, s41, v84, v83
	v_add_f32_e32 v78, v78, v75
	v_mul_f32_e32 v75, 0.5, v82
	v_add_f32_e32 v80, 1.0, v80
	v_mul_f32_e32 v75, v75, v80
	v_add_f32_e32 v68, v68, v81
	;;#ASMSTART
	v_pk_mul_f32 v[74:75], v[74:75], v[78:79]
	;;#ASMEND
	v_mul_f32_e32 v78, 0x3f3504f3, v68
	v_cmp_nlt_f32_e64 s[14:15], |v78|, 1.0
                                        ; implicit-def: $vgpr79
	s_and_saveexec_b64 s[42:43], s[14:15]
	s_xor_b64 s[14:15], exec, s[42:43]
	s_cbranch_execz .LBB475_43
; %bb.42:                               ;   in Loop: Header=BB475_9 Depth=1
	v_fma_f32 v79, |v78|, s31, v99
	v_fma_f32 v79, |v78|, v79, s33
	;; [unrolled: 1-line block ×6, first 2 shown]
	v_fma_f32 v79, |v78|, v79, |v78|
	v_mul_f32_e32 v80, 0xbfb8aa3b, v79
	v_fma_f32 v81, v79, s38, -v80
	v_rndne_f32_e32 v82, v80
	v_fmac_f32_e32 v81, 0xb2a5705f, v79
	v_sub_f32_e32 v80, v80, v82
	v_add_f32_e32 v80, v80, v81
	v_cvt_i32_f32_e32 v81, v82
	v_exp_f32_e32 v80, v80
	v_cmp_nlt_f32_e32 vcc, s39, v79
	v_ldexp_f32 v80, v80, v81
	s_nop 0
	v_cndmask_b32_e32 v80, 0, v80, vcc
	v_cmp_ngt_f32_e32 vcc, s40, v79
	s_nop 1
	v_cndmask_b32_e32 v79, v100, v80, vcc
	v_sub_f32_e32 v79, 1.0, v79
.LBB475_43:                             ;   in Loop: Header=BB475_9 Depth=1
	s_andn2_saveexec_b64 s[14:15], s[14:15]
; %bb.44:                               ;   in Loop: Header=BB475_9 Depth=1
	v_mul_f32_e32 v79, v78, v78
	v_fmamk_f32 v80, v79, 0xba1345e1, v98
	v_fmaak_f32 v80, v79, v80, 0xbcdac9b8
	v_fmaak_f32 v80, v79, v80, 0x3de703be
	;; [unrolled: 1-line block ×4, first 2 shown]
	v_fma_f32 v79, |v78|, v79, |v78|
; %bb.45:                               ;   in Loop: Header=BB475_9 Depth=1
	s_or_b64 exec, exec, s[14:15]
	v_cvt_f32_f16_sdwa v56, v56 dst_sel:DWORD dst_unused:UNUSED_PAD src0_sel:WORD_1
                                        ; implicit-def: $vgpr80
	v_add_f32_e32 v56, v69, v56
	v_mul_f32_e32 v69, 0x3f3504f3, v56
	v_cmp_nlt_f32_e64 s[14:15], |v69|, 1.0
	s_and_saveexec_b64 s[42:43], s[14:15]
	s_xor_b64 s[14:15], exec, s[42:43]
	s_cbranch_execz .LBB475_47
; %bb.46:                               ;   in Loop: Header=BB475_9 Depth=1
	v_fma_f32 v80, |v69|, s31, v99
	v_fma_f32 v80, |v69|, v80, s33
	;; [unrolled: 1-line block ×6, first 2 shown]
	v_fma_f32 v80, |v69|, v80, |v69|
	v_mul_f32_e32 v81, 0xbfb8aa3b, v80
	v_fma_f32 v82, v80, s38, -v81
	v_rndne_f32_e32 v83, v81
	v_fmac_f32_e32 v82, 0xb2a5705f, v80
	v_sub_f32_e32 v81, v81, v83
	v_add_f32_e32 v81, v81, v82
	v_cvt_i32_f32_e32 v82, v83
	v_exp_f32_e32 v81, v81
	v_cmp_nlt_f32_e32 vcc, s39, v80
	v_ldexp_f32 v81, v81, v82
	s_nop 0
	v_cndmask_b32_e32 v81, 0, v81, vcc
	v_cmp_ngt_f32_e32 vcc, s40, v80
	s_nop 1
	v_cndmask_b32_e32 v80, v100, v81, vcc
	v_sub_f32_e32 v80, 1.0, v80
.LBB475_47:                             ;   in Loop: Header=BB475_9 Depth=1
	s_andn2_saveexec_b64 s[14:15], s[14:15]
; %bb.48:                               ;   in Loop: Header=BB475_9 Depth=1
	v_mul_f32_e32 v80, v69, v69
	v_fmamk_f32 v81, v80, 0xba1345e1, v98
	v_fmaak_f32 v81, v80, v81, 0xbcdac9b8
	v_fmaak_f32 v81, v80, v81, 0x3de703be
	v_fmaak_f32 v81, v80, v81, 0xbec09330
	v_fmaak_f32 v80, v80, v81, 0x3e0375d0
	v_fma_f32 v80, |v69|, v80, |v69|
; %bb.49:                               ;   in Loop: Header=BB475_9 Depth=1
	s_or_b64 exec, exec, s[14:15]
	v_bfi_b32 v78, s41, v79, v78
	v_cvt_f32_f16_sdwa v79, v48 dst_sel:DWORD dst_unused:UNUSED_PAD src0_sel:WORD_1
	v_cvt_f32_f16_e32 v48, v48
	v_mul_f32_e32 v68, 0.5, v68
	v_add_f32_e32 v78, 1.0, v78
	v_mul_f32_e32 v68, v68, v78
	v_cvt_f32_f16_e32 v78, v57
	s_waitcnt vmcnt(5)
	v_add_f32_e32 v64, v64, v48
	v_mul_f32_e32 v48, 0.5, v56
	v_bfi_b32 v56, s41, v80, v69
	v_add_f32_e32 v56, 1.0, v56
	v_mul_f32_e32 v69, v48, v56
	v_add_f32_e32 v48, v70, v78
	v_mul_f32_e32 v56, 0x3f3504f3, v48
	v_add_f32_e32 v65, v65, v79
	v_cmp_nlt_f32_e64 s[14:15], |v56|, 1.0
	;;#ASMSTART
	v_pk_mul_f32 v[64:65], v[68:69], v[64:65]
	;;#ASMEND
                                        ; implicit-def: $vgpr68
	s_and_saveexec_b64 s[42:43], s[14:15]
	s_xor_b64 s[14:15], exec, s[42:43]
	s_cbranch_execz .LBB475_51
; %bb.50:                               ;   in Loop: Header=BB475_9 Depth=1
	v_fma_f32 v68, |v56|, s31, v99
	v_fma_f32 v68, |v56|, v68, s33
	;; [unrolled: 1-line block ×6, first 2 shown]
	v_fma_f32 v68, |v56|, v68, |v56|
	v_mul_f32_e32 v69, 0xbfb8aa3b, v68
	v_fma_f32 v70, v68, s38, -v69
	v_rndne_f32_e32 v78, v69
	v_fmac_f32_e32 v70, 0xb2a5705f, v68
	v_sub_f32_e32 v69, v69, v78
	v_add_f32_e32 v69, v69, v70
	v_cvt_i32_f32_e32 v70, v78
	v_exp_f32_e32 v69, v69
	v_cmp_nlt_f32_e32 vcc, s39, v68
	v_ldexp_f32 v69, v69, v70
	s_nop 0
	v_cndmask_b32_e32 v69, 0, v69, vcc
	v_cmp_ngt_f32_e32 vcc, s40, v68
	s_nop 1
	v_cndmask_b32_e32 v68, v100, v69, vcc
	v_sub_f32_e32 v68, 1.0, v68
.LBB475_51:                             ;   in Loop: Header=BB475_9 Depth=1
	s_andn2_saveexec_b64 s[14:15], s[14:15]
; %bb.52:                               ;   in Loop: Header=BB475_9 Depth=1
	v_mul_f32_e32 v68, v56, v56
	v_fmamk_f32 v69, v68, 0xba1345e1, v98
	v_fmaak_f32 v69, v68, v69, 0xbcdac9b8
	v_fmaak_f32 v69, v68, v69, 0x3de703be
	;; [unrolled: 1-line block ×4, first 2 shown]
	v_fma_f32 v68, |v56|, v68, |v56|
; %bb.53:                               ;   in Loop: Header=BB475_9 Depth=1
	s_or_b64 exec, exec, s[14:15]
	v_cvt_f32_f16_sdwa v57, v57 dst_sel:DWORD dst_unused:UNUSED_PAD src0_sel:WORD_1
                                        ; implicit-def: $vgpr70
	v_add_f32_e32 v57, v71, v57
	v_mul_f32_e32 v69, 0x3f3504f3, v57
	v_cmp_nlt_f32_e64 s[14:15], |v69|, 1.0
	s_and_saveexec_b64 s[42:43], s[14:15]
	s_xor_b64 s[14:15], exec, s[42:43]
	s_cbranch_execz .LBB475_55
; %bb.54:                               ;   in Loop: Header=BB475_9 Depth=1
	v_fma_f32 v70, |v69|, s31, v99
	v_fma_f32 v70, |v69|, v70, s33
	;; [unrolled: 1-line block ×6, first 2 shown]
	v_fma_f32 v70, |v69|, v70, |v69|
	v_mul_f32_e32 v71, 0xbfb8aa3b, v70
	v_fma_f32 v78, v70, s38, -v71
	v_rndne_f32_e32 v79, v71
	v_fmac_f32_e32 v78, 0xb2a5705f, v70
	v_sub_f32_e32 v71, v71, v79
	v_add_f32_e32 v71, v71, v78
	v_cvt_i32_f32_e32 v78, v79
	v_exp_f32_e32 v71, v71
	v_cmp_nlt_f32_e32 vcc, s39, v70
	v_ldexp_f32 v71, v71, v78
	s_nop 0
	v_cndmask_b32_e32 v71, 0, v71, vcc
	v_cmp_ngt_f32_e32 vcc, s40, v70
	s_nop 1
	v_cndmask_b32_e32 v70, v100, v71, vcc
	v_sub_f32_e32 v70, 1.0, v70
.LBB475_55:                             ;   in Loop: Header=BB475_9 Depth=1
	s_andn2_saveexec_b64 s[14:15], s[14:15]
; %bb.56:                               ;   in Loop: Header=BB475_9 Depth=1
	v_mul_f32_e32 v70, v69, v69
	v_fmamk_f32 v71, v70, 0xba1345e1, v98
	v_fmaak_f32 v71, v70, v71, 0xbcdac9b8
	v_fmaak_f32 v71, v70, v71, 0x3de703be
	;; [unrolled: 1-line block ×4, first 2 shown]
	v_fma_f32 v70, |v69|, v70, |v69|
; %bb.57:                               ;   in Loop: Header=BB475_9 Depth=1
	s_or_b64 exec, exec, s[14:15]
	v_bfi_b32 v56, s41, v68, v56
	v_cvt_f32_f16_sdwa v68, v49 dst_sel:DWORD dst_unused:UNUSED_PAD src0_sel:WORD_1
	v_cvt_f32_f16_e32 v49, v49
	v_mul_f32_e32 v48, 0.5, v48
	v_add_f32_e32 v56, 1.0, v56
	v_mul_f32_e32 v48, v48, v56
	v_add_f32_e32 v66, v66, v49
	v_mul_f32_e32 v49, 0.5, v57
	v_cvt_f32_f16_e32 v57, v58
	v_bfi_b32 v56, s41, v70, v69
	v_add_f32_e32 v56, 1.0, v56
	v_mul_f32_e32 v49, v49, v56
	v_add_f32_e32 v56, v60, v57
	v_mul_f32_e32 v57, 0x3f3504f3, v56
	v_cmp_nlt_f32_e64 s[14:15], |v57|, 1.0
	v_add_f32_e32 v67, v67, v68
	;;#ASMSTART
	v_pk_mul_f32 v[48:49], v[48:49], v[66:67]
	;;#ASMEND
                                        ; implicit-def: $vgpr60
	s_and_saveexec_b64 s[42:43], s[14:15]
	s_xor_b64 s[14:15], exec, s[42:43]
	s_cbranch_execz .LBB475_59
; %bb.58:                               ;   in Loop: Header=BB475_9 Depth=1
	v_fma_f32 v60, |v57|, s31, v99
	v_fma_f32 v60, |v57|, v60, s33
	;; [unrolled: 1-line block ×6, first 2 shown]
	v_fma_f32 v60, |v57|, v60, |v57|
	v_mul_f32_e32 v66, 0xbfb8aa3b, v60
	v_fma_f32 v67, v60, s38, -v66
	v_rndne_f32_e32 v68, v66
	v_fmac_f32_e32 v67, 0xb2a5705f, v60
	v_sub_f32_e32 v66, v66, v68
	v_add_f32_e32 v66, v66, v67
	v_cvt_i32_f32_e32 v67, v68
	v_exp_f32_e32 v66, v66
	v_cmp_nlt_f32_e32 vcc, s39, v60
	v_ldexp_f32 v66, v66, v67
	s_nop 0
	v_cndmask_b32_e32 v66, 0, v66, vcc
	v_cmp_ngt_f32_e32 vcc, s40, v60
	s_nop 1
	v_cndmask_b32_e32 v60, v100, v66, vcc
	v_sub_f32_e32 v60, 1.0, v60
.LBB475_59:                             ;   in Loop: Header=BB475_9 Depth=1
	s_andn2_saveexec_b64 s[14:15], s[14:15]
; %bb.60:                               ;   in Loop: Header=BB475_9 Depth=1
	v_mul_f32_e32 v60, v57, v57
	v_fmamk_f32 v66, v60, 0xba1345e1, v98
	v_fmaak_f32 v66, v60, v66, 0xbcdac9b8
	v_fmaak_f32 v66, v60, v66, 0x3de703be
	;; [unrolled: 1-line block ×4, first 2 shown]
	v_fma_f32 v60, |v57|, v60, |v57|
; %bb.61:                               ;   in Loop: Header=BB475_9 Depth=1
	s_or_b64 exec, exec, s[14:15]
	v_cvt_f32_f16_sdwa v58, v58 dst_sel:DWORD dst_unused:UNUSED_PAD src0_sel:WORD_1
                                        ; implicit-def: $vgpr66
	v_add_f32_e32 v58, v61, v58
	v_mul_f32_e32 v61, 0x3f3504f3, v58
	v_cmp_nlt_f32_e64 s[14:15], |v61|, 1.0
	s_and_saveexec_b64 s[42:43], s[14:15]
	s_xor_b64 s[14:15], exec, s[42:43]
	s_cbranch_execz .LBB475_63
; %bb.62:                               ;   in Loop: Header=BB475_9 Depth=1
	v_fma_f32 v66, |v61|, s31, v99
	v_fma_f32 v66, |v61|, v66, s33
	;; [unrolled: 1-line block ×6, first 2 shown]
	v_fma_f32 v66, |v61|, v66, |v61|
	v_mul_f32_e32 v67, 0xbfb8aa3b, v66
	v_fma_f32 v68, v66, s38, -v67
	v_rndne_f32_e32 v69, v67
	v_fmac_f32_e32 v68, 0xb2a5705f, v66
	v_sub_f32_e32 v67, v67, v69
	v_add_f32_e32 v67, v67, v68
	v_cvt_i32_f32_e32 v68, v69
	v_exp_f32_e32 v67, v67
	v_cmp_nlt_f32_e32 vcc, s39, v66
	v_ldexp_f32 v67, v67, v68
	s_nop 0
	v_cndmask_b32_e32 v67, 0, v67, vcc
	v_cmp_ngt_f32_e32 vcc, s40, v66
	s_nop 1
	v_cndmask_b32_e32 v66, v100, v67, vcc
	v_sub_f32_e32 v66, 1.0, v66
.LBB475_63:                             ;   in Loop: Header=BB475_9 Depth=1
	s_andn2_saveexec_b64 s[14:15], s[14:15]
; %bb.64:                               ;   in Loop: Header=BB475_9 Depth=1
	v_mul_f32_e32 v66, v61, v61
	v_fmamk_f32 v67, v66, 0xba1345e1, v98
	v_fmaak_f32 v67, v66, v67, 0xbcdac9b8
	v_fmaak_f32 v67, v66, v67, 0x3de703be
	;; [unrolled: 1-line block ×4, first 2 shown]
	v_fma_f32 v66, |v61|, v66, |v61|
; %bb.65:                               ;   in Loop: Header=BB475_9 Depth=1
	s_or_b64 exec, exec, s[14:15]
	v_bfi_b32 v57, s41, v60, v57
	v_cvt_f32_f16_sdwa v60, v50 dst_sel:DWORD dst_unused:UNUSED_PAD src0_sel:WORD_1
	v_cvt_f32_f16_e32 v50, v50
	v_mul_f32_e32 v56, 0.5, v56
	v_add_f32_e32 v57, 1.0, v57
	v_mul_f32_e32 v56, v56, v57
	s_waitcnt vmcnt(4)
	v_add_f32_e32 v52, v52, v50
	v_mul_f32_e32 v50, 0.5, v58
	v_cvt_f32_f16_e32 v58, v59
	v_bfi_b32 v57, s41, v66, v61
	v_add_f32_e32 v57, 1.0, v57
	v_add_f32_e32 v53, v53, v60
	v_mul_f32_e32 v57, v50, v57
	v_add_f32_e32 v50, v62, v58
	;;#ASMSTART
	v_pk_mul_f32 v[52:53], v[56:57], v[52:53]
	;;#ASMEND
	v_mul_f32_e32 v56, 0x3f3504f3, v50
	v_cmp_nlt_f32_e64 s[14:15], |v56|, 1.0
                                        ; implicit-def: $vgpr57
	s_and_saveexec_b64 s[42:43], s[14:15]
	s_xor_b64 s[14:15], exec, s[42:43]
	s_cbranch_execz .LBB475_67
; %bb.66:                               ;   in Loop: Header=BB475_9 Depth=1
	v_fma_f32 v57, |v56|, s31, v99
	v_fma_f32 v57, |v56|, v57, s33
	;; [unrolled: 1-line block ×6, first 2 shown]
	v_fma_f32 v57, |v56|, v57, |v56|
	v_mul_f32_e32 v58, 0xbfb8aa3b, v57
	v_fma_f32 v60, v57, s38, -v58
	v_rndne_f32_e32 v61, v58
	v_fmac_f32_e32 v60, 0xb2a5705f, v57
	v_sub_f32_e32 v58, v58, v61
	v_add_f32_e32 v58, v58, v60
	v_cvt_i32_f32_e32 v60, v61
	v_exp_f32_e32 v58, v58
	v_cmp_nlt_f32_e32 vcc, s39, v57
	v_ldexp_f32 v58, v58, v60
	s_nop 0
	v_cndmask_b32_e32 v58, 0, v58, vcc
	v_cmp_ngt_f32_e32 vcc, s40, v57
	s_nop 1
	v_cndmask_b32_e32 v57, v100, v58, vcc
	v_sub_f32_e32 v57, 1.0, v57
.LBB475_67:                             ;   in Loop: Header=BB475_9 Depth=1
	s_andn2_saveexec_b64 s[14:15], s[14:15]
; %bb.68:                               ;   in Loop: Header=BB475_9 Depth=1
	v_mul_f32_e32 v57, v56, v56
	v_fmamk_f32 v58, v57, 0xba1345e1, v98
	v_fmaak_f32 v58, v57, v58, 0xbcdac9b8
	v_fmaak_f32 v58, v57, v58, 0x3de703be
	;; [unrolled: 1-line block ×4, first 2 shown]
	v_fma_f32 v57, |v56|, v57, |v56|
; %bb.69:                               ;   in Loop: Header=BB475_9 Depth=1
	s_or_b64 exec, exec, s[14:15]
	v_cvt_f32_f16_sdwa v58, v59 dst_sel:DWORD dst_unused:UNUSED_PAD src0_sel:WORD_1
                                        ; implicit-def: $vgpr60
	v_add_f32_e32 v58, v63, v58
	v_mul_f32_e32 v59, 0x3f3504f3, v58
	v_cmp_nlt_f32_e64 s[14:15], |v59|, 1.0
	s_and_saveexec_b64 s[42:43], s[14:15]
	s_xor_b64 s[14:15], exec, s[42:43]
	s_cbranch_execz .LBB475_71
; %bb.70:                               ;   in Loop: Header=BB475_9 Depth=1
	v_fma_f32 v60, |v59|, s31, v99
	v_fma_f32 v60, |v59|, v60, s33
	;; [unrolled: 1-line block ×6, first 2 shown]
	v_fma_f32 v60, |v59|, v60, |v59|
	v_mul_f32_e32 v61, 0xbfb8aa3b, v60
	v_fma_f32 v62, v60, s38, -v61
	v_rndne_f32_e32 v63, v61
	v_fmac_f32_e32 v62, 0xb2a5705f, v60
	v_sub_f32_e32 v61, v61, v63
	v_add_f32_e32 v61, v61, v62
	v_cvt_i32_f32_e32 v62, v63
	v_exp_f32_e32 v61, v61
	v_cmp_nlt_f32_e32 vcc, s39, v60
	v_ldexp_f32 v61, v61, v62
	s_nop 0
	v_cndmask_b32_e32 v61, 0, v61, vcc
	v_cmp_ngt_f32_e32 vcc, s40, v60
	s_nop 1
	v_cndmask_b32_e32 v60, v100, v61, vcc
	v_sub_f32_e32 v60, 1.0, v60
.LBB475_71:                             ;   in Loop: Header=BB475_9 Depth=1
	s_andn2_saveexec_b64 s[14:15], s[14:15]
; %bb.72:                               ;   in Loop: Header=BB475_9 Depth=1
	v_mul_f32_e32 v60, v59, v59
	v_fmamk_f32 v61, v60, 0xba1345e1, v98
	v_fmaak_f32 v61, v60, v61, 0xbcdac9b8
	v_fmaak_f32 v61, v60, v61, 0x3de703be
	;; [unrolled: 1-line block ×4, first 2 shown]
	v_fma_f32 v60, |v59|, v60, |v59|
; %bb.73:                               ;   in Loop: Header=BB475_9 Depth=1
	s_or_b64 exec, exec, s[14:15]
	v_bfi_b32 v56, s41, v57, v56
	v_cvt_f32_f16_sdwa v57, v51 dst_sel:DWORD dst_unused:UNUSED_PAD src0_sel:WORD_1
	v_cvt_f32_f16_e32 v51, v51
	v_mul_f32_e32 v50, 0.5, v50
	v_add_f32_e32 v56, 1.0, v56
	v_add_f32_e32 v55, v55, v57
	v_cvt_f32_f16_e32 v57, v32
	v_mul_f32_e32 v50, v50, v56
	v_bfi_b32 v56, s41, v60, v59
	v_add_f32_e32 v54, v54, v51
	v_mul_f32_e32 v51, 0.5, v58
	v_add_f32_e32 v56, 1.0, v56
	v_mul_f32_e32 v51, v51, v56
	v_add_f32_e32 v44, v44, v57
	;;#ASMSTART
	v_pk_mul_f32 v[50:51], v[50:51], v[54:55]
	;;#ASMEND
	v_mul_f32_e32 v54, 0x3f3504f3, v44
	v_cmp_nlt_f32_e64 s[14:15], |v54|, 1.0
                                        ; implicit-def: $vgpr55
	s_and_saveexec_b64 s[42:43], s[14:15]
	s_xor_b64 s[14:15], exec, s[42:43]
	s_cbranch_execz .LBB475_75
; %bb.74:                               ;   in Loop: Header=BB475_9 Depth=1
	v_fma_f32 v55, |v54|, s31, v99
	v_fma_f32 v55, |v54|, v55, s33
	;; [unrolled: 1-line block ×6, first 2 shown]
	v_fma_f32 v55, |v54|, v55, |v54|
	v_mul_f32_e32 v56, 0xbfb8aa3b, v55
	v_fma_f32 v57, v55, s38, -v56
	v_rndne_f32_e32 v58, v56
	v_fmac_f32_e32 v57, 0xb2a5705f, v55
	v_sub_f32_e32 v56, v56, v58
	v_add_f32_e32 v56, v56, v57
	v_cvt_i32_f32_e32 v57, v58
	v_exp_f32_e32 v56, v56
	v_cmp_nlt_f32_e32 vcc, s39, v55
	v_ldexp_f32 v56, v56, v57
	s_nop 0
	v_cndmask_b32_e32 v56, 0, v56, vcc
	v_cmp_ngt_f32_e32 vcc, s40, v55
	s_nop 1
	v_cndmask_b32_e32 v55, v100, v56, vcc
	v_sub_f32_e32 v55, 1.0, v55
.LBB475_75:                             ;   in Loop: Header=BB475_9 Depth=1
	s_andn2_saveexec_b64 s[14:15], s[14:15]
; %bb.76:                               ;   in Loop: Header=BB475_9 Depth=1
	v_mul_f32_e32 v55, v54, v54
	v_fmamk_f32 v56, v55, 0xba1345e1, v98
	v_fmaak_f32 v56, v55, v56, 0xbcdac9b8
	v_fmaak_f32 v56, v55, v56, 0x3de703be
	;; [unrolled: 1-line block ×4, first 2 shown]
	v_fma_f32 v55, |v54|, v55, |v54|
; %bb.77:                               ;   in Loop: Header=BB475_9 Depth=1
	s_or_b64 exec, exec, s[14:15]
	v_cvt_f32_f16_sdwa v32, v32 dst_sel:DWORD dst_unused:UNUSED_PAD src0_sel:WORD_1
                                        ; implicit-def: $vgpr56
	v_add_f32_e32 v32, v45, v32
	v_mul_f32_e32 v45, 0x3f3504f3, v32
	v_cmp_nlt_f32_e64 s[14:15], |v45|, 1.0
	s_and_saveexec_b64 s[42:43], s[14:15]
	s_xor_b64 s[14:15], exec, s[42:43]
	s_cbranch_execz .LBB475_79
; %bb.78:                               ;   in Loop: Header=BB475_9 Depth=1
	v_fma_f32 v56, |v45|, s31, v99
	v_fma_f32 v56, |v45|, v56, s33
	;; [unrolled: 1-line block ×6, first 2 shown]
	v_fma_f32 v56, |v45|, v56, |v45|
	v_mul_f32_e32 v57, 0xbfb8aa3b, v56
	v_fma_f32 v58, v56, s38, -v57
	v_rndne_f32_e32 v59, v57
	v_fmac_f32_e32 v58, 0xb2a5705f, v56
	v_sub_f32_e32 v57, v57, v59
	v_add_f32_e32 v57, v57, v58
	v_cvt_i32_f32_e32 v58, v59
	v_exp_f32_e32 v57, v57
	v_cmp_nlt_f32_e32 vcc, s39, v56
	v_ldexp_f32 v57, v57, v58
	s_nop 0
	v_cndmask_b32_e32 v57, 0, v57, vcc
	v_cmp_ngt_f32_e32 vcc, s40, v56
	s_nop 1
	v_cndmask_b32_e32 v56, v100, v57, vcc
	v_sub_f32_e32 v56, 1.0, v56
.LBB475_79:                             ;   in Loop: Header=BB475_9 Depth=1
	s_andn2_saveexec_b64 s[14:15], s[14:15]
; %bb.80:                               ;   in Loop: Header=BB475_9 Depth=1
	v_mul_f32_e32 v56, v45, v45
	v_fmamk_f32 v57, v56, 0xba1345e1, v98
	v_fmaak_f32 v57, v56, v57, 0xbcdac9b8
	v_fmaak_f32 v57, v56, v57, 0x3de703be
	;; [unrolled: 1-line block ×4, first 2 shown]
	v_fma_f32 v56, |v45|, v56, |v45|
; %bb.81:                               ;   in Loop: Header=BB475_9 Depth=1
	s_or_b64 exec, exec, s[14:15]
	v_bfi_b32 v54, s41, v55, v54
	v_cvt_f32_f16_sdwa v55, v24 dst_sel:DWORD dst_unused:UNUSED_PAD src0_sel:WORD_1
	v_cvt_f32_f16_e32 v24, v24
	v_mul_f32_e32 v44, 0.5, v44
	v_add_f32_e32 v54, 1.0, v54
	v_mul_f32_e32 v44, v44, v54
	v_cvt_f32_f16_e32 v54, v33
	s_waitcnt vmcnt(3)
	v_add_f32_e32 v40, v40, v24
	v_mul_f32_e32 v24, 0.5, v32
	v_bfi_b32 v32, s41, v56, v45
	v_add_f32_e32 v32, 1.0, v32
	v_mul_f32_e32 v45, v24, v32
	v_add_f32_e32 v24, v46, v54
	v_mul_f32_e32 v32, 0x3f3504f3, v24
	v_add_f32_e32 v41, v41, v55
	v_cmp_nlt_f32_e64 s[14:15], |v32|, 1.0
	;;#ASMSTART
	v_pk_mul_f32 v[40:41], v[44:45], v[40:41]
	;;#ASMEND
                                        ; implicit-def: $vgpr44
	s_and_saveexec_b64 s[42:43], s[14:15]
	s_xor_b64 s[14:15], exec, s[42:43]
	s_cbranch_execz .LBB475_83
; %bb.82:                               ;   in Loop: Header=BB475_9 Depth=1
	v_fma_f32 v44, |v32|, s31, v99
	v_fma_f32 v44, |v32|, v44, s33
	;; [unrolled: 1-line block ×6, first 2 shown]
	v_fma_f32 v44, |v32|, v44, |v32|
	v_mul_f32_e32 v45, 0xbfb8aa3b, v44
	v_fma_f32 v46, v44, s38, -v45
	v_rndne_f32_e32 v54, v45
	v_fmac_f32_e32 v46, 0xb2a5705f, v44
	v_sub_f32_e32 v45, v45, v54
	v_add_f32_e32 v45, v45, v46
	v_cvt_i32_f32_e32 v46, v54
	v_exp_f32_e32 v45, v45
	v_cmp_nlt_f32_e32 vcc, s39, v44
	v_ldexp_f32 v45, v45, v46
	s_nop 0
	v_cndmask_b32_e32 v45, 0, v45, vcc
	v_cmp_ngt_f32_e32 vcc, s40, v44
	s_nop 1
	v_cndmask_b32_e32 v44, v100, v45, vcc
	v_sub_f32_e32 v44, 1.0, v44
.LBB475_83:                             ;   in Loop: Header=BB475_9 Depth=1
	s_andn2_saveexec_b64 s[14:15], s[14:15]
; %bb.84:                               ;   in Loop: Header=BB475_9 Depth=1
	v_mul_f32_e32 v44, v32, v32
	v_fmamk_f32 v45, v44, 0xba1345e1, v98
	v_fmaak_f32 v45, v44, v45, 0xbcdac9b8
	v_fmaak_f32 v45, v44, v45, 0x3de703be
	;; [unrolled: 1-line block ×4, first 2 shown]
	v_fma_f32 v44, |v32|, v44, |v32|
; %bb.85:                               ;   in Loop: Header=BB475_9 Depth=1
	s_or_b64 exec, exec, s[14:15]
	v_cvt_f32_f16_sdwa v33, v33 dst_sel:DWORD dst_unused:UNUSED_PAD src0_sel:WORD_1
                                        ; implicit-def: $vgpr46
	v_add_f32_e32 v33, v47, v33
	v_mul_f32_e32 v45, 0x3f3504f3, v33
	v_cmp_nlt_f32_e64 s[14:15], |v45|, 1.0
	s_and_saveexec_b64 s[42:43], s[14:15]
	s_xor_b64 s[14:15], exec, s[42:43]
	s_cbranch_execz .LBB475_87
; %bb.86:                               ;   in Loop: Header=BB475_9 Depth=1
	v_fma_f32 v46, |v45|, s31, v99
	v_fma_f32 v46, |v45|, v46, s33
	;; [unrolled: 1-line block ×6, first 2 shown]
	v_fma_f32 v46, |v45|, v46, |v45|
	v_mul_f32_e32 v47, 0xbfb8aa3b, v46
	v_fma_f32 v54, v46, s38, -v47
	v_rndne_f32_e32 v55, v47
	v_fmac_f32_e32 v54, 0xb2a5705f, v46
	v_sub_f32_e32 v47, v47, v55
	v_add_f32_e32 v47, v47, v54
	v_cvt_i32_f32_e32 v54, v55
	v_exp_f32_e32 v47, v47
	v_cmp_nlt_f32_e32 vcc, s39, v46
	v_ldexp_f32 v47, v47, v54
	s_nop 0
	v_cndmask_b32_e32 v47, 0, v47, vcc
	v_cmp_ngt_f32_e32 vcc, s40, v46
	s_nop 1
	v_cndmask_b32_e32 v46, v100, v47, vcc
	v_sub_f32_e32 v46, 1.0, v46
.LBB475_87:                             ;   in Loop: Header=BB475_9 Depth=1
	s_andn2_saveexec_b64 s[14:15], s[14:15]
; %bb.88:                               ;   in Loop: Header=BB475_9 Depth=1
	v_mul_f32_e32 v46, v45, v45
	v_fmamk_f32 v47, v46, 0xba1345e1, v98
	v_fmaak_f32 v47, v46, v47, 0xbcdac9b8
	v_fmaak_f32 v47, v46, v47, 0x3de703be
	;; [unrolled: 1-line block ×4, first 2 shown]
	v_fma_f32 v46, |v45|, v46, |v45|
; %bb.89:                               ;   in Loop: Header=BB475_9 Depth=1
	s_or_b64 exec, exec, s[14:15]
	v_bfi_b32 v32, s41, v44, v32
	v_cvt_f32_f16_sdwa v44, v25 dst_sel:DWORD dst_unused:UNUSED_PAD src0_sel:WORD_1
	v_cvt_f32_f16_e32 v25, v25
	v_mul_f32_e32 v24, 0.5, v24
	v_add_f32_e32 v32, 1.0, v32
	v_mul_f32_e32 v24, v24, v32
	v_add_f32_e32 v42, v42, v25
	v_mul_f32_e32 v25, 0.5, v33
	v_cvt_f32_f16_e32 v33, v34
	v_bfi_b32 v32, s41, v46, v45
	v_add_f32_e32 v32, 1.0, v32
	v_mul_f32_e32 v25, v25, v32
	v_add_f32_e32 v32, v36, v33
	v_mul_f32_e32 v33, 0x3f3504f3, v32
	v_cmp_nlt_f32_e64 s[14:15], |v33|, 1.0
	v_add_f32_e32 v43, v43, v44
	;;#ASMSTART
	v_pk_mul_f32 v[24:25], v[24:25], v[42:43]
	;;#ASMEND
                                        ; implicit-def: $vgpr36
	s_and_saveexec_b64 s[42:43], s[14:15]
	s_xor_b64 s[14:15], exec, s[42:43]
	s_cbranch_execz .LBB475_91
; %bb.90:                               ;   in Loop: Header=BB475_9 Depth=1
	v_fma_f32 v36, |v33|, s31, v99
	v_fma_f32 v36, |v33|, v36, s33
	;; [unrolled: 1-line block ×6, first 2 shown]
	v_fma_f32 v36, |v33|, v36, |v33|
	v_mul_f32_e32 v42, 0xbfb8aa3b, v36
	v_fma_f32 v43, v36, s38, -v42
	v_rndne_f32_e32 v44, v42
	v_fmac_f32_e32 v43, 0xb2a5705f, v36
	v_sub_f32_e32 v42, v42, v44
	v_add_f32_e32 v42, v42, v43
	v_cvt_i32_f32_e32 v43, v44
	v_exp_f32_e32 v42, v42
	v_cmp_nlt_f32_e32 vcc, s39, v36
	v_ldexp_f32 v42, v42, v43
	s_nop 0
	v_cndmask_b32_e32 v42, 0, v42, vcc
	v_cmp_ngt_f32_e32 vcc, s40, v36
	s_nop 1
	v_cndmask_b32_e32 v36, v100, v42, vcc
	v_sub_f32_e32 v36, 1.0, v36
.LBB475_91:                             ;   in Loop: Header=BB475_9 Depth=1
	s_andn2_saveexec_b64 s[14:15], s[14:15]
; %bb.92:                               ;   in Loop: Header=BB475_9 Depth=1
	v_mul_f32_e32 v36, v33, v33
	v_fmamk_f32 v42, v36, 0xba1345e1, v98
	v_fmaak_f32 v42, v36, v42, 0xbcdac9b8
	v_fmaak_f32 v42, v36, v42, 0x3de703be
	;; [unrolled: 1-line block ×4, first 2 shown]
	v_fma_f32 v36, |v33|, v36, |v33|
; %bb.93:                               ;   in Loop: Header=BB475_9 Depth=1
	s_or_b64 exec, exec, s[14:15]
	v_cvt_f32_f16_sdwa v34, v34 dst_sel:DWORD dst_unused:UNUSED_PAD src0_sel:WORD_1
                                        ; implicit-def: $vgpr42
	v_add_f32_e32 v34, v37, v34
	v_mul_f32_e32 v37, 0x3f3504f3, v34
	v_cmp_nlt_f32_e64 s[14:15], |v37|, 1.0
	s_and_saveexec_b64 s[42:43], s[14:15]
	s_xor_b64 s[14:15], exec, s[42:43]
	s_cbranch_execz .LBB475_95
; %bb.94:                               ;   in Loop: Header=BB475_9 Depth=1
	v_fma_f32 v42, |v37|, s31, v99
	v_fma_f32 v42, |v37|, v42, s33
	;; [unrolled: 1-line block ×6, first 2 shown]
	v_fma_f32 v42, |v37|, v42, |v37|
	v_mul_f32_e32 v43, 0xbfb8aa3b, v42
	v_fma_f32 v44, v42, s38, -v43
	v_rndne_f32_e32 v45, v43
	v_fmac_f32_e32 v44, 0xb2a5705f, v42
	v_sub_f32_e32 v43, v43, v45
	v_add_f32_e32 v43, v43, v44
	v_cvt_i32_f32_e32 v44, v45
	v_exp_f32_e32 v43, v43
	v_cmp_nlt_f32_e32 vcc, s39, v42
	v_ldexp_f32 v43, v43, v44
	s_nop 0
	v_cndmask_b32_e32 v43, 0, v43, vcc
	v_cmp_ngt_f32_e32 vcc, s40, v42
	s_nop 1
	v_cndmask_b32_e32 v42, v100, v43, vcc
	v_sub_f32_e32 v42, 1.0, v42
.LBB475_95:                             ;   in Loop: Header=BB475_9 Depth=1
	s_andn2_saveexec_b64 s[14:15], s[14:15]
; %bb.96:                               ;   in Loop: Header=BB475_9 Depth=1
	v_mul_f32_e32 v42, v37, v37
	v_fmamk_f32 v43, v42, 0xba1345e1, v98
	v_fmaak_f32 v43, v42, v43, 0xbcdac9b8
	v_fmaak_f32 v43, v42, v43, 0x3de703be
	;; [unrolled: 1-line block ×4, first 2 shown]
	v_fma_f32 v42, |v37|, v42, |v37|
; %bb.97:                               ;   in Loop: Header=BB475_9 Depth=1
	s_or_b64 exec, exec, s[14:15]
	v_bfi_b32 v33, s41, v36, v33
	v_cvt_f32_f16_sdwa v36, v26 dst_sel:DWORD dst_unused:UNUSED_PAD src0_sel:WORD_1
	v_cvt_f32_f16_e32 v26, v26
	v_mul_f32_e32 v32, 0.5, v32
	v_add_f32_e32 v33, 1.0, v33
	v_mul_f32_e32 v32, v32, v33
	s_waitcnt vmcnt(2)
	v_add_f32_e32 v28, v28, v26
	v_mul_f32_e32 v26, 0.5, v34
	v_cvt_f32_f16_e32 v34, v35
	v_bfi_b32 v33, s41, v42, v37
	v_add_f32_e32 v33, 1.0, v33
	v_add_f32_e32 v29, v29, v36
	v_mul_f32_e32 v33, v26, v33
	v_add_f32_e32 v26, v38, v34
	;;#ASMSTART
	v_pk_mul_f32 v[28:29], v[32:33], v[28:29]
	;;#ASMEND
	v_mul_f32_e32 v32, 0x3f3504f3, v26
	v_cmp_nlt_f32_e64 s[14:15], |v32|, 1.0
                                        ; implicit-def: $vgpr33
	s_and_saveexec_b64 s[42:43], s[14:15]
	s_xor_b64 s[14:15], exec, s[42:43]
	s_cbranch_execz .LBB475_99
; %bb.98:                               ;   in Loop: Header=BB475_9 Depth=1
	v_fma_f32 v33, |v32|, s31, v99
	v_fma_f32 v33, |v32|, v33, s33
	;; [unrolled: 1-line block ×6, first 2 shown]
	v_fma_f32 v33, |v32|, v33, |v32|
	v_mul_f32_e32 v34, 0xbfb8aa3b, v33
	v_fma_f32 v36, v33, s38, -v34
	v_rndne_f32_e32 v37, v34
	v_fmac_f32_e32 v36, 0xb2a5705f, v33
	v_sub_f32_e32 v34, v34, v37
	v_add_f32_e32 v34, v34, v36
	v_cvt_i32_f32_e32 v36, v37
	v_exp_f32_e32 v34, v34
	v_cmp_nlt_f32_e32 vcc, s39, v33
	v_ldexp_f32 v34, v34, v36
	s_nop 0
	v_cndmask_b32_e32 v34, 0, v34, vcc
	v_cmp_ngt_f32_e32 vcc, s40, v33
	s_nop 1
	v_cndmask_b32_e32 v33, v100, v34, vcc
	v_sub_f32_e32 v33, 1.0, v33
.LBB475_99:                             ;   in Loop: Header=BB475_9 Depth=1
	s_andn2_saveexec_b64 s[14:15], s[14:15]
; %bb.100:                              ;   in Loop: Header=BB475_9 Depth=1
	v_mul_f32_e32 v33, v32, v32
	v_fmamk_f32 v34, v33, 0xba1345e1, v98
	v_fmaak_f32 v34, v33, v34, 0xbcdac9b8
	v_fmaak_f32 v34, v33, v34, 0x3de703be
	;; [unrolled: 1-line block ×4, first 2 shown]
	v_fma_f32 v33, |v32|, v33, |v32|
; %bb.101:                              ;   in Loop: Header=BB475_9 Depth=1
	s_or_b64 exec, exec, s[14:15]
	v_cvt_f32_f16_sdwa v34, v35 dst_sel:DWORD dst_unused:UNUSED_PAD src0_sel:WORD_1
                                        ; implicit-def: $vgpr36
	v_add_f32_e32 v34, v39, v34
	v_mul_f32_e32 v35, 0x3f3504f3, v34
	v_cmp_nlt_f32_e64 s[14:15], |v35|, 1.0
	s_and_saveexec_b64 s[42:43], s[14:15]
	s_xor_b64 s[14:15], exec, s[42:43]
	s_cbranch_execz .LBB475_103
; %bb.102:                              ;   in Loop: Header=BB475_9 Depth=1
	v_fma_f32 v36, |v35|, s31, v99
	v_fma_f32 v36, |v35|, v36, s33
	;; [unrolled: 1-line block ×6, first 2 shown]
	v_fma_f32 v36, |v35|, v36, |v35|
	v_mul_f32_e32 v37, 0xbfb8aa3b, v36
	v_fma_f32 v38, v36, s38, -v37
	v_rndne_f32_e32 v39, v37
	v_fmac_f32_e32 v38, 0xb2a5705f, v36
	v_sub_f32_e32 v37, v37, v39
	v_add_f32_e32 v37, v37, v38
	v_cvt_i32_f32_e32 v38, v39
	v_exp_f32_e32 v37, v37
	v_cmp_nlt_f32_e32 vcc, s39, v36
	v_ldexp_f32 v37, v37, v38
	s_nop 0
	v_cndmask_b32_e32 v37, 0, v37, vcc
	v_cmp_ngt_f32_e32 vcc, s40, v36
	s_nop 1
	v_cndmask_b32_e32 v36, v100, v37, vcc
	v_sub_f32_e32 v36, 1.0, v36
.LBB475_103:                            ;   in Loop: Header=BB475_9 Depth=1
	s_andn2_saveexec_b64 s[14:15], s[14:15]
; %bb.104:                              ;   in Loop: Header=BB475_9 Depth=1
	v_mul_f32_e32 v36, v35, v35
	v_fmamk_f32 v37, v36, 0xba1345e1, v98
	v_fmaak_f32 v37, v36, v37, 0xbcdac9b8
	v_fmaak_f32 v37, v36, v37, 0x3de703be
	;; [unrolled: 1-line block ×4, first 2 shown]
	v_fma_f32 v36, |v35|, v36, |v35|
; %bb.105:                              ;   in Loop: Header=BB475_9 Depth=1
	s_or_b64 exec, exec, s[14:15]
	v_bfi_b32 v32, s41, v33, v32
	v_cvt_f32_f16_sdwa v33, v27 dst_sel:DWORD dst_unused:UNUSED_PAD src0_sel:WORD_1
	v_cvt_f32_f16_e32 v27, v27
	v_mul_f32_e32 v26, 0.5, v26
	v_add_f32_e32 v32, 1.0, v32
	v_add_f32_e32 v31, v31, v33
	v_cvt_f32_f16_e32 v33, v8
	v_mul_f32_e32 v26, v26, v32
	v_bfi_b32 v32, s41, v36, v35
	v_add_f32_e32 v30, v30, v27
	v_mul_f32_e32 v27, 0.5, v34
	v_add_f32_e32 v32, 1.0, v32
	v_mul_f32_e32 v27, v27, v32
	v_add_f32_e32 v20, v20, v33
	;;#ASMSTART
	v_pk_mul_f32 v[26:27], v[26:27], v[30:31]
	;;#ASMEND
	v_mul_f32_e32 v30, 0x3f3504f3, v20
	v_cmp_nlt_f32_e64 s[14:15], |v30|, 1.0
                                        ; implicit-def: $vgpr31
	s_and_saveexec_b64 s[42:43], s[14:15]
	s_xor_b64 s[14:15], exec, s[42:43]
	s_cbranch_execz .LBB475_107
; %bb.106:                              ;   in Loop: Header=BB475_9 Depth=1
	v_fma_f32 v31, |v30|, s31, v99
	v_fma_f32 v31, |v30|, v31, s33
	;; [unrolled: 1-line block ×6, first 2 shown]
	v_fma_f32 v31, |v30|, v31, |v30|
	v_mul_f32_e32 v32, 0xbfb8aa3b, v31
	v_fma_f32 v33, v31, s38, -v32
	v_rndne_f32_e32 v34, v32
	v_fmac_f32_e32 v33, 0xb2a5705f, v31
	v_sub_f32_e32 v32, v32, v34
	v_add_f32_e32 v32, v32, v33
	v_cvt_i32_f32_e32 v33, v34
	v_exp_f32_e32 v32, v32
	v_cmp_nlt_f32_e32 vcc, s39, v31
	v_ldexp_f32 v32, v32, v33
	s_nop 0
	v_cndmask_b32_e32 v32, 0, v32, vcc
	v_cmp_ngt_f32_e32 vcc, s40, v31
	s_nop 1
	v_cndmask_b32_e32 v31, v100, v32, vcc
	v_sub_f32_e32 v31, 1.0, v31
.LBB475_107:                            ;   in Loop: Header=BB475_9 Depth=1
	s_andn2_saveexec_b64 s[14:15], s[14:15]
; %bb.108:                              ;   in Loop: Header=BB475_9 Depth=1
	v_mul_f32_e32 v31, v30, v30
	v_fmamk_f32 v32, v31, 0xba1345e1, v98
	v_fmaak_f32 v32, v31, v32, 0xbcdac9b8
	v_fmaak_f32 v32, v31, v32, 0x3de703be
	;; [unrolled: 1-line block ×4, first 2 shown]
	v_fma_f32 v31, |v30|, v31, |v30|
; %bb.109:                              ;   in Loop: Header=BB475_9 Depth=1
	s_or_b64 exec, exec, s[14:15]
	v_cvt_f32_f16_sdwa v8, v8 dst_sel:DWORD dst_unused:UNUSED_PAD src0_sel:WORD_1
                                        ; implicit-def: $vgpr32
	v_add_f32_e32 v8, v21, v8
	v_mul_f32_e32 v21, 0x3f3504f3, v8
	v_cmp_nlt_f32_e64 s[14:15], |v21|, 1.0
	s_and_saveexec_b64 s[42:43], s[14:15]
	s_xor_b64 s[14:15], exec, s[42:43]
	s_cbranch_execz .LBB475_111
; %bb.110:                              ;   in Loop: Header=BB475_9 Depth=1
	v_fma_f32 v32, |v21|, s31, v99
	v_fma_f32 v32, |v21|, v32, s33
	;; [unrolled: 1-line block ×6, first 2 shown]
	v_fma_f32 v32, |v21|, v32, |v21|
	v_mul_f32_e32 v33, 0xbfb8aa3b, v32
	v_fma_f32 v34, v32, s38, -v33
	v_rndne_f32_e32 v35, v33
	v_fmac_f32_e32 v34, 0xb2a5705f, v32
	v_sub_f32_e32 v33, v33, v35
	v_add_f32_e32 v33, v33, v34
	v_cvt_i32_f32_e32 v34, v35
	v_exp_f32_e32 v33, v33
	v_cmp_nlt_f32_e32 vcc, s39, v32
	v_ldexp_f32 v33, v33, v34
	s_nop 0
	v_cndmask_b32_e32 v33, 0, v33, vcc
	v_cmp_ngt_f32_e32 vcc, s40, v32
	s_nop 1
	v_cndmask_b32_e32 v32, v100, v33, vcc
	v_sub_f32_e32 v32, 1.0, v32
.LBB475_111:                            ;   in Loop: Header=BB475_9 Depth=1
	s_andn2_saveexec_b64 s[14:15], s[14:15]
; %bb.112:                              ;   in Loop: Header=BB475_9 Depth=1
	v_mul_f32_e32 v32, v21, v21
	v_fmamk_f32 v33, v32, 0xba1345e1, v98
	v_fmaak_f32 v33, v32, v33, 0xbcdac9b8
	v_fmaak_f32 v33, v32, v33, 0x3de703be
	;; [unrolled: 1-line block ×4, first 2 shown]
	v_fma_f32 v32, |v21|, v32, |v21|
; %bb.113:                              ;   in Loop: Header=BB475_9 Depth=1
	s_or_b64 exec, exec, s[14:15]
	v_bfi_b32 v30, s41, v31, v30
	v_cvt_f32_f16_sdwa v31, v0 dst_sel:DWORD dst_unused:UNUSED_PAD src0_sel:WORD_1
	v_cvt_f32_f16_e32 v0, v0
	v_mul_f32_e32 v20, 0.5, v20
	v_add_f32_e32 v30, 1.0, v30
	v_mul_f32_e32 v20, v20, v30
	v_cvt_f32_f16_e32 v30, v9
	s_waitcnt vmcnt(1)
	v_add_f32_e32 v16, v16, v0
	v_mul_f32_e32 v0, 0.5, v8
	v_bfi_b32 v8, s41, v32, v21
	v_add_f32_e32 v8, 1.0, v8
	v_mul_f32_e32 v21, v0, v8
	v_add_f32_e32 v0, v22, v30
	v_mul_f32_e32 v8, 0x3f3504f3, v0
	v_add_f32_e32 v17, v17, v31
	v_cmp_nlt_f32_e64 s[14:15], |v8|, 1.0
	;;#ASMSTART
	v_pk_mul_f32 v[16:17], v[20:21], v[16:17]
	;;#ASMEND
                                        ; implicit-def: $vgpr20
	s_and_saveexec_b64 s[42:43], s[14:15]
	s_xor_b64 s[14:15], exec, s[42:43]
	s_cbranch_execz .LBB475_115
; %bb.114:                              ;   in Loop: Header=BB475_9 Depth=1
	v_fma_f32 v20, |v8|, s31, v99
	v_fma_f32 v20, |v8|, v20, s33
	;; [unrolled: 1-line block ×6, first 2 shown]
	v_fma_f32 v20, |v8|, v20, |v8|
	v_mul_f32_e32 v21, 0xbfb8aa3b, v20
	v_fma_f32 v22, v20, s38, -v21
	v_rndne_f32_e32 v30, v21
	v_fmac_f32_e32 v22, 0xb2a5705f, v20
	v_sub_f32_e32 v21, v21, v30
	v_add_f32_e32 v21, v21, v22
	v_cvt_i32_f32_e32 v22, v30
	v_exp_f32_e32 v21, v21
	v_cmp_nlt_f32_e32 vcc, s39, v20
	v_ldexp_f32 v21, v21, v22
	s_nop 0
	v_cndmask_b32_e32 v21, 0, v21, vcc
	v_cmp_ngt_f32_e32 vcc, s40, v20
	s_nop 1
	v_cndmask_b32_e32 v20, v100, v21, vcc
	v_sub_f32_e32 v20, 1.0, v20
.LBB475_115:                            ;   in Loop: Header=BB475_9 Depth=1
	s_andn2_saveexec_b64 s[14:15], s[14:15]
; %bb.116:                              ;   in Loop: Header=BB475_9 Depth=1
	v_mul_f32_e32 v20, v8, v8
	v_fmamk_f32 v21, v20, 0xba1345e1, v98
	v_fmaak_f32 v21, v20, v21, 0xbcdac9b8
	v_fmaak_f32 v21, v20, v21, 0x3de703be
	;; [unrolled: 1-line block ×4, first 2 shown]
	v_fma_f32 v20, |v8|, v20, |v8|
; %bb.117:                              ;   in Loop: Header=BB475_9 Depth=1
	s_or_b64 exec, exec, s[14:15]
	v_cvt_f32_f16_sdwa v9, v9 dst_sel:DWORD dst_unused:UNUSED_PAD src0_sel:WORD_1
                                        ; implicit-def: $vgpr22
	v_add_f32_e32 v9, v23, v9
	v_mul_f32_e32 v21, 0x3f3504f3, v9
	v_cmp_nlt_f32_e64 s[14:15], |v21|, 1.0
	s_and_saveexec_b64 s[42:43], s[14:15]
	s_xor_b64 s[14:15], exec, s[42:43]
	s_cbranch_execz .LBB475_119
; %bb.118:                              ;   in Loop: Header=BB475_9 Depth=1
	v_fma_f32 v22, |v21|, s31, v99
	v_fma_f32 v22, |v21|, v22, s33
	;; [unrolled: 1-line block ×6, first 2 shown]
	v_fma_f32 v22, |v21|, v22, |v21|
	v_mul_f32_e32 v23, 0xbfb8aa3b, v22
	v_fma_f32 v30, v22, s38, -v23
	v_rndne_f32_e32 v31, v23
	v_fmac_f32_e32 v30, 0xb2a5705f, v22
	v_sub_f32_e32 v23, v23, v31
	v_add_f32_e32 v23, v23, v30
	v_cvt_i32_f32_e32 v30, v31
	v_exp_f32_e32 v23, v23
	v_cmp_nlt_f32_e32 vcc, s39, v22
	v_ldexp_f32 v23, v23, v30
	s_nop 0
	v_cndmask_b32_e32 v23, 0, v23, vcc
	v_cmp_ngt_f32_e32 vcc, s40, v22
	s_nop 1
	v_cndmask_b32_e32 v22, v100, v23, vcc
	v_sub_f32_e32 v22, 1.0, v22
.LBB475_119:                            ;   in Loop: Header=BB475_9 Depth=1
	s_andn2_saveexec_b64 s[14:15], s[14:15]
; %bb.120:                              ;   in Loop: Header=BB475_9 Depth=1
	v_mul_f32_e32 v22, v21, v21
	v_fmamk_f32 v23, v22, 0xba1345e1, v98
	v_fmaak_f32 v23, v22, v23, 0xbcdac9b8
	v_fmaak_f32 v23, v22, v23, 0x3de703be
	;; [unrolled: 1-line block ×4, first 2 shown]
	v_fma_f32 v22, |v21|, v22, |v21|
; %bb.121:                              ;   in Loop: Header=BB475_9 Depth=1
	s_or_b64 exec, exec, s[14:15]
	v_bfi_b32 v8, s41, v20, v8
	v_cvt_f32_f16_sdwa v20, v1 dst_sel:DWORD dst_unused:UNUSED_PAD src0_sel:WORD_1
	v_cvt_f32_f16_e32 v1, v1
	v_mul_f32_e32 v0, 0.5, v0
	v_add_f32_e32 v8, 1.0, v8
	v_mul_f32_e32 v0, v0, v8
	v_add_f32_e32 v18, v18, v1
	v_mul_f32_e32 v1, 0.5, v9
	v_cvt_f32_f16_e32 v9, v10
	v_bfi_b32 v8, s41, v22, v21
	v_add_f32_e32 v8, 1.0, v8
	v_mul_f32_e32 v1, v1, v8
	v_add_f32_e32 v8, v12, v9
	v_mul_f32_e32 v9, 0x3f3504f3, v8
	v_cmp_nlt_f32_e64 s[14:15], |v9|, 1.0
	v_add_f32_e32 v19, v19, v20
	;;#ASMSTART
	v_pk_mul_f32 v[0:1], v[0:1], v[18:19]
	;;#ASMEND
                                        ; implicit-def: $vgpr12
	s_and_saveexec_b64 s[42:43], s[14:15]
	s_xor_b64 s[14:15], exec, s[42:43]
	s_cbranch_execz .LBB475_123
; %bb.122:                              ;   in Loop: Header=BB475_9 Depth=1
	v_fma_f32 v12, |v9|, s31, v99
	v_fma_f32 v12, |v9|, v12, s33
	;; [unrolled: 1-line block ×6, first 2 shown]
	v_fma_f32 v12, |v9|, v12, |v9|
	v_mul_f32_e32 v18, 0xbfb8aa3b, v12
	v_fma_f32 v19, v12, s38, -v18
	v_rndne_f32_e32 v20, v18
	v_fmac_f32_e32 v19, 0xb2a5705f, v12
	v_sub_f32_e32 v18, v18, v20
	v_add_f32_e32 v18, v18, v19
	v_cvt_i32_f32_e32 v19, v20
	v_exp_f32_e32 v18, v18
	v_cmp_nlt_f32_e32 vcc, s39, v12
	v_ldexp_f32 v18, v18, v19
	s_nop 0
	v_cndmask_b32_e32 v18, 0, v18, vcc
	v_cmp_ngt_f32_e32 vcc, s40, v12
	s_nop 1
	v_cndmask_b32_e32 v12, v100, v18, vcc
	v_sub_f32_e32 v12, 1.0, v12
.LBB475_123:                            ;   in Loop: Header=BB475_9 Depth=1
	s_andn2_saveexec_b64 s[14:15], s[14:15]
; %bb.124:                              ;   in Loop: Header=BB475_9 Depth=1
	v_mul_f32_e32 v12, v9, v9
	v_fmamk_f32 v18, v12, 0xba1345e1, v98
	v_fmaak_f32 v18, v12, v18, 0xbcdac9b8
	v_fmaak_f32 v18, v12, v18, 0x3de703be
	v_fmaak_f32 v18, v12, v18, 0xbec09330
	v_fmaak_f32 v12, v12, v18, 0x3e0375d0
	v_fma_f32 v12, |v9|, v12, |v9|
; %bb.125:                              ;   in Loop: Header=BB475_9 Depth=1
	s_or_b64 exec, exec, s[14:15]
	v_cvt_f32_f16_sdwa v10, v10 dst_sel:DWORD dst_unused:UNUSED_PAD src0_sel:WORD_1
                                        ; implicit-def: $vgpr18
	v_add_f32_e32 v10, v13, v10
	v_mul_f32_e32 v13, 0x3f3504f3, v10
	v_cmp_nlt_f32_e64 s[14:15], |v13|, 1.0
	s_and_saveexec_b64 s[42:43], s[14:15]
	s_xor_b64 s[14:15], exec, s[42:43]
	s_cbranch_execz .LBB475_127
; %bb.126:                              ;   in Loop: Header=BB475_9 Depth=1
	v_fma_f32 v18, |v13|, s31, v99
	v_fma_f32 v18, |v13|, v18, s33
	;; [unrolled: 1-line block ×6, first 2 shown]
	v_fma_f32 v18, |v13|, v18, |v13|
	v_mul_f32_e32 v19, 0xbfb8aa3b, v18
	v_fma_f32 v20, v18, s38, -v19
	v_rndne_f32_e32 v21, v19
	v_fmac_f32_e32 v20, 0xb2a5705f, v18
	v_sub_f32_e32 v19, v19, v21
	v_add_f32_e32 v19, v19, v20
	v_cvt_i32_f32_e32 v20, v21
	v_exp_f32_e32 v19, v19
	v_cmp_nlt_f32_e32 vcc, s39, v18
	v_ldexp_f32 v19, v19, v20
	s_nop 0
	v_cndmask_b32_e32 v19, 0, v19, vcc
	v_cmp_ngt_f32_e32 vcc, s40, v18
	s_nop 1
	v_cndmask_b32_e32 v18, v100, v19, vcc
	v_sub_f32_e32 v18, 1.0, v18
.LBB475_127:                            ;   in Loop: Header=BB475_9 Depth=1
	s_andn2_saveexec_b64 s[14:15], s[14:15]
; %bb.128:                              ;   in Loop: Header=BB475_9 Depth=1
	v_mul_f32_e32 v18, v13, v13
	v_fmamk_f32 v19, v18, 0xba1345e1, v98
	v_fmaak_f32 v19, v18, v19, 0xbcdac9b8
	v_fmaak_f32 v19, v18, v19, 0x3de703be
	;; [unrolled: 1-line block ×4, first 2 shown]
	v_fma_f32 v18, |v13|, v18, |v13|
; %bb.129:                              ;   in Loop: Header=BB475_9 Depth=1
	s_or_b64 exec, exec, s[14:15]
	v_bfi_b32 v9, s41, v12, v9
	v_cvt_f32_f16_sdwa v12, v2 dst_sel:DWORD dst_unused:UNUSED_PAD src0_sel:WORD_1
	v_cvt_f32_f16_e32 v2, v2
	v_mul_f32_e32 v8, 0.5, v8
	v_add_f32_e32 v9, 1.0, v9
	v_mul_f32_e32 v8, v8, v9
	s_waitcnt vmcnt(0)
	v_add_f32_e32 v4, v4, v2
	v_mul_f32_e32 v2, 0.5, v10
	v_cvt_f32_f16_e32 v10, v11
	v_bfi_b32 v9, s41, v18, v13
	v_add_f32_e32 v5, v5, v12
	v_add_f32_e32 v9, 1.0, v9
	v_mul_f32_e32 v9, v2, v9
	;;#ASMSTART
	v_pk_mul_f32 v[4:5], v[8:9], v[4:5]
	;;#ASMEND
	v_add_f32_e32 v8, v14, v10
	v_mul_f32_e32 v2, 0x3f3504f3, v8
	v_cmp_nlt_f32_e64 s[14:15], |v2|, 1.0
                                        ; implicit-def: $vgpr12
	s_and_saveexec_b64 s[42:43], s[14:15]
	s_xor_b64 s[14:15], exec, s[42:43]
	s_cbranch_execz .LBB475_131
; %bb.130:                              ;   in Loop: Header=BB475_9 Depth=1
	v_fma_f32 v9, |v2|, s31, v99
	v_fma_f32 v9, |v2|, v9, s33
	v_fma_f32 v9, |v2|, v9, s34
	v_fma_f32 v9, |v2|, v9, s35
	v_fma_f32 v9, |v2|, v9, s36
	v_fma_f32 v9, |v2|, v9, s37
	v_fma_f32 v9, |v2|, v9, |v2|
	v_mul_f32_e32 v10, 0xbfb8aa3b, v9
	v_fma_f32 v12, v9, s38, -v10
	v_rndne_f32_e32 v13, v10
	v_fmac_f32_e32 v12, 0xb2a5705f, v9
	v_sub_f32_e32 v10, v10, v13
	v_add_f32_e32 v10, v10, v12
	v_cvt_i32_f32_e32 v12, v13
	v_exp_f32_e32 v10, v10
	v_cmp_nlt_f32_e32 vcc, s39, v9
	v_ldexp_f32 v10, v10, v12
	s_nop 0
	v_cndmask_b32_e32 v10, 0, v10, vcc
	v_cmp_ngt_f32_e32 vcc, s40, v9
	s_nop 1
	v_cndmask_b32_e32 v9, v100, v10, vcc
	v_sub_f32_e32 v12, 1.0, v9
.LBB475_131:                            ;   in Loop: Header=BB475_9 Depth=1
	s_andn2_saveexec_b64 s[14:15], s[14:15]
; %bb.132:                              ;   in Loop: Header=BB475_9 Depth=1
	v_mul_f32_e32 v9, v2, v2
	v_fmamk_f32 v10, v9, 0xba1345e1, v98
	v_fmaak_f32 v10, v9, v10, 0xbcdac9b8
	v_fmaak_f32 v10, v9, v10, 0x3de703be
	;; [unrolled: 1-line block ×4, first 2 shown]
	v_fma_f32 v12, |v2|, v9, |v2|
; %bb.133:                              ;   in Loop: Header=BB475_9 Depth=1
	s_or_b64 exec, exec, s[14:15]
	v_cvt_f32_f16_sdwa v9, v11 dst_sel:DWORD dst_unused:UNUSED_PAD src0_sel:WORD_1
                                        ; implicit-def: $vgpr11
	v_add_f32_e32 v9, v15, v9
	v_mul_f32_e32 v10, 0x3f3504f3, v9
	v_cmp_nlt_f32_e64 s[14:15], |v10|, 1.0
	s_and_saveexec_b64 s[42:43], s[14:15]
	s_xor_b64 s[14:15], exec, s[42:43]
	s_cbranch_execz .LBB475_135
; %bb.134:                              ;   in Loop: Header=BB475_9 Depth=1
	v_fma_f32 v11, |v10|, s31, v99
	v_fma_f32 v11, |v10|, v11, s33
	;; [unrolled: 1-line block ×6, first 2 shown]
	v_fma_f32 v11, |v10|, v11, |v10|
	v_mul_f32_e32 v13, 0xbfb8aa3b, v11
	v_fma_f32 v14, v11, s38, -v13
	v_rndne_f32_e32 v15, v13
	v_fmac_f32_e32 v14, 0xb2a5705f, v11
	v_sub_f32_e32 v13, v13, v15
	v_add_f32_e32 v13, v13, v14
	v_cvt_i32_f32_e32 v14, v15
	v_exp_f32_e32 v13, v13
	v_cmp_nlt_f32_e32 vcc, s39, v11
	v_ldexp_f32 v13, v13, v14
	s_nop 0
	v_cndmask_b32_e32 v13, 0, v13, vcc
	v_cmp_ngt_f32_e32 vcc, s40, v11
	s_nop 1
	v_cndmask_b32_e32 v11, v100, v13, vcc
	v_sub_f32_e32 v11, 1.0, v11
.LBB475_135:                            ;   in Loop: Header=BB475_9 Depth=1
	s_andn2_saveexec_b64 s[14:15], s[14:15]
	s_cbranch_execz .LBB475_8
; %bb.136:                              ;   in Loop: Header=BB475_9 Depth=1
	v_mul_f32_e32 v11, v10, v10
	v_fmamk_f32 v13, v11, 0xba1345e1, v98
	v_fmaak_f32 v13, v11, v13, 0xbcdac9b8
	v_fmaak_f32 v13, v11, v13, 0x3de703be
	;; [unrolled: 1-line block ×4, first 2 shown]
	v_fma_f32 v11, |v10|, v11, |v10|
	s_branch .LBB475_8
.LBB475_137:
	s_endpgm
	.section	.rodata,"a",@progbits
	.p2align	6, 0x0
	.amdhsa_kernel _ZN5aiter23act_and_mul_bias_kernelIDF16_DF16_lfTnPFfRKT2_EXadL_ZNS_11gelu_kernelIfEEfRKT_EELi32EEEvPT0_PS8_PKT1_PS2_il
		.amdhsa_group_segment_fixed_size 0
		.amdhsa_private_segment_fixed_size 0
		.amdhsa_kernarg_size 304
		.amdhsa_user_sgpr_count 2
		.amdhsa_user_sgpr_dispatch_ptr 0
		.amdhsa_user_sgpr_queue_ptr 0
		.amdhsa_user_sgpr_kernarg_segment_ptr 1
		.amdhsa_user_sgpr_dispatch_id 0
		.amdhsa_user_sgpr_kernarg_preload_length 0
		.amdhsa_user_sgpr_kernarg_preload_offset 0
		.amdhsa_user_sgpr_private_segment_size 0
		.amdhsa_uses_dynamic_stack 0
		.amdhsa_enable_private_segment 0
		.amdhsa_system_sgpr_workgroup_id_x 1
		.amdhsa_system_sgpr_workgroup_id_y 0
		.amdhsa_system_sgpr_workgroup_id_z 0
		.amdhsa_system_sgpr_workgroup_info 0
		.amdhsa_system_vgpr_workitem_id 0
		.amdhsa_next_free_vgpr 108
		.amdhsa_next_free_sgpr 44
		.amdhsa_accum_offset 108
		.amdhsa_reserve_vcc 1
		.amdhsa_float_round_mode_32 0
		.amdhsa_float_round_mode_16_64 0
		.amdhsa_float_denorm_mode_32 3
		.amdhsa_float_denorm_mode_16_64 3
		.amdhsa_dx10_clamp 1
		.amdhsa_ieee_mode 1
		.amdhsa_fp16_overflow 0
		.amdhsa_tg_split 0
		.amdhsa_exception_fp_ieee_invalid_op 0
		.amdhsa_exception_fp_denorm_src 0
		.amdhsa_exception_fp_ieee_div_zero 0
		.amdhsa_exception_fp_ieee_overflow 0
		.amdhsa_exception_fp_ieee_underflow 0
		.amdhsa_exception_fp_ieee_inexact 0
		.amdhsa_exception_int_div_zero 0
	.end_amdhsa_kernel
	.section	.text._ZN5aiter23act_and_mul_bias_kernelIDF16_DF16_lfTnPFfRKT2_EXadL_ZNS_11gelu_kernelIfEEfRKT_EELi32EEEvPT0_PS8_PKT1_PS2_il,"axG",@progbits,_ZN5aiter23act_and_mul_bias_kernelIDF16_DF16_lfTnPFfRKT2_EXadL_ZNS_11gelu_kernelIfEEfRKT_EELi32EEEvPT0_PS8_PKT1_PS2_il,comdat
.Lfunc_end475:
	.size	_ZN5aiter23act_and_mul_bias_kernelIDF16_DF16_lfTnPFfRKT2_EXadL_ZNS_11gelu_kernelIfEEfRKT_EELi32EEEvPT0_PS8_PKT1_PS2_il, .Lfunc_end475-_ZN5aiter23act_and_mul_bias_kernelIDF16_DF16_lfTnPFfRKT2_EXadL_ZNS_11gelu_kernelIfEEfRKT_EELi32EEEvPT0_PS8_PKT1_PS2_il
                                        ; -- End function
	.section	.AMDGPU.csdata,"",@progbits
; Kernel info:
; codeLenInByte = 9828
; NumSgprs: 50
; NumVgprs: 108
; NumAgprs: 0
; TotalNumVgprs: 108
; ScratchSize: 0
; MemoryBound: 0
; FloatMode: 240
; IeeeMode: 1
; LDSByteSize: 0 bytes/workgroup (compile time only)
; SGPRBlocks: 6
; VGPRBlocks: 13
; NumSGPRsForWavesPerEU: 50
; NumVGPRsForWavesPerEU: 108
; AccumOffset: 108
; Occupancy: 4
; WaveLimiterHint : 0
; COMPUTE_PGM_RSRC2:SCRATCH_EN: 0
; COMPUTE_PGM_RSRC2:USER_SGPR: 2
; COMPUTE_PGM_RSRC2:TRAP_HANDLER: 0
; COMPUTE_PGM_RSRC2:TGID_X_EN: 1
; COMPUTE_PGM_RSRC2:TGID_Y_EN: 0
; COMPUTE_PGM_RSRC2:TGID_Z_EN: 0
; COMPUTE_PGM_RSRC2:TIDIG_COMP_CNT: 0
; COMPUTE_PGM_RSRC3_GFX90A:ACCUM_OFFSET: 26
; COMPUTE_PGM_RSRC3_GFX90A:TG_SPLIT: 0
	.section	.text._ZN5aiter23act_and_mul_bias_kernelIDF16_DF16_lfTnPFfRKT2_EXadL_ZNS_11gelu_kernelIfEEfRKT_EELi16EEEvPT0_PS8_PKT1_PS2_il,"axG",@progbits,_ZN5aiter23act_and_mul_bias_kernelIDF16_DF16_lfTnPFfRKT2_EXadL_ZNS_11gelu_kernelIfEEfRKT_EELi16EEEvPT0_PS8_PKT1_PS2_il,comdat
	.protected	_ZN5aiter23act_and_mul_bias_kernelIDF16_DF16_lfTnPFfRKT2_EXadL_ZNS_11gelu_kernelIfEEfRKT_EELi16EEEvPT0_PS8_PKT1_PS2_il ; -- Begin function _ZN5aiter23act_and_mul_bias_kernelIDF16_DF16_lfTnPFfRKT2_EXadL_ZNS_11gelu_kernelIfEEfRKT_EELi16EEEvPT0_PS8_PKT1_PS2_il
	.globl	_ZN5aiter23act_and_mul_bias_kernelIDF16_DF16_lfTnPFfRKT2_EXadL_ZNS_11gelu_kernelIfEEfRKT_EELi16EEEvPT0_PS8_PKT1_PS2_il
	.p2align	8
	.type	_ZN5aiter23act_and_mul_bias_kernelIDF16_DF16_lfTnPFfRKT2_EXadL_ZNS_11gelu_kernelIfEEfRKT_EELi16EEEvPT0_PS8_PKT1_PS2_il,@function
_ZN5aiter23act_and_mul_bias_kernelIDF16_DF16_lfTnPFfRKT2_EXadL_ZNS_11gelu_kernelIfEEfRKT_EELi16EEEvPT0_PS8_PKT1_PS2_il: ; @_ZN5aiter23act_and_mul_bias_kernelIDF16_DF16_lfTnPFfRKT2_EXadL_ZNS_11gelu_kernelIfEEfRKT_EELi16EEEvPT0_PS8_PKT1_PS2_il
; %bb.0:
	s_load_dword s24, s[0:1], 0x20
	s_load_dwordx2 s[4:5], s[0:1], 0x0
	s_load_dwordx2 s[6:7], s[0:1], 0x10
	;; [unrolled: 1-line block ×3, first 2 shown]
	s_mov_b32 s3, 0
	s_waitcnt lgkmcnt(0)
	s_ashr_i32 s25, s24, 31
	s_lshl_b64 s[8:9], s[2:3], 3
	s_add_u32 s6, s6, s8
	s_addc_u32 s7, s7, s9
	s_add_i32 s3, s24, 1
	s_load_dwordx2 s[8:9], s[6:7], 0x0
	s_lshr_b32 s6, s3, 31
	s_add_i32 s3, s3, s6
	s_lshl_b32 s3, s3, 1
	s_and_b32 s6, s3, -4
	s_mul_hi_u32 s3, s24, s2
	s_mul_i32 s7, s25, s2
	s_add_i32 s11, s3, s7
	s_mul_i32 s10, s24, s2
	s_lshl_b64 s[10:11], s[10:11], 1
	v_mov_b64_e32 v[2:3], s[12:13]
	s_add_u32 s4, s4, s10
	s_waitcnt lgkmcnt(0)
	v_cmp_gt_i64_e64 s[14:15], s[8:9], -1
	v_cmp_lt_i64_e32 vcc, s[8:9], v[2:3]
	s_addc_u32 s3, s5, s11
	s_and_b64 s[12:13], s[14:15], vcc
	s_and_b32 s5, s3, 0xffff
	s_mov_b64 s[10:11], -1
	s_and_b64 vcc, exec, s[12:13]
	v_lshlrev_b32_e32 v48, 4, v0
	s_cbranch_vccnz .LBB476_5
; %bb.1:
	v_cmp_gt_i32_e32 vcc, s24, v48
	s_and_saveexec_b64 s[10:11], vcc
	s_cbranch_execz .LBB476_4
; %bb.2:
	s_load_dword s3, s[0:1], 0x3c
	s_mov_b32 s13, 0
	s_mov_b32 s16, s13
	s_mov_b32 s17, s13
	v_mov_b32_e32 v49, 0
	v_lshlrev_b32_e32 v6, 5, v0
	s_waitcnt lgkmcnt(0)
	s_and_b32 s3, s3, 0xffff
	s_mov_b32 s18, s13
	s_mov_b32 s19, s13
	v_mov_b64_e32 v[0:1], s[16:17]
	s_lshl_b32 s12, s3, 4
	s_lshl_b32 s3, s3, 5
	s_mov_b64 s[14:15], 0
	s_mov_b32 s7, 0x20000
	v_mov_b64_e32 v[2:3], s[18:19]
	v_mov_b64_e32 v[4:5], v[48:49]
.LBB476_3:                              ; =>This Inner Loop Header: Depth=1
	v_lshl_add_u64 v[4:5], s[12:13], 0, v[4:5]
	v_cmp_le_i64_e32 vcc, s[24:25], v[4:5]
	buffer_store_dwordx4 v[0:3], v6, s[4:7], 0 offen
	buffer_store_dwordx4 v[0:3], v6, s[4:7], 16 offen
	s_or_b64 s[14:15], vcc, s[14:15]
	v_add_u32_e32 v6, s3, v6
	s_andn2_b64 exec, exec, s[14:15]
	s_cbranch_execnz .LBB476_3
.LBB476_4:
	s_or_b64 exec, exec, s[10:11]
	s_mov_b64 s[10:11], 0
.LBB476_5:
	s_andn2_b64 vcc, exec, s[10:11]
	s_cbranch_vccnz .LBB476_73
; %bb.6:
	v_cmp_gt_i32_e32 vcc, s24, v48
	s_and_saveexec_b64 s[10:11], vcc
	s_cbranch_execz .LBB476_73
; %bb.7:
	s_load_dwordx2 s[14:15], s[0:1], 0x8
	s_load_dwordx2 s[10:11], s[0:1], 0x18
	s_mul_i32 s3, s24, s9
	s_mul_hi_u32 s7, s24, s8
	s_add_i32 s3, s7, s3
	s_mul_i32 s7, s25, s8
	s_add_i32 s9, s3, s7
	s_mul_i32 s8, s24, s8
	s_lshl_b64 s[8:9], s[8:9], 3
	s_waitcnt lgkmcnt(0)
	s_add_u32 s8, s10, s8
	s_addc_u32 s3, s11, s9
	s_lshl_b64 s[10:11], s[24:25], 2
	s_add_u32 s12, s8, s10
	s_addc_u32 s13, s3, s11
	s_and_b32 s9, s3, 0xffff
	s_mul_i32 s3, s2, s25
	s_mul_hi_u32 s16, s2, s24
	s_add_i32 s3, s16, s3
	s_mul_i32 s2, s2, s24
	s_lshl_b32 s10, s24, 2
	s_and_b32 s13, s13, 0xffff
	s_lshl_b64 s[2:3], s[2:3], 2
	s_add_u32 s16, s14, s2
	s_addc_u32 s14, s15, s3
	s_lshl_b64 s[2:3], s[24:25], 1
	s_add_u32 s20, s16, s2
	s_addc_u32 s2, s14, s3
	s_and_b32 s17, s14, 0xffff
	s_and_b32 s21, s2, 0xffff
	s_mov_b32 s7, 0x20000
	s_add_u32 s0, s0, 48
	s_mov_b32 s11, s7
	s_mov_b64 s[22:23], s[6:7]
	v_mov_b32_e32 v49, 0
	s_addc_u32 s1, s1, 0
	s_mov_b64 s[2:3], 0
	s_mov_b32 s27, 0
	s_mov_b32 s28, 0x378e98ab
	;; [unrolled: 1-line block ×10, first 2 shown]
	v_mov_b32_e32 v50, 0x3ba10414
	s_brev_b32 s38, -2
	s_mov_b32 s18, s6
	s_mov_b32 s19, s7
	v_mov_b32_e32 v51, 0xb9c68948
	v_mov_b32_e32 v52, 0x7f800000
                                        ; implicit-def: $vgpr0
                                        ; implicit-def: $vgpr0
                                        ; implicit-def: $vgpr0
                                        ; implicit-def: $vgpr0
	s_branch .LBB476_9
.LBB476_8:                              ;   in Loop: Header=BB476_9 Depth=1
	s_or_b64 exec, exec, s[14:15]
	v_cvt_f32_f16_sdwa v13, v3 dst_sel:DWORD dst_unused:UNUSED_PAD src0_sel:WORD_1
	v_bfi_b32 v2, s38, v12, v2
	v_cvt_f16_f32_e32 v14, v1
	v_bfi_b32 v1, s38, v11, v10
	v_add_f32_e32 v7, v7, v13
	v_cvt_f16_f32_e32 v13, v0
	v_cvt_f32_f16_e32 v0, v3
	v_mul_f32_e32 v8, 0.5, v8
	v_add_f32_e32 v2, 1.0, v2
	v_add_f32_e32 v1, 1.0, v1
	v_add_f32_e32 v6, v6, v0
	v_mul_f32_e32 v0, 0.5, v9
	v_mul_f32_e32 v2, v8, v2
	v_mul_f32_e32 v3, v0, v1
	;;#ASMSTART
	v_pk_mul_f32 v[0:1], v[2:3], v[6:7]
	;;#ASMEND
	s_load_dword s14, s[0:1], 0xc
	v_cvt_f16_f32_e32 v8, v16
	v_cvt_f16_f32_e32 v12, v17
	;; [unrolled: 1-line block ×14, first 2 shown]
	s_waitcnt lgkmcnt(0)
	s_and_b32 s14, s14, 0xffff
	s_lshl_b32 s26, s14, 4
	v_lshl_add_u64 v[48:49], s[26:27], 0, v[48:49]
	v_pack_b32_f16 v3, v21, v22
	v_pack_b32_f16 v2, v19, v20
	;; [unrolled: 1-line block ×4, first 2 shown]
	v_cmp_le_i64_e32 vcc, s[24:25], v[48:49]
	buffer_store_dwordx4 v[0:3], v53, s[4:7], 0 offen
	s_or_b64 s[2:3], vcc, s[2:3]
	s_nop 0
	v_pack_b32_f16 v3, v6, v7
	v_pack_b32_f16 v2, v4, v5
	;; [unrolled: 1-line block ×4, first 2 shown]
	buffer_store_dwordx4 v[0:3], v53, s[4:7], 16 offen
	s_andn2_b64 exec, exec, s[2:3]
	s_cbranch_execz .LBB476_73
.LBB476_9:                              ; =>This Inner Loop Header: Depth=1
	v_lshlrev_b32_e32 v53, 1, v48
	buffer_load_dwordx4 v[32:35], v53, s[16:19], 0 offen
	buffer_load_dwordx4 v[8:11], v53, s[16:19], 16 offen
	;; [unrolled: 1-line block ×4, first 2 shown]
	v_lshlrev_b32_e32 v54, 2, v48
	s_mov_b32 s14, s10
	s_mov_b32 s15, s11
	buffer_load_dwordx4 v[44:47], v54, s[8:11], 0 offen
	buffer_load_dwordx4 v[36:39], v54, s[8:11], 16 offen
	;; [unrolled: 1-line block ×8, first 2 shown]
                                        ; implicit-def: $vgpr55
	s_waitcnt vmcnt(11)
	v_cvt_f32_f16_e32 v54, v32
	s_waitcnt vmcnt(7)
	v_add_f32_e32 v44, v44, v54
	v_mul_f32_e32 v54, 0x3f3504f3, v44
	v_cmp_nlt_f32_e64 s[14:15], |v54|, 1.0
	s_and_saveexec_b64 s[40:41], s[14:15]
	s_xor_b64 s[14:15], exec, s[40:41]
	s_cbranch_execz .LBB476_11
; %bb.10:                               ;   in Loop: Header=BB476_9 Depth=1
	v_fma_f32 v55, |v54|, s28, v51
	v_fma_f32 v55, |v54|, v55, s29
	;; [unrolled: 1-line block ×6, first 2 shown]
	v_fma_f32 v55, |v54|, v55, |v54|
	v_mul_f32_e32 v56, 0xbfb8aa3b, v55
	v_fma_f32 v57, v55, s35, -v56
	v_rndne_f32_e32 v58, v56
	v_fmac_f32_e32 v57, 0xb2a5705f, v55
	v_sub_f32_e32 v56, v56, v58
	v_add_f32_e32 v56, v56, v57
	v_cvt_i32_f32_e32 v57, v58
	v_exp_f32_e32 v56, v56
	v_cmp_nlt_f32_e32 vcc, s36, v55
	v_ldexp_f32 v56, v56, v57
	s_nop 0
	v_cndmask_b32_e32 v56, 0, v56, vcc
	v_cmp_ngt_f32_e32 vcc, s37, v55
	s_nop 1
	v_cndmask_b32_e32 v55, v52, v56, vcc
	v_sub_f32_e32 v55, 1.0, v55
.LBB476_11:                             ;   in Loop: Header=BB476_9 Depth=1
	s_andn2_saveexec_b64 s[14:15], s[14:15]
; %bb.12:                               ;   in Loop: Header=BB476_9 Depth=1
	v_mul_f32_e32 v55, v54, v54
	v_fmamk_f32 v56, v55, 0xba1345e1, v50
	v_fmaak_f32 v56, v55, v56, 0xbcdac9b8
	v_fmaak_f32 v56, v55, v56, 0x3de703be
	;; [unrolled: 1-line block ×4, first 2 shown]
	v_fma_f32 v55, |v54|, v55, |v54|
; %bb.13:                               ;   in Loop: Header=BB476_9 Depth=1
	s_or_b64 exec, exec, s[14:15]
	v_cvt_f32_f16_sdwa v32, v32 dst_sel:DWORD dst_unused:UNUSED_PAD src0_sel:WORD_1
                                        ; implicit-def: $vgpr56
	v_add_f32_e32 v32, v45, v32
	v_mul_f32_e32 v45, 0x3f3504f3, v32
	v_cmp_nlt_f32_e64 s[14:15], |v45|, 1.0
	s_and_saveexec_b64 s[40:41], s[14:15]
	s_xor_b64 s[14:15], exec, s[40:41]
	s_cbranch_execz .LBB476_15
; %bb.14:                               ;   in Loop: Header=BB476_9 Depth=1
	v_fma_f32 v56, |v45|, s28, v51
	v_fma_f32 v56, |v45|, v56, s29
	;; [unrolled: 1-line block ×6, first 2 shown]
	v_fma_f32 v56, |v45|, v56, |v45|
	v_mul_f32_e32 v57, 0xbfb8aa3b, v56
	v_fma_f32 v58, v56, s35, -v57
	v_rndne_f32_e32 v59, v57
	v_fmac_f32_e32 v58, 0xb2a5705f, v56
	v_sub_f32_e32 v57, v57, v59
	v_add_f32_e32 v57, v57, v58
	v_cvt_i32_f32_e32 v58, v59
	v_exp_f32_e32 v57, v57
	v_cmp_nlt_f32_e32 vcc, s36, v56
	v_ldexp_f32 v57, v57, v58
	s_nop 0
	v_cndmask_b32_e32 v57, 0, v57, vcc
	v_cmp_ngt_f32_e32 vcc, s37, v56
	s_nop 1
	v_cndmask_b32_e32 v56, v52, v57, vcc
	v_sub_f32_e32 v56, 1.0, v56
.LBB476_15:                             ;   in Loop: Header=BB476_9 Depth=1
	s_andn2_saveexec_b64 s[14:15], s[14:15]
; %bb.16:                               ;   in Loop: Header=BB476_9 Depth=1
	v_mul_f32_e32 v56, v45, v45
	v_fmamk_f32 v57, v56, 0xba1345e1, v50
	v_fmaak_f32 v57, v56, v57, 0xbcdac9b8
	v_fmaak_f32 v57, v56, v57, 0x3de703be
	;; [unrolled: 1-line block ×4, first 2 shown]
	v_fma_f32 v56, |v45|, v56, |v45|
; %bb.17:                               ;   in Loop: Header=BB476_9 Depth=1
	s_or_b64 exec, exec, s[14:15]
	v_bfi_b32 v54, s38, v55, v54
	v_cvt_f32_f16_sdwa v55, v24 dst_sel:DWORD dst_unused:UNUSED_PAD src0_sel:WORD_1
	v_cvt_f32_f16_e32 v24, v24
	v_mul_f32_e32 v44, 0.5, v44
	v_add_f32_e32 v54, 1.0, v54
	v_mul_f32_e32 v44, v44, v54
	v_cvt_f32_f16_e32 v54, v33
	s_waitcnt vmcnt(3)
	v_add_f32_e32 v40, v40, v24
	v_mul_f32_e32 v24, 0.5, v32
	v_bfi_b32 v32, s38, v56, v45
	v_add_f32_e32 v32, 1.0, v32
	v_mul_f32_e32 v45, v24, v32
	v_add_f32_e32 v24, v46, v54
	v_mul_f32_e32 v32, 0x3f3504f3, v24
	v_add_f32_e32 v41, v41, v55
	v_cmp_nlt_f32_e64 s[14:15], |v32|, 1.0
	;;#ASMSTART
	v_pk_mul_f32 v[40:41], v[44:45], v[40:41]
	;;#ASMEND
                                        ; implicit-def: $vgpr44
	s_and_saveexec_b64 s[40:41], s[14:15]
	s_xor_b64 s[14:15], exec, s[40:41]
	s_cbranch_execz .LBB476_19
; %bb.18:                               ;   in Loop: Header=BB476_9 Depth=1
	v_fma_f32 v44, |v32|, s28, v51
	v_fma_f32 v44, |v32|, v44, s29
	;; [unrolled: 1-line block ×6, first 2 shown]
	v_fma_f32 v44, |v32|, v44, |v32|
	v_mul_f32_e32 v45, 0xbfb8aa3b, v44
	v_fma_f32 v46, v44, s35, -v45
	v_rndne_f32_e32 v54, v45
	v_fmac_f32_e32 v46, 0xb2a5705f, v44
	v_sub_f32_e32 v45, v45, v54
	v_add_f32_e32 v45, v45, v46
	v_cvt_i32_f32_e32 v46, v54
	v_exp_f32_e32 v45, v45
	v_cmp_nlt_f32_e32 vcc, s36, v44
	v_ldexp_f32 v45, v45, v46
	s_nop 0
	v_cndmask_b32_e32 v45, 0, v45, vcc
	v_cmp_ngt_f32_e32 vcc, s37, v44
	s_nop 1
	v_cndmask_b32_e32 v44, v52, v45, vcc
	v_sub_f32_e32 v44, 1.0, v44
.LBB476_19:                             ;   in Loop: Header=BB476_9 Depth=1
	s_andn2_saveexec_b64 s[14:15], s[14:15]
; %bb.20:                               ;   in Loop: Header=BB476_9 Depth=1
	v_mul_f32_e32 v44, v32, v32
	v_fmamk_f32 v45, v44, 0xba1345e1, v50
	v_fmaak_f32 v45, v44, v45, 0xbcdac9b8
	v_fmaak_f32 v45, v44, v45, 0x3de703be
	;; [unrolled: 1-line block ×4, first 2 shown]
	v_fma_f32 v44, |v32|, v44, |v32|
; %bb.21:                               ;   in Loop: Header=BB476_9 Depth=1
	s_or_b64 exec, exec, s[14:15]
	v_cvt_f32_f16_sdwa v33, v33 dst_sel:DWORD dst_unused:UNUSED_PAD src0_sel:WORD_1
                                        ; implicit-def: $vgpr46
	v_add_f32_e32 v33, v47, v33
	v_mul_f32_e32 v45, 0x3f3504f3, v33
	v_cmp_nlt_f32_e64 s[14:15], |v45|, 1.0
	s_and_saveexec_b64 s[40:41], s[14:15]
	s_xor_b64 s[14:15], exec, s[40:41]
	s_cbranch_execz .LBB476_23
; %bb.22:                               ;   in Loop: Header=BB476_9 Depth=1
	v_fma_f32 v46, |v45|, s28, v51
	v_fma_f32 v46, |v45|, v46, s29
	;; [unrolled: 1-line block ×6, first 2 shown]
	v_fma_f32 v46, |v45|, v46, |v45|
	v_mul_f32_e32 v47, 0xbfb8aa3b, v46
	v_fma_f32 v54, v46, s35, -v47
	v_rndne_f32_e32 v55, v47
	v_fmac_f32_e32 v54, 0xb2a5705f, v46
	v_sub_f32_e32 v47, v47, v55
	v_add_f32_e32 v47, v47, v54
	v_cvt_i32_f32_e32 v54, v55
	v_exp_f32_e32 v47, v47
	v_cmp_nlt_f32_e32 vcc, s36, v46
	v_ldexp_f32 v47, v47, v54
	s_nop 0
	v_cndmask_b32_e32 v47, 0, v47, vcc
	v_cmp_ngt_f32_e32 vcc, s37, v46
	s_nop 1
	v_cndmask_b32_e32 v46, v52, v47, vcc
	v_sub_f32_e32 v46, 1.0, v46
.LBB476_23:                             ;   in Loop: Header=BB476_9 Depth=1
	s_andn2_saveexec_b64 s[14:15], s[14:15]
; %bb.24:                               ;   in Loop: Header=BB476_9 Depth=1
	v_mul_f32_e32 v46, v45, v45
	v_fmamk_f32 v47, v46, 0xba1345e1, v50
	v_fmaak_f32 v47, v46, v47, 0xbcdac9b8
	v_fmaak_f32 v47, v46, v47, 0x3de703be
	;; [unrolled: 1-line block ×4, first 2 shown]
	v_fma_f32 v46, |v45|, v46, |v45|
; %bb.25:                               ;   in Loop: Header=BB476_9 Depth=1
	s_or_b64 exec, exec, s[14:15]
	v_bfi_b32 v32, s38, v44, v32
	v_cvt_f32_f16_sdwa v44, v25 dst_sel:DWORD dst_unused:UNUSED_PAD src0_sel:WORD_1
	v_cvt_f32_f16_e32 v25, v25
	v_mul_f32_e32 v24, 0.5, v24
	v_add_f32_e32 v32, 1.0, v32
	v_mul_f32_e32 v24, v24, v32
	v_add_f32_e32 v42, v42, v25
	v_mul_f32_e32 v25, 0.5, v33
	v_cvt_f32_f16_e32 v33, v34
	v_bfi_b32 v32, s38, v46, v45
	v_add_f32_e32 v32, 1.0, v32
	v_mul_f32_e32 v25, v25, v32
	v_add_f32_e32 v32, v36, v33
	v_mul_f32_e32 v33, 0x3f3504f3, v32
	v_cmp_nlt_f32_e64 s[14:15], |v33|, 1.0
	v_add_f32_e32 v43, v43, v44
	;;#ASMSTART
	v_pk_mul_f32 v[24:25], v[24:25], v[42:43]
	;;#ASMEND
                                        ; implicit-def: $vgpr36
	s_and_saveexec_b64 s[40:41], s[14:15]
	s_xor_b64 s[14:15], exec, s[40:41]
	s_cbranch_execz .LBB476_27
; %bb.26:                               ;   in Loop: Header=BB476_9 Depth=1
	v_fma_f32 v36, |v33|, s28, v51
	v_fma_f32 v36, |v33|, v36, s29
	;; [unrolled: 1-line block ×6, first 2 shown]
	v_fma_f32 v36, |v33|, v36, |v33|
	v_mul_f32_e32 v42, 0xbfb8aa3b, v36
	v_fma_f32 v43, v36, s35, -v42
	v_rndne_f32_e32 v44, v42
	v_fmac_f32_e32 v43, 0xb2a5705f, v36
	v_sub_f32_e32 v42, v42, v44
	v_add_f32_e32 v42, v42, v43
	v_cvt_i32_f32_e32 v43, v44
	v_exp_f32_e32 v42, v42
	v_cmp_nlt_f32_e32 vcc, s36, v36
	v_ldexp_f32 v42, v42, v43
	s_nop 0
	v_cndmask_b32_e32 v42, 0, v42, vcc
	v_cmp_ngt_f32_e32 vcc, s37, v36
	s_nop 1
	v_cndmask_b32_e32 v36, v52, v42, vcc
	v_sub_f32_e32 v36, 1.0, v36
.LBB476_27:                             ;   in Loop: Header=BB476_9 Depth=1
	s_andn2_saveexec_b64 s[14:15], s[14:15]
; %bb.28:                               ;   in Loop: Header=BB476_9 Depth=1
	v_mul_f32_e32 v36, v33, v33
	v_fmamk_f32 v42, v36, 0xba1345e1, v50
	v_fmaak_f32 v42, v36, v42, 0xbcdac9b8
	v_fmaak_f32 v42, v36, v42, 0x3de703be
	;; [unrolled: 1-line block ×4, first 2 shown]
	v_fma_f32 v36, |v33|, v36, |v33|
; %bb.29:                               ;   in Loop: Header=BB476_9 Depth=1
	s_or_b64 exec, exec, s[14:15]
	v_cvt_f32_f16_sdwa v34, v34 dst_sel:DWORD dst_unused:UNUSED_PAD src0_sel:WORD_1
                                        ; implicit-def: $vgpr42
	v_add_f32_e32 v34, v37, v34
	v_mul_f32_e32 v37, 0x3f3504f3, v34
	v_cmp_nlt_f32_e64 s[14:15], |v37|, 1.0
	s_and_saveexec_b64 s[40:41], s[14:15]
	s_xor_b64 s[14:15], exec, s[40:41]
	s_cbranch_execz .LBB476_31
; %bb.30:                               ;   in Loop: Header=BB476_9 Depth=1
	v_fma_f32 v42, |v37|, s28, v51
	v_fma_f32 v42, |v37|, v42, s29
	;; [unrolled: 1-line block ×6, first 2 shown]
	v_fma_f32 v42, |v37|, v42, |v37|
	v_mul_f32_e32 v43, 0xbfb8aa3b, v42
	v_fma_f32 v44, v42, s35, -v43
	v_rndne_f32_e32 v45, v43
	v_fmac_f32_e32 v44, 0xb2a5705f, v42
	v_sub_f32_e32 v43, v43, v45
	v_add_f32_e32 v43, v43, v44
	v_cvt_i32_f32_e32 v44, v45
	v_exp_f32_e32 v43, v43
	v_cmp_nlt_f32_e32 vcc, s36, v42
	v_ldexp_f32 v43, v43, v44
	s_nop 0
	v_cndmask_b32_e32 v43, 0, v43, vcc
	v_cmp_ngt_f32_e32 vcc, s37, v42
	s_nop 1
	v_cndmask_b32_e32 v42, v52, v43, vcc
	v_sub_f32_e32 v42, 1.0, v42
.LBB476_31:                             ;   in Loop: Header=BB476_9 Depth=1
	s_andn2_saveexec_b64 s[14:15], s[14:15]
; %bb.32:                               ;   in Loop: Header=BB476_9 Depth=1
	v_mul_f32_e32 v42, v37, v37
	v_fmamk_f32 v43, v42, 0xba1345e1, v50
	v_fmaak_f32 v43, v42, v43, 0xbcdac9b8
	v_fmaak_f32 v43, v42, v43, 0x3de703be
	;; [unrolled: 1-line block ×4, first 2 shown]
	v_fma_f32 v42, |v37|, v42, |v37|
; %bb.33:                               ;   in Loop: Header=BB476_9 Depth=1
	s_or_b64 exec, exec, s[14:15]
	v_bfi_b32 v33, s38, v36, v33
	v_cvt_f32_f16_sdwa v36, v26 dst_sel:DWORD dst_unused:UNUSED_PAD src0_sel:WORD_1
	v_cvt_f32_f16_e32 v26, v26
	v_mul_f32_e32 v32, 0.5, v32
	v_add_f32_e32 v33, 1.0, v33
	v_mul_f32_e32 v32, v32, v33
	s_waitcnt vmcnt(2)
	v_add_f32_e32 v28, v28, v26
	v_mul_f32_e32 v26, 0.5, v34
	v_cvt_f32_f16_e32 v34, v35
	v_bfi_b32 v33, s38, v42, v37
	v_add_f32_e32 v33, 1.0, v33
	v_add_f32_e32 v29, v29, v36
	v_mul_f32_e32 v33, v26, v33
	v_add_f32_e32 v26, v38, v34
	;;#ASMSTART
	v_pk_mul_f32 v[28:29], v[32:33], v[28:29]
	;;#ASMEND
	v_mul_f32_e32 v32, 0x3f3504f3, v26
	v_cmp_nlt_f32_e64 s[14:15], |v32|, 1.0
                                        ; implicit-def: $vgpr33
	s_and_saveexec_b64 s[40:41], s[14:15]
	s_xor_b64 s[14:15], exec, s[40:41]
	s_cbranch_execz .LBB476_35
; %bb.34:                               ;   in Loop: Header=BB476_9 Depth=1
	v_fma_f32 v33, |v32|, s28, v51
	v_fma_f32 v33, |v32|, v33, s29
	;; [unrolled: 1-line block ×6, first 2 shown]
	v_fma_f32 v33, |v32|, v33, |v32|
	v_mul_f32_e32 v34, 0xbfb8aa3b, v33
	v_fma_f32 v36, v33, s35, -v34
	v_rndne_f32_e32 v37, v34
	v_fmac_f32_e32 v36, 0xb2a5705f, v33
	v_sub_f32_e32 v34, v34, v37
	v_add_f32_e32 v34, v34, v36
	v_cvt_i32_f32_e32 v36, v37
	v_exp_f32_e32 v34, v34
	v_cmp_nlt_f32_e32 vcc, s36, v33
	v_ldexp_f32 v34, v34, v36
	s_nop 0
	v_cndmask_b32_e32 v34, 0, v34, vcc
	v_cmp_ngt_f32_e32 vcc, s37, v33
	s_nop 1
	v_cndmask_b32_e32 v33, v52, v34, vcc
	v_sub_f32_e32 v33, 1.0, v33
.LBB476_35:                             ;   in Loop: Header=BB476_9 Depth=1
	s_andn2_saveexec_b64 s[14:15], s[14:15]
; %bb.36:                               ;   in Loop: Header=BB476_9 Depth=1
	v_mul_f32_e32 v33, v32, v32
	v_fmamk_f32 v34, v33, 0xba1345e1, v50
	v_fmaak_f32 v34, v33, v34, 0xbcdac9b8
	v_fmaak_f32 v34, v33, v34, 0x3de703be
	;; [unrolled: 1-line block ×4, first 2 shown]
	v_fma_f32 v33, |v32|, v33, |v32|
; %bb.37:                               ;   in Loop: Header=BB476_9 Depth=1
	s_or_b64 exec, exec, s[14:15]
	v_cvt_f32_f16_sdwa v34, v35 dst_sel:DWORD dst_unused:UNUSED_PAD src0_sel:WORD_1
                                        ; implicit-def: $vgpr36
	v_add_f32_e32 v34, v39, v34
	v_mul_f32_e32 v35, 0x3f3504f3, v34
	v_cmp_nlt_f32_e64 s[14:15], |v35|, 1.0
	s_and_saveexec_b64 s[40:41], s[14:15]
	s_xor_b64 s[14:15], exec, s[40:41]
	s_cbranch_execz .LBB476_39
; %bb.38:                               ;   in Loop: Header=BB476_9 Depth=1
	v_fma_f32 v36, |v35|, s28, v51
	v_fma_f32 v36, |v35|, v36, s29
	;; [unrolled: 1-line block ×6, first 2 shown]
	v_fma_f32 v36, |v35|, v36, |v35|
	v_mul_f32_e32 v37, 0xbfb8aa3b, v36
	v_fma_f32 v38, v36, s35, -v37
	v_rndne_f32_e32 v39, v37
	v_fmac_f32_e32 v38, 0xb2a5705f, v36
	v_sub_f32_e32 v37, v37, v39
	v_add_f32_e32 v37, v37, v38
	v_cvt_i32_f32_e32 v38, v39
	v_exp_f32_e32 v37, v37
	v_cmp_nlt_f32_e32 vcc, s36, v36
	v_ldexp_f32 v37, v37, v38
	s_nop 0
	v_cndmask_b32_e32 v37, 0, v37, vcc
	v_cmp_ngt_f32_e32 vcc, s37, v36
	s_nop 1
	v_cndmask_b32_e32 v36, v52, v37, vcc
	v_sub_f32_e32 v36, 1.0, v36
.LBB476_39:                             ;   in Loop: Header=BB476_9 Depth=1
	s_andn2_saveexec_b64 s[14:15], s[14:15]
; %bb.40:                               ;   in Loop: Header=BB476_9 Depth=1
	v_mul_f32_e32 v36, v35, v35
	v_fmamk_f32 v37, v36, 0xba1345e1, v50
	v_fmaak_f32 v37, v36, v37, 0xbcdac9b8
	v_fmaak_f32 v37, v36, v37, 0x3de703be
	;; [unrolled: 1-line block ×4, first 2 shown]
	v_fma_f32 v36, |v35|, v36, |v35|
; %bb.41:                               ;   in Loop: Header=BB476_9 Depth=1
	s_or_b64 exec, exec, s[14:15]
	v_bfi_b32 v32, s38, v33, v32
	v_cvt_f32_f16_sdwa v33, v27 dst_sel:DWORD dst_unused:UNUSED_PAD src0_sel:WORD_1
	v_cvt_f32_f16_e32 v27, v27
	v_mul_f32_e32 v26, 0.5, v26
	v_add_f32_e32 v32, 1.0, v32
	v_add_f32_e32 v31, v31, v33
	v_cvt_f32_f16_e32 v33, v8
	v_mul_f32_e32 v26, v26, v32
	v_bfi_b32 v32, s38, v36, v35
	v_add_f32_e32 v30, v30, v27
	v_mul_f32_e32 v27, 0.5, v34
	v_add_f32_e32 v32, 1.0, v32
	v_mul_f32_e32 v27, v27, v32
	v_add_f32_e32 v20, v20, v33
	;;#ASMSTART
	v_pk_mul_f32 v[26:27], v[26:27], v[30:31]
	;;#ASMEND
	v_mul_f32_e32 v30, 0x3f3504f3, v20
	v_cmp_nlt_f32_e64 s[14:15], |v30|, 1.0
                                        ; implicit-def: $vgpr31
	s_and_saveexec_b64 s[40:41], s[14:15]
	s_xor_b64 s[14:15], exec, s[40:41]
	s_cbranch_execz .LBB476_43
; %bb.42:                               ;   in Loop: Header=BB476_9 Depth=1
	v_fma_f32 v31, |v30|, s28, v51
	v_fma_f32 v31, |v30|, v31, s29
	;; [unrolled: 1-line block ×6, first 2 shown]
	v_fma_f32 v31, |v30|, v31, |v30|
	v_mul_f32_e32 v32, 0xbfb8aa3b, v31
	v_fma_f32 v33, v31, s35, -v32
	v_rndne_f32_e32 v34, v32
	v_fmac_f32_e32 v33, 0xb2a5705f, v31
	v_sub_f32_e32 v32, v32, v34
	v_add_f32_e32 v32, v32, v33
	v_cvt_i32_f32_e32 v33, v34
	v_exp_f32_e32 v32, v32
	v_cmp_nlt_f32_e32 vcc, s36, v31
	v_ldexp_f32 v32, v32, v33
	s_nop 0
	v_cndmask_b32_e32 v32, 0, v32, vcc
	v_cmp_ngt_f32_e32 vcc, s37, v31
	s_nop 1
	v_cndmask_b32_e32 v31, v52, v32, vcc
	v_sub_f32_e32 v31, 1.0, v31
.LBB476_43:                             ;   in Loop: Header=BB476_9 Depth=1
	s_andn2_saveexec_b64 s[14:15], s[14:15]
; %bb.44:                               ;   in Loop: Header=BB476_9 Depth=1
	v_mul_f32_e32 v31, v30, v30
	v_fmamk_f32 v32, v31, 0xba1345e1, v50
	v_fmaak_f32 v32, v31, v32, 0xbcdac9b8
	v_fmaak_f32 v32, v31, v32, 0x3de703be
	;; [unrolled: 1-line block ×4, first 2 shown]
	v_fma_f32 v31, |v30|, v31, |v30|
; %bb.45:                               ;   in Loop: Header=BB476_9 Depth=1
	s_or_b64 exec, exec, s[14:15]
	v_cvt_f32_f16_sdwa v8, v8 dst_sel:DWORD dst_unused:UNUSED_PAD src0_sel:WORD_1
                                        ; implicit-def: $vgpr32
	v_add_f32_e32 v8, v21, v8
	v_mul_f32_e32 v21, 0x3f3504f3, v8
	v_cmp_nlt_f32_e64 s[14:15], |v21|, 1.0
	s_and_saveexec_b64 s[40:41], s[14:15]
	s_xor_b64 s[14:15], exec, s[40:41]
	s_cbranch_execz .LBB476_47
; %bb.46:                               ;   in Loop: Header=BB476_9 Depth=1
	v_fma_f32 v32, |v21|, s28, v51
	v_fma_f32 v32, |v21|, v32, s29
	;; [unrolled: 1-line block ×6, first 2 shown]
	v_fma_f32 v32, |v21|, v32, |v21|
	v_mul_f32_e32 v33, 0xbfb8aa3b, v32
	v_fma_f32 v34, v32, s35, -v33
	v_rndne_f32_e32 v35, v33
	v_fmac_f32_e32 v34, 0xb2a5705f, v32
	v_sub_f32_e32 v33, v33, v35
	v_add_f32_e32 v33, v33, v34
	v_cvt_i32_f32_e32 v34, v35
	v_exp_f32_e32 v33, v33
	v_cmp_nlt_f32_e32 vcc, s36, v32
	v_ldexp_f32 v33, v33, v34
	s_nop 0
	v_cndmask_b32_e32 v33, 0, v33, vcc
	v_cmp_ngt_f32_e32 vcc, s37, v32
	s_nop 1
	v_cndmask_b32_e32 v32, v52, v33, vcc
	v_sub_f32_e32 v32, 1.0, v32
.LBB476_47:                             ;   in Loop: Header=BB476_9 Depth=1
	s_andn2_saveexec_b64 s[14:15], s[14:15]
; %bb.48:                               ;   in Loop: Header=BB476_9 Depth=1
	v_mul_f32_e32 v32, v21, v21
	v_fmamk_f32 v33, v32, 0xba1345e1, v50
	v_fmaak_f32 v33, v32, v33, 0xbcdac9b8
	v_fmaak_f32 v33, v32, v33, 0x3de703be
	;; [unrolled: 1-line block ×4, first 2 shown]
	v_fma_f32 v32, |v21|, v32, |v21|
; %bb.49:                               ;   in Loop: Header=BB476_9 Depth=1
	s_or_b64 exec, exec, s[14:15]
	v_bfi_b32 v30, s38, v31, v30
	v_cvt_f32_f16_sdwa v31, v0 dst_sel:DWORD dst_unused:UNUSED_PAD src0_sel:WORD_1
	v_cvt_f32_f16_e32 v0, v0
	v_mul_f32_e32 v20, 0.5, v20
	v_add_f32_e32 v30, 1.0, v30
	v_mul_f32_e32 v20, v20, v30
	v_cvt_f32_f16_e32 v30, v9
	s_waitcnt vmcnt(1)
	v_add_f32_e32 v16, v16, v0
	v_mul_f32_e32 v0, 0.5, v8
	v_bfi_b32 v8, s38, v32, v21
	v_add_f32_e32 v8, 1.0, v8
	v_mul_f32_e32 v21, v0, v8
	v_add_f32_e32 v0, v22, v30
	v_mul_f32_e32 v8, 0x3f3504f3, v0
	v_add_f32_e32 v17, v17, v31
	v_cmp_nlt_f32_e64 s[14:15], |v8|, 1.0
	;;#ASMSTART
	v_pk_mul_f32 v[16:17], v[20:21], v[16:17]
	;;#ASMEND
                                        ; implicit-def: $vgpr20
	s_and_saveexec_b64 s[40:41], s[14:15]
	s_xor_b64 s[14:15], exec, s[40:41]
	s_cbranch_execz .LBB476_51
; %bb.50:                               ;   in Loop: Header=BB476_9 Depth=1
	v_fma_f32 v20, |v8|, s28, v51
	v_fma_f32 v20, |v8|, v20, s29
	;; [unrolled: 1-line block ×6, first 2 shown]
	v_fma_f32 v20, |v8|, v20, |v8|
	v_mul_f32_e32 v21, 0xbfb8aa3b, v20
	v_fma_f32 v22, v20, s35, -v21
	v_rndne_f32_e32 v30, v21
	v_fmac_f32_e32 v22, 0xb2a5705f, v20
	v_sub_f32_e32 v21, v21, v30
	v_add_f32_e32 v21, v21, v22
	v_cvt_i32_f32_e32 v22, v30
	v_exp_f32_e32 v21, v21
	v_cmp_nlt_f32_e32 vcc, s36, v20
	v_ldexp_f32 v21, v21, v22
	s_nop 0
	v_cndmask_b32_e32 v21, 0, v21, vcc
	v_cmp_ngt_f32_e32 vcc, s37, v20
	s_nop 1
	v_cndmask_b32_e32 v20, v52, v21, vcc
	v_sub_f32_e32 v20, 1.0, v20
.LBB476_51:                             ;   in Loop: Header=BB476_9 Depth=1
	s_andn2_saveexec_b64 s[14:15], s[14:15]
; %bb.52:                               ;   in Loop: Header=BB476_9 Depth=1
	v_mul_f32_e32 v20, v8, v8
	v_fmamk_f32 v21, v20, 0xba1345e1, v50
	v_fmaak_f32 v21, v20, v21, 0xbcdac9b8
	v_fmaak_f32 v21, v20, v21, 0x3de703be
	;; [unrolled: 1-line block ×4, first 2 shown]
	v_fma_f32 v20, |v8|, v20, |v8|
; %bb.53:                               ;   in Loop: Header=BB476_9 Depth=1
	s_or_b64 exec, exec, s[14:15]
	v_cvt_f32_f16_sdwa v9, v9 dst_sel:DWORD dst_unused:UNUSED_PAD src0_sel:WORD_1
                                        ; implicit-def: $vgpr22
	v_add_f32_e32 v9, v23, v9
	v_mul_f32_e32 v21, 0x3f3504f3, v9
	v_cmp_nlt_f32_e64 s[14:15], |v21|, 1.0
	s_and_saveexec_b64 s[40:41], s[14:15]
	s_xor_b64 s[14:15], exec, s[40:41]
	s_cbranch_execz .LBB476_55
; %bb.54:                               ;   in Loop: Header=BB476_9 Depth=1
	v_fma_f32 v22, |v21|, s28, v51
	v_fma_f32 v22, |v21|, v22, s29
	;; [unrolled: 1-line block ×6, first 2 shown]
	v_fma_f32 v22, |v21|, v22, |v21|
	v_mul_f32_e32 v23, 0xbfb8aa3b, v22
	v_fma_f32 v30, v22, s35, -v23
	v_rndne_f32_e32 v31, v23
	v_fmac_f32_e32 v30, 0xb2a5705f, v22
	v_sub_f32_e32 v23, v23, v31
	v_add_f32_e32 v23, v23, v30
	v_cvt_i32_f32_e32 v30, v31
	v_exp_f32_e32 v23, v23
	v_cmp_nlt_f32_e32 vcc, s36, v22
	v_ldexp_f32 v23, v23, v30
	s_nop 0
	v_cndmask_b32_e32 v23, 0, v23, vcc
	v_cmp_ngt_f32_e32 vcc, s37, v22
	s_nop 1
	v_cndmask_b32_e32 v22, v52, v23, vcc
	v_sub_f32_e32 v22, 1.0, v22
.LBB476_55:                             ;   in Loop: Header=BB476_9 Depth=1
	s_andn2_saveexec_b64 s[14:15], s[14:15]
; %bb.56:                               ;   in Loop: Header=BB476_9 Depth=1
	v_mul_f32_e32 v22, v21, v21
	v_fmamk_f32 v23, v22, 0xba1345e1, v50
	v_fmaak_f32 v23, v22, v23, 0xbcdac9b8
	v_fmaak_f32 v23, v22, v23, 0x3de703be
	;; [unrolled: 1-line block ×4, first 2 shown]
	v_fma_f32 v22, |v21|, v22, |v21|
; %bb.57:                               ;   in Loop: Header=BB476_9 Depth=1
	s_or_b64 exec, exec, s[14:15]
	v_bfi_b32 v8, s38, v20, v8
	v_cvt_f32_f16_sdwa v20, v1 dst_sel:DWORD dst_unused:UNUSED_PAD src0_sel:WORD_1
	v_cvt_f32_f16_e32 v1, v1
	v_mul_f32_e32 v0, 0.5, v0
	v_add_f32_e32 v8, 1.0, v8
	v_mul_f32_e32 v0, v0, v8
	v_add_f32_e32 v18, v18, v1
	v_mul_f32_e32 v1, 0.5, v9
	v_cvt_f32_f16_e32 v9, v10
	v_bfi_b32 v8, s38, v22, v21
	v_add_f32_e32 v8, 1.0, v8
	v_mul_f32_e32 v1, v1, v8
	v_add_f32_e32 v8, v12, v9
	v_mul_f32_e32 v9, 0x3f3504f3, v8
	v_cmp_nlt_f32_e64 s[14:15], |v9|, 1.0
	v_add_f32_e32 v19, v19, v20
	;;#ASMSTART
	v_pk_mul_f32 v[0:1], v[0:1], v[18:19]
	;;#ASMEND
                                        ; implicit-def: $vgpr12
	s_and_saveexec_b64 s[40:41], s[14:15]
	s_xor_b64 s[14:15], exec, s[40:41]
	s_cbranch_execz .LBB476_59
; %bb.58:                               ;   in Loop: Header=BB476_9 Depth=1
	v_fma_f32 v12, |v9|, s28, v51
	v_fma_f32 v12, |v9|, v12, s29
	;; [unrolled: 1-line block ×6, first 2 shown]
	v_fma_f32 v12, |v9|, v12, |v9|
	v_mul_f32_e32 v18, 0xbfb8aa3b, v12
	v_fma_f32 v19, v12, s35, -v18
	v_rndne_f32_e32 v20, v18
	v_fmac_f32_e32 v19, 0xb2a5705f, v12
	v_sub_f32_e32 v18, v18, v20
	v_add_f32_e32 v18, v18, v19
	v_cvt_i32_f32_e32 v19, v20
	v_exp_f32_e32 v18, v18
	v_cmp_nlt_f32_e32 vcc, s36, v12
	v_ldexp_f32 v18, v18, v19
	s_nop 0
	v_cndmask_b32_e32 v18, 0, v18, vcc
	v_cmp_ngt_f32_e32 vcc, s37, v12
	s_nop 1
	v_cndmask_b32_e32 v12, v52, v18, vcc
	v_sub_f32_e32 v12, 1.0, v12
.LBB476_59:                             ;   in Loop: Header=BB476_9 Depth=1
	s_andn2_saveexec_b64 s[14:15], s[14:15]
; %bb.60:                               ;   in Loop: Header=BB476_9 Depth=1
	v_mul_f32_e32 v12, v9, v9
	v_fmamk_f32 v18, v12, 0xba1345e1, v50
	v_fmaak_f32 v18, v12, v18, 0xbcdac9b8
	v_fmaak_f32 v18, v12, v18, 0x3de703be
	;; [unrolled: 1-line block ×4, first 2 shown]
	v_fma_f32 v12, |v9|, v12, |v9|
; %bb.61:                               ;   in Loop: Header=BB476_9 Depth=1
	s_or_b64 exec, exec, s[14:15]
	v_cvt_f32_f16_sdwa v10, v10 dst_sel:DWORD dst_unused:UNUSED_PAD src0_sel:WORD_1
                                        ; implicit-def: $vgpr18
	v_add_f32_e32 v10, v13, v10
	v_mul_f32_e32 v13, 0x3f3504f3, v10
	v_cmp_nlt_f32_e64 s[14:15], |v13|, 1.0
	s_and_saveexec_b64 s[40:41], s[14:15]
	s_xor_b64 s[14:15], exec, s[40:41]
	s_cbranch_execz .LBB476_63
; %bb.62:                               ;   in Loop: Header=BB476_9 Depth=1
	v_fma_f32 v18, |v13|, s28, v51
	v_fma_f32 v18, |v13|, v18, s29
	;; [unrolled: 1-line block ×6, first 2 shown]
	v_fma_f32 v18, |v13|, v18, |v13|
	v_mul_f32_e32 v19, 0xbfb8aa3b, v18
	v_fma_f32 v20, v18, s35, -v19
	v_rndne_f32_e32 v21, v19
	v_fmac_f32_e32 v20, 0xb2a5705f, v18
	v_sub_f32_e32 v19, v19, v21
	v_add_f32_e32 v19, v19, v20
	v_cvt_i32_f32_e32 v20, v21
	v_exp_f32_e32 v19, v19
	v_cmp_nlt_f32_e32 vcc, s36, v18
	v_ldexp_f32 v19, v19, v20
	s_nop 0
	v_cndmask_b32_e32 v19, 0, v19, vcc
	v_cmp_ngt_f32_e32 vcc, s37, v18
	s_nop 1
	v_cndmask_b32_e32 v18, v52, v19, vcc
	v_sub_f32_e32 v18, 1.0, v18
.LBB476_63:                             ;   in Loop: Header=BB476_9 Depth=1
	s_andn2_saveexec_b64 s[14:15], s[14:15]
; %bb.64:                               ;   in Loop: Header=BB476_9 Depth=1
	v_mul_f32_e32 v18, v13, v13
	v_fmamk_f32 v19, v18, 0xba1345e1, v50
	v_fmaak_f32 v19, v18, v19, 0xbcdac9b8
	v_fmaak_f32 v19, v18, v19, 0x3de703be
	;; [unrolled: 1-line block ×4, first 2 shown]
	v_fma_f32 v18, |v13|, v18, |v13|
; %bb.65:                               ;   in Loop: Header=BB476_9 Depth=1
	s_or_b64 exec, exec, s[14:15]
	v_bfi_b32 v9, s38, v12, v9
	v_cvt_f32_f16_sdwa v12, v2 dst_sel:DWORD dst_unused:UNUSED_PAD src0_sel:WORD_1
	v_cvt_f32_f16_e32 v2, v2
	v_mul_f32_e32 v8, 0.5, v8
	v_add_f32_e32 v9, 1.0, v9
	v_mul_f32_e32 v8, v8, v9
	s_waitcnt vmcnt(0)
	v_add_f32_e32 v4, v4, v2
	v_mul_f32_e32 v2, 0.5, v10
	v_cvt_f32_f16_e32 v10, v11
	v_bfi_b32 v9, s38, v18, v13
	v_add_f32_e32 v5, v5, v12
	v_add_f32_e32 v9, 1.0, v9
	v_mul_f32_e32 v9, v2, v9
	;;#ASMSTART
	v_pk_mul_f32 v[4:5], v[8:9], v[4:5]
	;;#ASMEND
	v_add_f32_e32 v8, v14, v10
	v_mul_f32_e32 v2, 0x3f3504f3, v8
	v_cmp_nlt_f32_e64 s[14:15], |v2|, 1.0
                                        ; implicit-def: $vgpr12
	s_and_saveexec_b64 s[40:41], s[14:15]
	s_xor_b64 s[14:15], exec, s[40:41]
	s_cbranch_execz .LBB476_67
; %bb.66:                               ;   in Loop: Header=BB476_9 Depth=1
	v_fma_f32 v9, |v2|, s28, v51
	v_fma_f32 v9, |v2|, v9, s29
	;; [unrolled: 1-line block ×6, first 2 shown]
	v_fma_f32 v9, |v2|, v9, |v2|
	v_mul_f32_e32 v10, 0xbfb8aa3b, v9
	v_fma_f32 v12, v9, s35, -v10
	v_rndne_f32_e32 v13, v10
	v_fmac_f32_e32 v12, 0xb2a5705f, v9
	v_sub_f32_e32 v10, v10, v13
	v_add_f32_e32 v10, v10, v12
	v_cvt_i32_f32_e32 v12, v13
	v_exp_f32_e32 v10, v10
	v_cmp_nlt_f32_e32 vcc, s36, v9
	v_ldexp_f32 v10, v10, v12
	s_nop 0
	v_cndmask_b32_e32 v10, 0, v10, vcc
	v_cmp_ngt_f32_e32 vcc, s37, v9
	s_nop 1
	v_cndmask_b32_e32 v9, v52, v10, vcc
	v_sub_f32_e32 v12, 1.0, v9
.LBB476_67:                             ;   in Loop: Header=BB476_9 Depth=1
	s_andn2_saveexec_b64 s[14:15], s[14:15]
; %bb.68:                               ;   in Loop: Header=BB476_9 Depth=1
	v_mul_f32_e32 v9, v2, v2
	v_fmamk_f32 v10, v9, 0xba1345e1, v50
	v_fmaak_f32 v10, v9, v10, 0xbcdac9b8
	v_fmaak_f32 v10, v9, v10, 0x3de703be
	;; [unrolled: 1-line block ×4, first 2 shown]
	v_fma_f32 v12, |v2|, v9, |v2|
; %bb.69:                               ;   in Loop: Header=BB476_9 Depth=1
	s_or_b64 exec, exec, s[14:15]
	v_cvt_f32_f16_sdwa v9, v11 dst_sel:DWORD dst_unused:UNUSED_PAD src0_sel:WORD_1
                                        ; implicit-def: $vgpr11
	v_add_f32_e32 v9, v15, v9
	v_mul_f32_e32 v10, 0x3f3504f3, v9
	v_cmp_nlt_f32_e64 s[14:15], |v10|, 1.0
	s_and_saveexec_b64 s[40:41], s[14:15]
	s_xor_b64 s[14:15], exec, s[40:41]
	s_cbranch_execz .LBB476_71
; %bb.70:                               ;   in Loop: Header=BB476_9 Depth=1
	v_fma_f32 v11, |v10|, s28, v51
	v_fma_f32 v11, |v10|, v11, s29
	;; [unrolled: 1-line block ×6, first 2 shown]
	v_fma_f32 v11, |v10|, v11, |v10|
	v_mul_f32_e32 v13, 0xbfb8aa3b, v11
	v_fma_f32 v14, v11, s35, -v13
	v_rndne_f32_e32 v15, v13
	v_fmac_f32_e32 v14, 0xb2a5705f, v11
	v_sub_f32_e32 v13, v13, v15
	v_add_f32_e32 v13, v13, v14
	v_cvt_i32_f32_e32 v14, v15
	v_exp_f32_e32 v13, v13
	v_cmp_nlt_f32_e32 vcc, s36, v11
	v_ldexp_f32 v13, v13, v14
	s_nop 0
	v_cndmask_b32_e32 v13, 0, v13, vcc
	v_cmp_ngt_f32_e32 vcc, s37, v11
	s_nop 1
	v_cndmask_b32_e32 v11, v52, v13, vcc
	v_sub_f32_e32 v11, 1.0, v11
.LBB476_71:                             ;   in Loop: Header=BB476_9 Depth=1
	s_andn2_saveexec_b64 s[14:15], s[14:15]
	s_cbranch_execz .LBB476_8
; %bb.72:                               ;   in Loop: Header=BB476_9 Depth=1
	v_mul_f32_e32 v11, v10, v10
	v_fmamk_f32 v13, v11, 0xba1345e1, v50
	v_fmaak_f32 v13, v11, v13, 0xbcdac9b8
	v_fmaak_f32 v13, v11, v13, 0x3de703be
	;; [unrolled: 1-line block ×4, first 2 shown]
	v_fma_f32 v11, |v10|, v11, |v10|
	s_branch .LBB476_8
.LBB476_73:
	s_endpgm
	.section	.rodata,"a",@progbits
	.p2align	6, 0x0
	.amdhsa_kernel _ZN5aiter23act_and_mul_bias_kernelIDF16_DF16_lfTnPFfRKT2_EXadL_ZNS_11gelu_kernelIfEEfRKT_EELi16EEEvPT0_PS8_PKT1_PS2_il
		.amdhsa_group_segment_fixed_size 0
		.amdhsa_private_segment_fixed_size 0
		.amdhsa_kernarg_size 304
		.amdhsa_user_sgpr_count 2
		.amdhsa_user_sgpr_dispatch_ptr 0
		.amdhsa_user_sgpr_queue_ptr 0
		.amdhsa_user_sgpr_kernarg_segment_ptr 1
		.amdhsa_user_sgpr_dispatch_id 0
		.amdhsa_user_sgpr_kernarg_preload_length 0
		.amdhsa_user_sgpr_kernarg_preload_offset 0
		.amdhsa_user_sgpr_private_segment_size 0
		.amdhsa_uses_dynamic_stack 0
		.amdhsa_enable_private_segment 0
		.amdhsa_system_sgpr_workgroup_id_x 1
		.amdhsa_system_sgpr_workgroup_id_y 0
		.amdhsa_system_sgpr_workgroup_id_z 0
		.amdhsa_system_sgpr_workgroup_info 0
		.amdhsa_system_vgpr_workitem_id 0
		.amdhsa_next_free_vgpr 60
		.amdhsa_next_free_sgpr 42
		.amdhsa_accum_offset 60
		.amdhsa_reserve_vcc 1
		.amdhsa_float_round_mode_32 0
		.amdhsa_float_round_mode_16_64 0
		.amdhsa_float_denorm_mode_32 3
		.amdhsa_float_denorm_mode_16_64 3
		.amdhsa_dx10_clamp 1
		.amdhsa_ieee_mode 1
		.amdhsa_fp16_overflow 0
		.amdhsa_tg_split 0
		.amdhsa_exception_fp_ieee_invalid_op 0
		.amdhsa_exception_fp_denorm_src 0
		.amdhsa_exception_fp_ieee_div_zero 0
		.amdhsa_exception_fp_ieee_overflow 0
		.amdhsa_exception_fp_ieee_underflow 0
		.amdhsa_exception_fp_ieee_inexact 0
		.amdhsa_exception_int_div_zero 0
	.end_amdhsa_kernel
	.section	.text._ZN5aiter23act_and_mul_bias_kernelIDF16_DF16_lfTnPFfRKT2_EXadL_ZNS_11gelu_kernelIfEEfRKT_EELi16EEEvPT0_PS8_PKT1_PS2_il,"axG",@progbits,_ZN5aiter23act_and_mul_bias_kernelIDF16_DF16_lfTnPFfRKT2_EXadL_ZNS_11gelu_kernelIfEEfRKT_EELi16EEEvPT0_PS8_PKT1_PS2_il,comdat
.Lfunc_end476:
	.size	_ZN5aiter23act_and_mul_bias_kernelIDF16_DF16_lfTnPFfRKT2_EXadL_ZNS_11gelu_kernelIfEEfRKT_EELi16EEEvPT0_PS8_PKT1_PS2_il, .Lfunc_end476-_ZN5aiter23act_and_mul_bias_kernelIDF16_DF16_lfTnPFfRKT2_EXadL_ZNS_11gelu_kernelIfEEfRKT_EELi16EEEvPT0_PS8_PKT1_PS2_il
                                        ; -- End function
	.section	.AMDGPU.csdata,"",@progbits
; Kernel info:
; codeLenInByte = 5248
; NumSgprs: 48
; NumVgprs: 60
; NumAgprs: 0
; TotalNumVgprs: 60
; ScratchSize: 0
; MemoryBound: 0
; FloatMode: 240
; IeeeMode: 1
; LDSByteSize: 0 bytes/workgroup (compile time only)
; SGPRBlocks: 5
; VGPRBlocks: 7
; NumSGPRsForWavesPerEU: 48
; NumVGPRsForWavesPerEU: 60
; AccumOffset: 60
; Occupancy: 8
; WaveLimiterHint : 0
; COMPUTE_PGM_RSRC2:SCRATCH_EN: 0
; COMPUTE_PGM_RSRC2:USER_SGPR: 2
; COMPUTE_PGM_RSRC2:TRAP_HANDLER: 0
; COMPUTE_PGM_RSRC2:TGID_X_EN: 1
; COMPUTE_PGM_RSRC2:TGID_Y_EN: 0
; COMPUTE_PGM_RSRC2:TGID_Z_EN: 0
; COMPUTE_PGM_RSRC2:TIDIG_COMP_CNT: 0
; COMPUTE_PGM_RSRC3_GFX90A:ACCUM_OFFSET: 14
; COMPUTE_PGM_RSRC3_GFX90A:TG_SPLIT: 0
	.section	.text._ZN5aiter23act_and_mul_bias_kernelIDF16_DF16_lfTnPFfRKT2_EXadL_ZNS_11gelu_kernelIfEEfRKT_EELi8EEEvPT0_PS8_PKT1_PS2_il,"axG",@progbits,_ZN5aiter23act_and_mul_bias_kernelIDF16_DF16_lfTnPFfRKT2_EXadL_ZNS_11gelu_kernelIfEEfRKT_EELi8EEEvPT0_PS8_PKT1_PS2_il,comdat
	.protected	_ZN5aiter23act_and_mul_bias_kernelIDF16_DF16_lfTnPFfRKT2_EXadL_ZNS_11gelu_kernelIfEEfRKT_EELi8EEEvPT0_PS8_PKT1_PS2_il ; -- Begin function _ZN5aiter23act_and_mul_bias_kernelIDF16_DF16_lfTnPFfRKT2_EXadL_ZNS_11gelu_kernelIfEEfRKT_EELi8EEEvPT0_PS8_PKT1_PS2_il
	.globl	_ZN5aiter23act_and_mul_bias_kernelIDF16_DF16_lfTnPFfRKT2_EXadL_ZNS_11gelu_kernelIfEEfRKT_EELi8EEEvPT0_PS8_PKT1_PS2_il
	.p2align	8
	.type	_ZN5aiter23act_and_mul_bias_kernelIDF16_DF16_lfTnPFfRKT2_EXadL_ZNS_11gelu_kernelIfEEfRKT_EELi8EEEvPT0_PS8_PKT1_PS2_il,@function
_ZN5aiter23act_and_mul_bias_kernelIDF16_DF16_lfTnPFfRKT2_EXadL_ZNS_11gelu_kernelIfEEfRKT_EELi8EEEvPT0_PS8_PKT1_PS2_il: ; @_ZN5aiter23act_and_mul_bias_kernelIDF16_DF16_lfTnPFfRKT2_EXadL_ZNS_11gelu_kernelIfEEfRKT_EELi8EEEvPT0_PS8_PKT1_PS2_il
; %bb.0:
	s_load_dword s24, s[0:1], 0x20
	s_load_dwordx2 s[4:5], s[0:1], 0x0
	s_load_dwordx2 s[6:7], s[0:1], 0x10
	;; [unrolled: 1-line block ×3, first 2 shown]
	s_mov_b32 s3, 0
	s_waitcnt lgkmcnt(0)
	s_ashr_i32 s25, s24, 31
	s_lshl_b64 s[8:9], s[2:3], 3
	s_add_u32 s6, s6, s8
	s_addc_u32 s7, s7, s9
	s_add_i32 s3, s24, 1
	s_load_dwordx2 s[8:9], s[6:7], 0x0
	s_lshr_b32 s6, s3, 31
	s_add_i32 s3, s3, s6
	s_lshl_b32 s3, s3, 1
	s_and_b32 s6, s3, -4
	s_mul_hi_u32 s3, s24, s2
	s_mul_i32 s7, s25, s2
	s_add_i32 s11, s3, s7
	s_mul_i32 s10, s24, s2
	s_lshl_b64 s[10:11], s[10:11], 1
	v_mov_b64_e32 v[2:3], s[12:13]
	s_add_u32 s4, s4, s10
	s_waitcnt lgkmcnt(0)
	v_cmp_gt_i64_e64 s[14:15], s[8:9], -1
	v_cmp_lt_i64_e32 vcc, s[8:9], v[2:3]
	s_addc_u32 s3, s5, s11
	s_and_b64 s[12:13], s[14:15], vcc
	s_and_b32 s5, s3, 0xffff
	s_mov_b64 s[10:11], -1
	s_and_b64 vcc, exec, s[12:13]
	v_lshlrev_b32_e32 v24, 3, v0
	s_cbranch_vccnz .LBB477_5
; %bb.1:
	v_cmp_gt_i32_e32 vcc, s24, v24
	s_and_saveexec_b64 s[10:11], vcc
	s_cbranch_execz .LBB477_4
; %bb.2:
	s_load_dword s3, s[0:1], 0x3c
	v_mov_b32_e32 v25, 0
	s_mov_b32 s13, 0
	v_lshlrev_b32_e32 v6, 4, v0
	s_mov_b64 s[14:15], 0
	s_waitcnt lgkmcnt(0)
	s_and_b32 s3, s3, 0xffff
	s_lshl_b32 s12, s3, 3
	s_lshl_b32 s3, s3, 4
	s_mov_b32 s7, 0x20000
	v_mov_b32_e32 v0, v25
	v_mov_b32_e32 v1, v25
	;; [unrolled: 1-line block ×4, first 2 shown]
	v_mov_b64_e32 v[4:5], v[24:25]
.LBB477_3:                              ; =>This Inner Loop Header: Depth=1
	v_lshl_add_u64 v[4:5], s[12:13], 0, v[4:5]
	v_cmp_le_i64_e32 vcc, s[24:25], v[4:5]
	buffer_store_dwordx4 v[0:3], v6, s[4:7], 0 offen
	s_or_b64 s[14:15], vcc, s[14:15]
	v_add_u32_e32 v6, s3, v6
	s_andn2_b64 exec, exec, s[14:15]
	s_cbranch_execnz .LBB477_3
.LBB477_4:
	s_or_b64 exec, exec, s[10:11]
	s_mov_b64 s[10:11], 0
.LBB477_5:
	s_andn2_b64 vcc, exec, s[10:11]
	s_cbranch_vccnz .LBB477_41
; %bb.6:
	v_cmp_gt_i32_e32 vcc, s24, v24
	s_and_saveexec_b64 s[10:11], vcc
	s_cbranch_execz .LBB477_41
; %bb.7:
	s_load_dwordx2 s[14:15], s[0:1], 0x8
	s_load_dwordx2 s[10:11], s[0:1], 0x18
	s_mul_i32 s3, s24, s9
	s_mul_hi_u32 s7, s24, s8
	s_add_i32 s3, s7, s3
	s_mul_i32 s7, s25, s8
	s_add_i32 s9, s3, s7
	s_mul_i32 s8, s24, s8
	s_lshl_b64 s[8:9], s[8:9], 3
	s_waitcnt lgkmcnt(0)
	s_add_u32 s8, s10, s8
	s_addc_u32 s3, s11, s9
	s_lshl_b64 s[10:11], s[24:25], 2
	s_add_u32 s12, s8, s10
	s_addc_u32 s13, s3, s11
	s_and_b32 s9, s3, 0xffff
	s_mul_i32 s3, s2, s25
	s_mul_hi_u32 s16, s2, s24
	s_add_i32 s3, s16, s3
	s_mul_i32 s2, s2, s24
	s_lshl_b32 s10, s24, 2
	s_and_b32 s13, s13, 0xffff
	s_lshl_b64 s[2:3], s[2:3], 2
	s_add_u32 s16, s14, s2
	s_addc_u32 s14, s15, s3
	s_lshl_b64 s[2:3], s[24:25], 1
	s_add_u32 s20, s16, s2
	s_addc_u32 s2, s14, s3
	s_and_b32 s17, s14, 0xffff
	s_and_b32 s21, s2, 0xffff
	s_mov_b32 s7, 0x20000
	s_add_u32 s0, s0, 48
	s_mov_b32 s11, s7
	s_mov_b64 s[22:23], s[6:7]
	v_mov_b32_e32 v25, 0
	s_addc_u32 s1, s1, 0
	s_mov_b64 s[2:3], 0
	s_mov_b32 s27, 0
	s_mov_b32 s28, 0x378e98ab
	s_mov_b32 s29, 0x3b7cd369
	s_mov_b32 s30, 0xbcc618b2
	s_mov_b32 s31, 0x3dda74e4
	s_mov_b32 s33, 0x3f228afd
	s_mov_b32 s34, 0x3e03c728
	s_mov_b32 s35, 0xbfb8aa3b
	s_mov_b32 s36, 0x42ce8ed0
	s_mov_b32 s37, 0xc2b17218
	v_mov_b32_e32 v26, 0x3ba10414
	s_brev_b32 s38, -2
	s_mov_b32 s18, s6
	s_mov_b32 s19, s7
	v_mov_b32_e32 v27, 0xb9c68948
	v_mov_b32_e32 v28, 0x7f800000
                                        ; implicit-def: $vgpr0
                                        ; implicit-def: $vgpr0
	;; [unrolled: 1-line block ×4, first 2 shown]
	s_branch .LBB477_9
.LBB477_8:                              ;   in Loop: Header=BB477_9 Depth=1
	s_or_b64 exec, exec, s[14:15]
	v_cvt_f32_f16_sdwa v13, v3 dst_sel:DWORD dst_unused:UNUSED_PAD src0_sel:WORD_1
	v_cvt_f32_f16_e32 v3, v3
	v_bfi_b32 v2, s38, v9, v2
	v_mul_f32_e32 v8, 0.5, v8
	v_add_f32_e32 v2, 1.0, v2
	v_add_f32_e32 v6, v6, v3
	v_mul_f32_e32 v3, 0.5, v10
	v_bfi_b32 v10, s38, v12, v11
	v_add_f32_e32 v10, 1.0, v10
	v_mul_f32_e32 v2, v8, v2
	v_mul_f32_e32 v3, v3, v10
	v_add_f32_e32 v7, v7, v13
	;;#ASMSTART
	v_pk_mul_f32 v[2:3], v[2:3], v[6:7]
	;;#ASMEND
	s_load_dword s14, s[0:1], 0xc
	v_cvt_f16_f32_e32 v8, v16
	v_cvt_f16_f32_e32 v9, v17
	;; [unrolled: 1-line block ×8, first 2 shown]
	s_waitcnt lgkmcnt(0)
	s_and_b32 s14, s14, 0xffff
	s_lshl_b32 s26, s14, 3
	v_lshl_add_u64 v[24:25], s[26:27], 0, v[24:25]
	v_cmp_le_i64_e32 vcc, s[24:25], v[24:25]
	v_pack_b32_f16 v3, v2, v3
	v_pack_b32_f16 v2, v4, v5
	;; [unrolled: 1-line block ×4, first 2 shown]
	s_or_b64 s[2:3], vcc, s[2:3]
	buffer_store_dwordx4 v[0:3], v29, s[4:7], 0 offen
	s_andn2_b64 exec, exec, s[2:3]
	s_cbranch_execz .LBB477_41
.LBB477_9:                              ; =>This Inner Loop Header: Depth=1
	v_lshlrev_b32_e32 v29, 1, v24
	buffer_load_dwordx4 v[8:11], v29, s[16:19], 0 offen
	buffer_load_dwordx4 v[0:3], v29, s[20:23], 0 offen
	v_lshlrev_b32_e32 v30, 2, v24
	buffer_load_dwordx4 v[20:23], v30, s[8:11], 0 offen
	buffer_load_dwordx4 v[12:15], v30, s[8:11], 16 offen
	s_mov_b32 s14, s10
	s_mov_b32 s15, s11
	buffer_load_dwordx4 v[16:19], v30, s[12:15], 0 offen
	buffer_load_dwordx4 v[4:7], v30, s[12:15], 16 offen
                                        ; implicit-def: $vgpr31
	s_waitcnt vmcnt(5)
	v_cvt_f32_f16_e32 v30, v8
	s_waitcnt vmcnt(3)
	v_add_f32_e32 v20, v20, v30
	v_mul_f32_e32 v30, 0x3f3504f3, v20
	v_cmp_nlt_f32_e64 s[14:15], |v30|, 1.0
	s_and_saveexec_b64 s[40:41], s[14:15]
	s_xor_b64 s[14:15], exec, s[40:41]
	s_cbranch_execz .LBB477_11
; %bb.10:                               ;   in Loop: Header=BB477_9 Depth=1
	v_fma_f32 v31, |v30|, s28, v27
	v_fma_f32 v31, |v30|, v31, s29
	;; [unrolled: 1-line block ×6, first 2 shown]
	v_fma_f32 v31, |v30|, v31, |v30|
	v_mul_f32_e32 v32, 0xbfb8aa3b, v31
	v_fma_f32 v33, v31, s35, -v32
	v_rndne_f32_e32 v34, v32
	v_fmac_f32_e32 v33, 0xb2a5705f, v31
	v_sub_f32_e32 v32, v32, v34
	v_add_f32_e32 v32, v32, v33
	v_cvt_i32_f32_e32 v33, v34
	v_exp_f32_e32 v32, v32
	v_cmp_nlt_f32_e32 vcc, s36, v31
	v_ldexp_f32 v32, v32, v33
	s_nop 0
	v_cndmask_b32_e32 v32, 0, v32, vcc
	v_cmp_ngt_f32_e32 vcc, s37, v31
	s_nop 1
	v_cndmask_b32_e32 v31, v28, v32, vcc
	v_sub_f32_e32 v31, 1.0, v31
.LBB477_11:                             ;   in Loop: Header=BB477_9 Depth=1
	s_andn2_saveexec_b64 s[14:15], s[14:15]
; %bb.12:                               ;   in Loop: Header=BB477_9 Depth=1
	v_mul_f32_e32 v31, v30, v30
	v_fmamk_f32 v32, v31, 0xba1345e1, v26
	v_fmaak_f32 v32, v31, v32, 0xbcdac9b8
	v_fmaak_f32 v32, v31, v32, 0x3de703be
	;; [unrolled: 1-line block ×4, first 2 shown]
	v_fma_f32 v31, |v30|, v31, |v30|
; %bb.13:                               ;   in Loop: Header=BB477_9 Depth=1
	s_or_b64 exec, exec, s[14:15]
	v_cvt_f32_f16_sdwa v8, v8 dst_sel:DWORD dst_unused:UNUSED_PAD src0_sel:WORD_1
                                        ; implicit-def: $vgpr32
	v_add_f32_e32 v8, v21, v8
	v_mul_f32_e32 v21, 0x3f3504f3, v8
	v_cmp_nlt_f32_e64 s[14:15], |v21|, 1.0
	s_and_saveexec_b64 s[40:41], s[14:15]
	s_xor_b64 s[14:15], exec, s[40:41]
	s_cbranch_execz .LBB477_15
; %bb.14:                               ;   in Loop: Header=BB477_9 Depth=1
	v_fma_f32 v32, |v21|, s28, v27
	v_fma_f32 v32, |v21|, v32, s29
	;; [unrolled: 1-line block ×6, first 2 shown]
	v_fma_f32 v32, |v21|, v32, |v21|
	v_mul_f32_e32 v33, 0xbfb8aa3b, v32
	v_fma_f32 v34, v32, s35, -v33
	v_rndne_f32_e32 v35, v33
	v_fmac_f32_e32 v34, 0xb2a5705f, v32
	v_sub_f32_e32 v33, v33, v35
	v_add_f32_e32 v33, v33, v34
	v_cvt_i32_f32_e32 v34, v35
	v_exp_f32_e32 v33, v33
	v_cmp_nlt_f32_e32 vcc, s36, v32
	v_ldexp_f32 v33, v33, v34
	s_nop 0
	v_cndmask_b32_e32 v33, 0, v33, vcc
	v_cmp_ngt_f32_e32 vcc, s37, v32
	s_nop 1
	v_cndmask_b32_e32 v32, v28, v33, vcc
	v_sub_f32_e32 v32, 1.0, v32
.LBB477_15:                             ;   in Loop: Header=BB477_9 Depth=1
	s_andn2_saveexec_b64 s[14:15], s[14:15]
; %bb.16:                               ;   in Loop: Header=BB477_9 Depth=1
	v_mul_f32_e32 v32, v21, v21
	v_fmamk_f32 v33, v32, 0xba1345e1, v26
	v_fmaak_f32 v33, v32, v33, 0xbcdac9b8
	v_fmaak_f32 v33, v32, v33, 0x3de703be
	v_fmaak_f32 v33, v32, v33, 0xbec09330
	v_fmaak_f32 v32, v32, v33, 0x3e0375d0
	v_fma_f32 v32, |v21|, v32, |v21|
; %bb.17:                               ;   in Loop: Header=BB477_9 Depth=1
	s_or_b64 exec, exec, s[14:15]
	v_bfi_b32 v30, s38, v31, v30
	v_cvt_f32_f16_sdwa v31, v0 dst_sel:DWORD dst_unused:UNUSED_PAD src0_sel:WORD_1
	v_cvt_f32_f16_e32 v0, v0
	v_mul_f32_e32 v20, 0.5, v20
	v_add_f32_e32 v30, 1.0, v30
	v_mul_f32_e32 v20, v20, v30
	v_cvt_f32_f16_e32 v30, v9
	s_waitcnt vmcnt(1)
	v_add_f32_e32 v16, v16, v0
	v_mul_f32_e32 v0, 0.5, v8
	v_bfi_b32 v8, s38, v32, v21
	v_add_f32_e32 v8, 1.0, v8
	v_mul_f32_e32 v21, v0, v8
	v_add_f32_e32 v0, v22, v30
	v_mul_f32_e32 v8, 0x3f3504f3, v0
	v_add_f32_e32 v17, v17, v31
	v_cmp_nlt_f32_e64 s[14:15], |v8|, 1.0
	;;#ASMSTART
	v_pk_mul_f32 v[16:17], v[20:21], v[16:17]
	;;#ASMEND
                                        ; implicit-def: $vgpr20
	s_and_saveexec_b64 s[40:41], s[14:15]
	s_xor_b64 s[14:15], exec, s[40:41]
	s_cbranch_execz .LBB477_19
; %bb.18:                               ;   in Loop: Header=BB477_9 Depth=1
	v_fma_f32 v20, |v8|, s28, v27
	v_fma_f32 v20, |v8|, v20, s29
	;; [unrolled: 1-line block ×6, first 2 shown]
	v_fma_f32 v20, |v8|, v20, |v8|
	v_mul_f32_e32 v21, 0xbfb8aa3b, v20
	v_fma_f32 v22, v20, s35, -v21
	v_rndne_f32_e32 v30, v21
	v_fmac_f32_e32 v22, 0xb2a5705f, v20
	v_sub_f32_e32 v21, v21, v30
	v_add_f32_e32 v21, v21, v22
	v_cvt_i32_f32_e32 v22, v30
	v_exp_f32_e32 v21, v21
	v_cmp_nlt_f32_e32 vcc, s36, v20
	v_ldexp_f32 v21, v21, v22
	s_nop 0
	v_cndmask_b32_e32 v21, 0, v21, vcc
	v_cmp_ngt_f32_e32 vcc, s37, v20
	s_nop 1
	v_cndmask_b32_e32 v20, v28, v21, vcc
	v_sub_f32_e32 v20, 1.0, v20
.LBB477_19:                             ;   in Loop: Header=BB477_9 Depth=1
	s_andn2_saveexec_b64 s[14:15], s[14:15]
; %bb.20:                               ;   in Loop: Header=BB477_9 Depth=1
	v_mul_f32_e32 v20, v8, v8
	v_fmamk_f32 v21, v20, 0xba1345e1, v26
	v_fmaak_f32 v21, v20, v21, 0xbcdac9b8
	v_fmaak_f32 v21, v20, v21, 0x3de703be
	;; [unrolled: 1-line block ×4, first 2 shown]
	v_fma_f32 v20, |v8|, v20, |v8|
; %bb.21:                               ;   in Loop: Header=BB477_9 Depth=1
	s_or_b64 exec, exec, s[14:15]
	v_cvt_f32_f16_sdwa v9, v9 dst_sel:DWORD dst_unused:UNUSED_PAD src0_sel:WORD_1
                                        ; implicit-def: $vgpr22
	v_add_f32_e32 v9, v23, v9
	v_mul_f32_e32 v21, 0x3f3504f3, v9
	v_cmp_nlt_f32_e64 s[14:15], |v21|, 1.0
	s_and_saveexec_b64 s[40:41], s[14:15]
	s_xor_b64 s[14:15], exec, s[40:41]
	s_cbranch_execz .LBB477_23
; %bb.22:                               ;   in Loop: Header=BB477_9 Depth=1
	v_fma_f32 v22, |v21|, s28, v27
	v_fma_f32 v22, |v21|, v22, s29
	;; [unrolled: 1-line block ×6, first 2 shown]
	v_fma_f32 v22, |v21|, v22, |v21|
	v_mul_f32_e32 v23, 0xbfb8aa3b, v22
	v_fma_f32 v30, v22, s35, -v23
	v_rndne_f32_e32 v31, v23
	v_fmac_f32_e32 v30, 0xb2a5705f, v22
	v_sub_f32_e32 v23, v23, v31
	v_add_f32_e32 v23, v23, v30
	v_cvt_i32_f32_e32 v30, v31
	v_exp_f32_e32 v23, v23
	v_cmp_nlt_f32_e32 vcc, s36, v22
	v_ldexp_f32 v23, v23, v30
	s_nop 0
	v_cndmask_b32_e32 v23, 0, v23, vcc
	v_cmp_ngt_f32_e32 vcc, s37, v22
	s_nop 1
	v_cndmask_b32_e32 v22, v28, v23, vcc
	v_sub_f32_e32 v22, 1.0, v22
.LBB477_23:                             ;   in Loop: Header=BB477_9 Depth=1
	s_andn2_saveexec_b64 s[14:15], s[14:15]
; %bb.24:                               ;   in Loop: Header=BB477_9 Depth=1
	v_mul_f32_e32 v22, v21, v21
	v_fmamk_f32 v23, v22, 0xba1345e1, v26
	v_fmaak_f32 v23, v22, v23, 0xbcdac9b8
	v_fmaak_f32 v23, v22, v23, 0x3de703be
	;; [unrolled: 1-line block ×4, first 2 shown]
	v_fma_f32 v22, |v21|, v22, |v21|
; %bb.25:                               ;   in Loop: Header=BB477_9 Depth=1
	s_or_b64 exec, exec, s[14:15]
	v_bfi_b32 v8, s38, v20, v8
	v_cvt_f32_f16_sdwa v20, v1 dst_sel:DWORD dst_unused:UNUSED_PAD src0_sel:WORD_1
	v_cvt_f32_f16_e32 v1, v1
	v_mul_f32_e32 v0, 0.5, v0
	v_add_f32_e32 v8, 1.0, v8
	v_mul_f32_e32 v0, v0, v8
	v_add_f32_e32 v18, v18, v1
	v_mul_f32_e32 v1, 0.5, v9
	v_cvt_f32_f16_e32 v9, v10
	v_bfi_b32 v8, s38, v22, v21
	v_add_f32_e32 v8, 1.0, v8
	v_mul_f32_e32 v1, v1, v8
	v_add_f32_e32 v8, v12, v9
	v_mul_f32_e32 v9, 0x3f3504f3, v8
	v_cmp_nlt_f32_e64 s[14:15], |v9|, 1.0
	v_add_f32_e32 v19, v19, v20
	;;#ASMSTART
	v_pk_mul_f32 v[0:1], v[0:1], v[18:19]
	;;#ASMEND
                                        ; implicit-def: $vgpr12
	s_and_saveexec_b64 s[40:41], s[14:15]
	s_xor_b64 s[14:15], exec, s[40:41]
	s_cbranch_execz .LBB477_27
; %bb.26:                               ;   in Loop: Header=BB477_9 Depth=1
	v_fma_f32 v12, |v9|, s28, v27
	v_fma_f32 v12, |v9|, v12, s29
	;; [unrolled: 1-line block ×6, first 2 shown]
	v_fma_f32 v12, |v9|, v12, |v9|
	v_mul_f32_e32 v18, 0xbfb8aa3b, v12
	v_fma_f32 v19, v12, s35, -v18
	v_rndne_f32_e32 v20, v18
	v_fmac_f32_e32 v19, 0xb2a5705f, v12
	v_sub_f32_e32 v18, v18, v20
	v_add_f32_e32 v18, v18, v19
	v_cvt_i32_f32_e32 v19, v20
	v_exp_f32_e32 v18, v18
	v_cmp_nlt_f32_e32 vcc, s36, v12
	v_ldexp_f32 v18, v18, v19
	s_nop 0
	v_cndmask_b32_e32 v18, 0, v18, vcc
	v_cmp_ngt_f32_e32 vcc, s37, v12
	s_nop 1
	v_cndmask_b32_e32 v12, v28, v18, vcc
	v_sub_f32_e32 v12, 1.0, v12
.LBB477_27:                             ;   in Loop: Header=BB477_9 Depth=1
	s_andn2_saveexec_b64 s[14:15], s[14:15]
; %bb.28:                               ;   in Loop: Header=BB477_9 Depth=1
	v_mul_f32_e32 v12, v9, v9
	v_fmamk_f32 v18, v12, 0xba1345e1, v26
	v_fmaak_f32 v18, v12, v18, 0xbcdac9b8
	v_fmaak_f32 v18, v12, v18, 0x3de703be
	;; [unrolled: 1-line block ×4, first 2 shown]
	v_fma_f32 v12, |v9|, v12, |v9|
; %bb.29:                               ;   in Loop: Header=BB477_9 Depth=1
	s_or_b64 exec, exec, s[14:15]
	v_cvt_f32_f16_sdwa v10, v10 dst_sel:DWORD dst_unused:UNUSED_PAD src0_sel:WORD_1
                                        ; implicit-def: $vgpr18
	v_add_f32_e32 v10, v13, v10
	v_mul_f32_e32 v13, 0x3f3504f3, v10
	v_cmp_nlt_f32_e64 s[14:15], |v13|, 1.0
	s_and_saveexec_b64 s[40:41], s[14:15]
	s_xor_b64 s[14:15], exec, s[40:41]
	s_cbranch_execz .LBB477_31
; %bb.30:                               ;   in Loop: Header=BB477_9 Depth=1
	v_fma_f32 v18, |v13|, s28, v27
	v_fma_f32 v18, |v13|, v18, s29
	;; [unrolled: 1-line block ×6, first 2 shown]
	v_fma_f32 v18, |v13|, v18, |v13|
	v_mul_f32_e32 v19, 0xbfb8aa3b, v18
	v_fma_f32 v20, v18, s35, -v19
	v_rndne_f32_e32 v21, v19
	v_fmac_f32_e32 v20, 0xb2a5705f, v18
	v_sub_f32_e32 v19, v19, v21
	v_add_f32_e32 v19, v19, v20
	v_cvt_i32_f32_e32 v20, v21
	v_exp_f32_e32 v19, v19
	v_cmp_nlt_f32_e32 vcc, s36, v18
	v_ldexp_f32 v19, v19, v20
	s_nop 0
	v_cndmask_b32_e32 v19, 0, v19, vcc
	v_cmp_ngt_f32_e32 vcc, s37, v18
	s_nop 1
	v_cndmask_b32_e32 v18, v28, v19, vcc
	v_sub_f32_e32 v18, 1.0, v18
.LBB477_31:                             ;   in Loop: Header=BB477_9 Depth=1
	s_andn2_saveexec_b64 s[14:15], s[14:15]
; %bb.32:                               ;   in Loop: Header=BB477_9 Depth=1
	v_mul_f32_e32 v18, v13, v13
	v_fmamk_f32 v19, v18, 0xba1345e1, v26
	v_fmaak_f32 v19, v18, v19, 0xbcdac9b8
	v_fmaak_f32 v19, v18, v19, 0x3de703be
	;; [unrolled: 1-line block ×4, first 2 shown]
	v_fma_f32 v18, |v13|, v18, |v13|
; %bb.33:                               ;   in Loop: Header=BB477_9 Depth=1
	s_or_b64 exec, exec, s[14:15]
	v_bfi_b32 v9, s38, v12, v9
	v_cvt_f32_f16_sdwa v12, v2 dst_sel:DWORD dst_unused:UNUSED_PAD src0_sel:WORD_1
	v_cvt_f32_f16_e32 v2, v2
	v_mul_f32_e32 v8, 0.5, v8
	v_add_f32_e32 v9, 1.0, v9
	v_mul_f32_e32 v8, v8, v9
	s_waitcnt vmcnt(0)
	v_add_f32_e32 v4, v4, v2
	v_mul_f32_e32 v2, 0.5, v10
	v_cvt_f32_f16_e32 v10, v11
	v_bfi_b32 v9, s38, v18, v13
	v_add_f32_e32 v5, v5, v12
	v_add_f32_e32 v9, 1.0, v9
	v_mul_f32_e32 v9, v2, v9
	;;#ASMSTART
	v_pk_mul_f32 v[4:5], v[8:9], v[4:5]
	;;#ASMEND
	v_add_f32_e32 v8, v14, v10
	v_mul_f32_e32 v2, 0x3f3504f3, v8
	v_cmp_nlt_f32_e64 s[14:15], |v2|, 1.0
                                        ; implicit-def: $vgpr9
	s_and_saveexec_b64 s[40:41], s[14:15]
	s_xor_b64 s[14:15], exec, s[40:41]
	s_cbranch_execz .LBB477_35
; %bb.34:                               ;   in Loop: Header=BB477_9 Depth=1
	v_fma_f32 v9, |v2|, s28, v27
	v_fma_f32 v9, |v2|, v9, s29
	;; [unrolled: 1-line block ×6, first 2 shown]
	v_fma_f32 v9, |v2|, v9, |v2|
	v_mul_f32_e32 v10, 0xbfb8aa3b, v9
	v_fma_f32 v12, v9, s35, -v10
	v_rndne_f32_e32 v13, v10
	v_fmac_f32_e32 v12, 0xb2a5705f, v9
	v_sub_f32_e32 v10, v10, v13
	v_add_f32_e32 v10, v10, v12
	v_cvt_i32_f32_e32 v12, v13
	v_exp_f32_e32 v10, v10
	v_cmp_nlt_f32_e32 vcc, s36, v9
	v_ldexp_f32 v10, v10, v12
	s_nop 0
	v_cndmask_b32_e32 v10, 0, v10, vcc
	v_cmp_ngt_f32_e32 vcc, s37, v9
	s_nop 1
	v_cndmask_b32_e32 v9, v28, v10, vcc
	v_sub_f32_e32 v9, 1.0, v9
.LBB477_35:                             ;   in Loop: Header=BB477_9 Depth=1
	s_andn2_saveexec_b64 s[14:15], s[14:15]
; %bb.36:                               ;   in Loop: Header=BB477_9 Depth=1
	v_mul_f32_e32 v9, v2, v2
	v_fmamk_f32 v10, v9, 0xba1345e1, v26
	v_fmaak_f32 v10, v9, v10, 0xbcdac9b8
	v_fmaak_f32 v10, v9, v10, 0x3de703be
	;; [unrolled: 1-line block ×4, first 2 shown]
	v_fma_f32 v9, |v2|, v9, |v2|
; %bb.37:                               ;   in Loop: Header=BB477_9 Depth=1
	s_or_b64 exec, exec, s[14:15]
	v_cvt_f32_f16_sdwa v10, v11 dst_sel:DWORD dst_unused:UNUSED_PAD src0_sel:WORD_1
                                        ; implicit-def: $vgpr12
	v_add_f32_e32 v10, v15, v10
	v_mul_f32_e32 v11, 0x3f3504f3, v10
	v_cmp_nlt_f32_e64 s[14:15], |v11|, 1.0
	s_and_saveexec_b64 s[40:41], s[14:15]
	s_xor_b64 s[14:15], exec, s[40:41]
	s_cbranch_execz .LBB477_39
; %bb.38:                               ;   in Loop: Header=BB477_9 Depth=1
	v_fma_f32 v12, |v11|, s28, v27
	v_fma_f32 v12, |v11|, v12, s29
	;; [unrolled: 1-line block ×6, first 2 shown]
	v_fma_f32 v12, |v11|, v12, |v11|
	v_mul_f32_e32 v13, 0xbfb8aa3b, v12
	v_fma_f32 v14, v12, s35, -v13
	v_rndne_f32_e32 v15, v13
	v_fmac_f32_e32 v14, 0xb2a5705f, v12
	v_sub_f32_e32 v13, v13, v15
	v_add_f32_e32 v13, v13, v14
	v_cvt_i32_f32_e32 v14, v15
	v_exp_f32_e32 v13, v13
	v_cmp_nlt_f32_e32 vcc, s36, v12
	v_ldexp_f32 v13, v13, v14
	s_nop 0
	v_cndmask_b32_e32 v13, 0, v13, vcc
	v_cmp_ngt_f32_e32 vcc, s37, v12
	s_nop 1
	v_cndmask_b32_e32 v12, v28, v13, vcc
	v_sub_f32_e32 v12, 1.0, v12
.LBB477_39:                             ;   in Loop: Header=BB477_9 Depth=1
	s_andn2_saveexec_b64 s[14:15], s[14:15]
	s_cbranch_execz .LBB477_8
; %bb.40:                               ;   in Loop: Header=BB477_9 Depth=1
	v_mul_f32_e32 v12, v11, v11
	v_fmamk_f32 v13, v12, 0xba1345e1, v26
	v_fmaak_f32 v13, v12, v13, 0xbcdac9b8
	v_fmaak_f32 v13, v12, v13, 0x3de703be
	;; [unrolled: 1-line block ×4, first 2 shown]
	v_fma_f32 v12, |v11|, v12, |v11|
	s_branch .LBB477_8
.LBB477_41:
	s_endpgm
	.section	.rodata,"a",@progbits
	.p2align	6, 0x0
	.amdhsa_kernel _ZN5aiter23act_and_mul_bias_kernelIDF16_DF16_lfTnPFfRKT2_EXadL_ZNS_11gelu_kernelIfEEfRKT_EELi8EEEvPT0_PS8_PKT1_PS2_il
		.amdhsa_group_segment_fixed_size 0
		.amdhsa_private_segment_fixed_size 0
		.amdhsa_kernarg_size 304
		.amdhsa_user_sgpr_count 2
		.amdhsa_user_sgpr_dispatch_ptr 0
		.amdhsa_user_sgpr_queue_ptr 0
		.amdhsa_user_sgpr_kernarg_segment_ptr 1
		.amdhsa_user_sgpr_dispatch_id 0
		.amdhsa_user_sgpr_kernarg_preload_length 0
		.amdhsa_user_sgpr_kernarg_preload_offset 0
		.amdhsa_user_sgpr_private_segment_size 0
		.amdhsa_uses_dynamic_stack 0
		.amdhsa_enable_private_segment 0
		.amdhsa_system_sgpr_workgroup_id_x 1
		.amdhsa_system_sgpr_workgroup_id_y 0
		.amdhsa_system_sgpr_workgroup_id_z 0
		.amdhsa_system_sgpr_workgroup_info 0
		.amdhsa_system_vgpr_workitem_id 0
		.amdhsa_next_free_vgpr 36
		.amdhsa_next_free_sgpr 42
		.amdhsa_accum_offset 36
		.amdhsa_reserve_vcc 1
		.amdhsa_float_round_mode_32 0
		.amdhsa_float_round_mode_16_64 0
		.amdhsa_float_denorm_mode_32 3
		.amdhsa_float_denorm_mode_16_64 3
		.amdhsa_dx10_clamp 1
		.amdhsa_ieee_mode 1
		.amdhsa_fp16_overflow 0
		.amdhsa_tg_split 0
		.amdhsa_exception_fp_ieee_invalid_op 0
		.amdhsa_exception_fp_denorm_src 0
		.amdhsa_exception_fp_ieee_div_zero 0
		.amdhsa_exception_fp_ieee_overflow 0
		.amdhsa_exception_fp_ieee_underflow 0
		.amdhsa_exception_fp_ieee_inexact 0
		.amdhsa_exception_int_div_zero 0
	.end_amdhsa_kernel
	.section	.text._ZN5aiter23act_and_mul_bias_kernelIDF16_DF16_lfTnPFfRKT2_EXadL_ZNS_11gelu_kernelIfEEfRKT_EELi8EEEvPT0_PS8_PKT1_PS2_il,"axG",@progbits,_ZN5aiter23act_and_mul_bias_kernelIDF16_DF16_lfTnPFfRKT2_EXadL_ZNS_11gelu_kernelIfEEfRKT_EELi8EEEvPT0_PS8_PKT1_PS2_il,comdat
.Lfunc_end477:
	.size	_ZN5aiter23act_and_mul_bias_kernelIDF16_DF16_lfTnPFfRKT2_EXadL_ZNS_11gelu_kernelIfEEfRKT_EELi8EEEvPT0_PS8_PKT1_PS2_il, .Lfunc_end477-_ZN5aiter23act_and_mul_bias_kernelIDF16_DF16_lfTnPFfRKT2_EXadL_ZNS_11gelu_kernelIfEEfRKT_EELi8EEEvPT0_PS8_PKT1_PS2_il
                                        ; -- End function
	.section	.AMDGPU.csdata,"",@progbits
; Kernel info:
; codeLenInByte = 2956
; NumSgprs: 48
; NumVgprs: 36
; NumAgprs: 0
; TotalNumVgprs: 36
; ScratchSize: 0
; MemoryBound: 0
; FloatMode: 240
; IeeeMode: 1
; LDSByteSize: 0 bytes/workgroup (compile time only)
; SGPRBlocks: 5
; VGPRBlocks: 4
; NumSGPRsForWavesPerEU: 48
; NumVGPRsForWavesPerEU: 36
; AccumOffset: 36
; Occupancy: 8
; WaveLimiterHint : 0
; COMPUTE_PGM_RSRC2:SCRATCH_EN: 0
; COMPUTE_PGM_RSRC2:USER_SGPR: 2
; COMPUTE_PGM_RSRC2:TRAP_HANDLER: 0
; COMPUTE_PGM_RSRC2:TGID_X_EN: 1
; COMPUTE_PGM_RSRC2:TGID_Y_EN: 0
; COMPUTE_PGM_RSRC2:TGID_Z_EN: 0
; COMPUTE_PGM_RSRC2:TIDIG_COMP_CNT: 0
; COMPUTE_PGM_RSRC3_GFX90A:ACCUM_OFFSET: 8
; COMPUTE_PGM_RSRC3_GFX90A:TG_SPLIT: 0
	.section	.text._ZN5aiter23act_and_mul_bias_kernelIDF16_DF16_lfTnPFfRKT2_EXadL_ZNS_11gelu_kernelIfEEfRKT_EELi4EEEvPT0_PS8_PKT1_PS2_il,"axG",@progbits,_ZN5aiter23act_and_mul_bias_kernelIDF16_DF16_lfTnPFfRKT2_EXadL_ZNS_11gelu_kernelIfEEfRKT_EELi4EEEvPT0_PS8_PKT1_PS2_il,comdat
	.protected	_ZN5aiter23act_and_mul_bias_kernelIDF16_DF16_lfTnPFfRKT2_EXadL_ZNS_11gelu_kernelIfEEfRKT_EELi4EEEvPT0_PS8_PKT1_PS2_il ; -- Begin function _ZN5aiter23act_and_mul_bias_kernelIDF16_DF16_lfTnPFfRKT2_EXadL_ZNS_11gelu_kernelIfEEfRKT_EELi4EEEvPT0_PS8_PKT1_PS2_il
	.globl	_ZN5aiter23act_and_mul_bias_kernelIDF16_DF16_lfTnPFfRKT2_EXadL_ZNS_11gelu_kernelIfEEfRKT_EELi4EEEvPT0_PS8_PKT1_PS2_il
	.p2align	8
	.type	_ZN5aiter23act_and_mul_bias_kernelIDF16_DF16_lfTnPFfRKT2_EXadL_ZNS_11gelu_kernelIfEEfRKT_EELi4EEEvPT0_PS8_PKT1_PS2_il,@function
_ZN5aiter23act_and_mul_bias_kernelIDF16_DF16_lfTnPFfRKT2_EXadL_ZNS_11gelu_kernelIfEEfRKT_EELi4EEEvPT0_PS8_PKT1_PS2_il: ; @_ZN5aiter23act_and_mul_bias_kernelIDF16_DF16_lfTnPFfRKT2_EXadL_ZNS_11gelu_kernelIfEEfRKT_EELi4EEEvPT0_PS8_PKT1_PS2_il
; %bb.0:
	s_load_dword s24, s[0:1], 0x20
	s_load_dwordx2 s[4:5], s[0:1], 0x0
	s_load_dwordx2 s[6:7], s[0:1], 0x10
	;; [unrolled: 1-line block ×3, first 2 shown]
	s_mov_b32 s3, 0
	s_waitcnt lgkmcnt(0)
	s_ashr_i32 s25, s24, 31
	s_lshl_b64 s[8:9], s[2:3], 3
	s_add_u32 s6, s6, s8
	s_addc_u32 s7, s7, s9
	s_add_i32 s3, s24, 1
	s_load_dwordx2 s[8:9], s[6:7], 0x0
	s_lshr_b32 s6, s3, 31
	s_add_i32 s3, s3, s6
	s_lshl_b32 s3, s3, 1
	s_and_b32 s6, s3, -4
	s_mul_hi_u32 s3, s24, s2
	s_mul_i32 s7, s25, s2
	s_add_i32 s11, s3, s7
	s_mul_i32 s10, s24, s2
	s_lshl_b64 s[10:11], s[10:11], 1
	v_mov_b64_e32 v[2:3], s[12:13]
	s_add_u32 s4, s4, s10
	s_waitcnt lgkmcnt(0)
	v_cmp_gt_i64_e64 s[14:15], s[8:9], -1
	v_cmp_lt_i64_e32 vcc, s[8:9], v[2:3]
	s_addc_u32 s3, s5, s11
	s_and_b64 s[12:13], s[14:15], vcc
	s_and_b32 s5, s3, 0xffff
	s_mov_b64 s[10:11], -1
	s_and_b64 vcc, exec, s[12:13]
	v_lshlrev_b32_e32 v8, 2, v0
	s_cbranch_vccnz .LBB478_5
; %bb.1:
	v_cmp_gt_i32_e32 vcc, s24, v8
	s_and_saveexec_b64 s[10:11], vcc
	s_cbranch_execz .LBB478_4
; %bb.2:
	s_load_dword s3, s[0:1], 0x3c
	v_mov_b32_e32 v9, 0
	s_mov_b32 s13, 0
	v_lshlrev_b32_e32 v4, 3, v0
	s_mov_b64 s[14:15], 0
	s_waitcnt lgkmcnt(0)
	s_and_b32 s3, s3, 0xffff
	s_lshl_b32 s12, s3, 2
	s_lshl_b32 s3, s3, 3
	s_mov_b32 s7, 0x20000
	v_mov_b32_e32 v0, v9
	v_mov_b32_e32 v1, v9
	v_mov_b64_e32 v[2:3], v[8:9]
.LBB478_3:                              ; =>This Inner Loop Header: Depth=1
	v_lshl_add_u64 v[2:3], s[12:13], 0, v[2:3]
	v_cmp_le_i64_e32 vcc, s[24:25], v[2:3]
	buffer_store_dwordx2 v[0:1], v4, s[4:7], 0 offen
	s_or_b64 s[14:15], vcc, s[14:15]
	v_add_u32_e32 v4, s3, v4
	s_andn2_b64 exec, exec, s[14:15]
	s_cbranch_execnz .LBB478_3
.LBB478_4:
	s_or_b64 exec, exec, s[10:11]
	s_mov_b64 s[10:11], 0
.LBB478_5:
	s_andn2_b64 vcc, exec, s[10:11]
	s_cbranch_vccnz .LBB478_25
; %bb.6:
	v_cmp_gt_i32_e32 vcc, s24, v8
	s_and_saveexec_b64 s[10:11], vcc
	s_cbranch_execz .LBB478_25
; %bb.7:
	s_load_dwordx2 s[14:15], s[0:1], 0x8
	s_load_dwordx2 s[10:11], s[0:1], 0x18
	s_mul_i32 s3, s24, s9
	s_mul_hi_u32 s7, s24, s8
	s_add_i32 s3, s7, s3
	s_mul_i32 s7, s25, s8
	s_add_i32 s9, s3, s7
	s_mul_i32 s8, s24, s8
	s_lshl_b64 s[8:9], s[8:9], 3
	s_waitcnt lgkmcnt(0)
	s_add_u32 s8, s10, s8
	s_addc_u32 s3, s11, s9
	s_lshl_b64 s[10:11], s[24:25], 2
	s_add_u32 s12, s8, s10
	s_addc_u32 s13, s3, s11
	s_and_b32 s9, s3, 0xffff
	s_mul_i32 s3, s2, s25
	s_mul_hi_u32 s16, s2, s24
	s_add_i32 s3, s16, s3
	s_mul_i32 s2, s2, s24
	s_lshl_b32 s10, s24, 2
	s_and_b32 s13, s13, 0xffff
	s_lshl_b64 s[2:3], s[2:3], 2
	s_add_u32 s16, s14, s2
	s_addc_u32 s14, s15, s3
	s_lshl_b64 s[2:3], s[24:25], 1
	s_add_u32 s20, s16, s2
	s_addc_u32 s2, s14, s3
	s_and_b32 s17, s14, 0xffff
	s_and_b32 s21, s2, 0xffff
	s_mov_b32 s7, 0x20000
	s_add_u32 s0, s0, 48
	s_mov_b32 s11, s7
	s_mov_b64 s[22:23], s[6:7]
	v_mov_b32_e32 v9, 0
	s_addc_u32 s1, s1, 0
	s_mov_b64 s[2:3], 0
	s_mov_b32 s27, 0
	s_mov_b32 s28, 0x378e98ab
	;; [unrolled: 1-line block ×10, first 2 shown]
	v_mov_b32_e32 v14, 0x3ba10414
	s_brev_b32 s38, -2
	s_mov_b32 s18, s6
	s_mov_b32 s19, s7
	v_mov_b32_e32 v15, 0xb9c68948
	v_mov_b32_e32 v16, 0x7f800000
                                        ; implicit-def: $vgpr0
                                        ; implicit-def: $vgpr0
                                        ; implicit-def: $vgpr0
                                        ; implicit-def: $vgpr0
	s_branch .LBB478_9
.LBB478_8:                              ;   in Loop: Header=BB478_9 Depth=1
	s_or_b64 exec, exec, s[14:15]
	v_bfi_b32 v5, s38, v6, v5
	v_mul_f32_e32 v4, 0.5, v4
	v_cvt_f32_f16_sdwa v6, v11 dst_sel:DWORD dst_unused:UNUSED_PAD src0_sel:WORD_1
	v_add_f32_e32 v5, 1.0, v5
	v_mul_f32_e32 v4, v4, v5
	v_cvt_f32_f16_e32 v5, v11
	v_cvt_f16_f32_e32 v11, v1
	v_bfi_b32 v1, s38, v12, v10
	v_add_f32_e32 v3, v3, v6
	v_cvt_f16_f32_e32 v6, v0
	v_mul_f32_e32 v0, 0.5, v7
	v_add_f32_e32 v1, 1.0, v1
	v_add_f32_e32 v2, v2, v5
	v_mul_f32_e32 v5, v0, v1
	;;#ASMSTART
	v_pk_mul_f32 v[0:1], v[4:5], v[2:3]
	;;#ASMEND
	s_load_dword s14, s[0:1], 0xc
	v_cvt_f16_f32_e32 v0, v0
	v_cvt_f16_f32_e32 v1, v1
	s_waitcnt lgkmcnt(0)
	s_and_b32 s14, s14, 0xffff
	s_lshl_b32 s26, s14, 2
	v_lshl_add_u64 v[8:9], s[26:27], 0, v[8:9]
	v_cmp_le_i64_e32 vcc, s[24:25], v[8:9]
	v_pack_b32_f16 v1, v0, v1
	v_pack_b32_f16 v0, v6, v11
	s_or_b64 s[2:3], vcc, s[2:3]
	buffer_store_dwordx2 v[0:1], v17, s[4:7], 0 offen
	s_andn2_b64 exec, exec, s[2:3]
	s_cbranch_execz .LBB478_25
.LBB478_9:                              ; =>This Inner Loop Header: Depth=1
	v_lshlrev_b32_e32 v17, 1, v8
	buffer_load_dwordx2 v[12:13], v17, s[16:19], 0 offen
	buffer_load_dwordx2 v[10:11], v17, s[20:23], 0 offen
	v_lshlrev_b32_e32 v0, 2, v8
	buffer_load_dwordx4 v[4:7], v0, s[8:11], 0 offen
	s_mov_b32 s14, s10
	s_mov_b32 s15, s11
	buffer_load_dwordx4 v[0:3], v0, s[12:15], 0 offen
                                        ; implicit-def: $vgpr19
	s_waitcnt vmcnt(3)
	v_cvt_f32_f16_e32 v18, v12
	s_waitcnt vmcnt(1)
	v_add_f32_e32 v4, v4, v18
	v_mul_f32_e32 v18, 0x3f3504f3, v4
	v_cmp_nlt_f32_e64 s[14:15], |v18|, 1.0
	s_and_saveexec_b64 s[40:41], s[14:15]
	s_xor_b64 s[14:15], exec, s[40:41]
	s_cbranch_execz .LBB478_11
; %bb.10:                               ;   in Loop: Header=BB478_9 Depth=1
	v_fma_f32 v19, |v18|, s28, v15
	v_fma_f32 v19, |v18|, v19, s29
	;; [unrolled: 1-line block ×6, first 2 shown]
	v_fma_f32 v19, |v18|, v19, |v18|
	v_mul_f32_e32 v20, 0xbfb8aa3b, v19
	v_fma_f32 v21, v19, s35, -v20
	v_rndne_f32_e32 v22, v20
	v_fmac_f32_e32 v21, 0xb2a5705f, v19
	v_sub_f32_e32 v20, v20, v22
	v_add_f32_e32 v20, v20, v21
	v_cvt_i32_f32_e32 v21, v22
	v_exp_f32_e32 v20, v20
	v_cmp_nlt_f32_e32 vcc, s36, v19
	v_ldexp_f32 v20, v20, v21
	s_nop 0
	v_cndmask_b32_e32 v20, 0, v20, vcc
	v_cmp_ngt_f32_e32 vcc, s37, v19
	s_nop 1
	v_cndmask_b32_e32 v19, v16, v20, vcc
	v_sub_f32_e32 v19, 1.0, v19
.LBB478_11:                             ;   in Loop: Header=BB478_9 Depth=1
	s_andn2_saveexec_b64 s[14:15], s[14:15]
; %bb.12:                               ;   in Loop: Header=BB478_9 Depth=1
	v_mul_f32_e32 v19, v18, v18
	v_fmamk_f32 v20, v19, 0xba1345e1, v14
	v_fmaak_f32 v20, v19, v20, 0xbcdac9b8
	v_fmaak_f32 v20, v19, v20, 0x3de703be
	;; [unrolled: 1-line block ×4, first 2 shown]
	v_fma_f32 v19, |v18|, v19, |v18|
; %bb.13:                               ;   in Loop: Header=BB478_9 Depth=1
	s_or_b64 exec, exec, s[14:15]
	v_cvt_f32_f16_sdwa v12, v12 dst_sel:DWORD dst_unused:UNUSED_PAD src0_sel:WORD_1
                                        ; implicit-def: $vgpr20
	v_add_f32_e32 v5, v5, v12
	v_mul_f32_e32 v12, 0x3f3504f3, v5
	v_cmp_nlt_f32_e64 s[14:15], |v12|, 1.0
	s_and_saveexec_b64 s[40:41], s[14:15]
	s_xor_b64 s[14:15], exec, s[40:41]
	s_cbranch_execz .LBB478_15
; %bb.14:                               ;   in Loop: Header=BB478_9 Depth=1
	v_fma_f32 v20, |v12|, s28, v15
	v_fma_f32 v20, |v12|, v20, s29
	;; [unrolled: 1-line block ×6, first 2 shown]
	v_fma_f32 v20, |v12|, v20, |v12|
	v_mul_f32_e32 v21, 0xbfb8aa3b, v20
	v_fma_f32 v22, v20, s35, -v21
	v_rndne_f32_e32 v23, v21
	v_fmac_f32_e32 v22, 0xb2a5705f, v20
	v_sub_f32_e32 v21, v21, v23
	v_add_f32_e32 v21, v21, v22
	v_cvt_i32_f32_e32 v22, v23
	v_exp_f32_e32 v21, v21
	v_cmp_nlt_f32_e32 vcc, s36, v20
	v_ldexp_f32 v21, v21, v22
	s_nop 0
	v_cndmask_b32_e32 v21, 0, v21, vcc
	v_cmp_ngt_f32_e32 vcc, s37, v20
	s_nop 1
	v_cndmask_b32_e32 v20, v16, v21, vcc
	v_sub_f32_e32 v20, 1.0, v20
.LBB478_15:                             ;   in Loop: Header=BB478_9 Depth=1
	s_andn2_saveexec_b64 s[14:15], s[14:15]
; %bb.16:                               ;   in Loop: Header=BB478_9 Depth=1
	v_mul_f32_e32 v20, v12, v12
	v_fmamk_f32 v21, v20, 0xba1345e1, v14
	v_fmaak_f32 v21, v20, v21, 0xbcdac9b8
	v_fmaak_f32 v21, v20, v21, 0x3de703be
	;; [unrolled: 1-line block ×4, first 2 shown]
	v_fma_f32 v20, |v12|, v20, |v12|
; %bb.17:                               ;   in Loop: Header=BB478_9 Depth=1
	s_or_b64 exec, exec, s[14:15]
	v_bfi_b32 v18, s38, v19, v18
	v_cvt_f32_f16_sdwa v19, v10 dst_sel:DWORD dst_unused:UNUSED_PAD src0_sel:WORD_1
	v_cvt_f32_f16_e32 v10, v10
	v_mul_f32_e32 v4, 0.5, v4
	v_add_f32_e32 v18, 1.0, v18
	v_mul_f32_e32 v4, v4, v18
	s_waitcnt vmcnt(0)
	v_add_f32_e32 v0, v0, v10
	v_bfi_b32 v10, s38, v20, v12
	v_cvt_f32_f16_e32 v12, v13
	v_add_f32_e32 v1, v1, v19
	v_mul_f32_e32 v5, 0.5, v5
	v_add_f32_e32 v10, 1.0, v10
	v_mul_f32_e32 v5, v5, v10
	;;#ASMSTART
	v_pk_mul_f32 v[0:1], v[4:5], v[0:1]
	;;#ASMEND
	v_add_f32_e32 v4, v6, v12
	v_mul_f32_e32 v5, 0x3f3504f3, v4
	v_cmp_nlt_f32_e64 s[14:15], |v5|, 1.0
                                        ; implicit-def: $vgpr6
	s_and_saveexec_b64 s[40:41], s[14:15]
	s_xor_b64 s[14:15], exec, s[40:41]
	s_cbranch_execz .LBB478_19
; %bb.18:                               ;   in Loop: Header=BB478_9 Depth=1
	v_fma_f32 v6, |v5|, s28, v15
	v_fma_f32 v6, |v5|, v6, s29
	;; [unrolled: 1-line block ×6, first 2 shown]
	v_fma_f32 v6, |v5|, v6, |v5|
	v_mul_f32_e32 v10, 0xbfb8aa3b, v6
	v_fma_f32 v12, v6, s35, -v10
	v_rndne_f32_e32 v18, v10
	v_fmac_f32_e32 v12, 0xb2a5705f, v6
	v_sub_f32_e32 v10, v10, v18
	v_add_f32_e32 v10, v10, v12
	v_cvt_i32_f32_e32 v12, v18
	v_exp_f32_e32 v10, v10
	v_cmp_nlt_f32_e32 vcc, s36, v6
	v_ldexp_f32 v10, v10, v12
	s_nop 0
	v_cndmask_b32_e32 v10, 0, v10, vcc
	v_cmp_ngt_f32_e32 vcc, s37, v6
	s_nop 1
	v_cndmask_b32_e32 v6, v16, v10, vcc
	v_sub_f32_e32 v6, 1.0, v6
.LBB478_19:                             ;   in Loop: Header=BB478_9 Depth=1
	s_andn2_saveexec_b64 s[14:15], s[14:15]
; %bb.20:                               ;   in Loop: Header=BB478_9 Depth=1
	v_mul_f32_e32 v6, v5, v5
	v_fmamk_f32 v10, v6, 0xba1345e1, v14
	v_fmaak_f32 v10, v6, v10, 0xbcdac9b8
	v_fmaak_f32 v10, v6, v10, 0x3de703be
	;; [unrolled: 1-line block ×4, first 2 shown]
	v_fma_f32 v6, |v5|, v6, |v5|
; %bb.21:                               ;   in Loop: Header=BB478_9 Depth=1
	s_or_b64 exec, exec, s[14:15]
	v_cvt_f32_f16_sdwa v10, v13 dst_sel:DWORD dst_unused:UNUSED_PAD src0_sel:WORD_1
                                        ; implicit-def: $vgpr12
	v_add_f32_e32 v7, v7, v10
	v_mul_f32_e32 v10, 0x3f3504f3, v7
	v_cmp_nlt_f32_e64 s[14:15], |v10|, 1.0
	s_and_saveexec_b64 s[40:41], s[14:15]
	s_xor_b64 s[14:15], exec, s[40:41]
	s_cbranch_execz .LBB478_23
; %bb.22:                               ;   in Loop: Header=BB478_9 Depth=1
	v_fma_f32 v12, |v10|, s28, v15
	v_fma_f32 v12, |v10|, v12, s29
	;; [unrolled: 1-line block ×6, first 2 shown]
	v_fma_f32 v12, |v10|, v12, |v10|
	v_mul_f32_e32 v13, 0xbfb8aa3b, v12
	v_fma_f32 v18, v12, s35, -v13
	v_rndne_f32_e32 v19, v13
	v_fmac_f32_e32 v18, 0xb2a5705f, v12
	v_sub_f32_e32 v13, v13, v19
	v_add_f32_e32 v13, v13, v18
	v_cvt_i32_f32_e32 v18, v19
	v_exp_f32_e32 v13, v13
	v_cmp_nlt_f32_e32 vcc, s36, v12
	v_ldexp_f32 v13, v13, v18
	s_nop 0
	v_cndmask_b32_e32 v13, 0, v13, vcc
	v_cmp_ngt_f32_e32 vcc, s37, v12
	s_nop 1
	v_cndmask_b32_e32 v12, v16, v13, vcc
	v_sub_f32_e32 v12, 1.0, v12
.LBB478_23:                             ;   in Loop: Header=BB478_9 Depth=1
	s_andn2_saveexec_b64 s[14:15], s[14:15]
	s_cbranch_execz .LBB478_8
; %bb.24:                               ;   in Loop: Header=BB478_9 Depth=1
	v_mul_f32_e32 v12, v10, v10
	v_fmamk_f32 v13, v12, 0xba1345e1, v14
	v_fmaak_f32 v13, v12, v13, 0xbcdac9b8
	v_fmaak_f32 v13, v12, v13, 0x3de703be
	;; [unrolled: 1-line block ×4, first 2 shown]
	v_fma_f32 v12, |v10|, v12, |v10|
	s_branch .LBB478_8
.LBB478_25:
	s_endpgm
	.section	.rodata,"a",@progbits
	.p2align	6, 0x0
	.amdhsa_kernel _ZN5aiter23act_and_mul_bias_kernelIDF16_DF16_lfTnPFfRKT2_EXadL_ZNS_11gelu_kernelIfEEfRKT_EELi4EEEvPT0_PS8_PKT1_PS2_il
		.amdhsa_group_segment_fixed_size 0
		.amdhsa_private_segment_fixed_size 0
		.amdhsa_kernarg_size 304
		.amdhsa_user_sgpr_count 2
		.amdhsa_user_sgpr_dispatch_ptr 0
		.amdhsa_user_sgpr_queue_ptr 0
		.amdhsa_user_sgpr_kernarg_segment_ptr 1
		.amdhsa_user_sgpr_dispatch_id 0
		.amdhsa_user_sgpr_kernarg_preload_length 0
		.amdhsa_user_sgpr_kernarg_preload_offset 0
		.amdhsa_user_sgpr_private_segment_size 0
		.amdhsa_uses_dynamic_stack 0
		.amdhsa_enable_private_segment 0
		.amdhsa_system_sgpr_workgroup_id_x 1
		.amdhsa_system_sgpr_workgroup_id_y 0
		.amdhsa_system_sgpr_workgroup_id_z 0
		.amdhsa_system_sgpr_workgroup_info 0
		.amdhsa_system_vgpr_workitem_id 0
		.amdhsa_next_free_vgpr 24
		.amdhsa_next_free_sgpr 42
		.amdhsa_accum_offset 24
		.amdhsa_reserve_vcc 1
		.amdhsa_float_round_mode_32 0
		.amdhsa_float_round_mode_16_64 0
		.amdhsa_float_denorm_mode_32 3
		.amdhsa_float_denorm_mode_16_64 3
		.amdhsa_dx10_clamp 1
		.amdhsa_ieee_mode 1
		.amdhsa_fp16_overflow 0
		.amdhsa_tg_split 0
		.amdhsa_exception_fp_ieee_invalid_op 0
		.amdhsa_exception_fp_denorm_src 0
		.amdhsa_exception_fp_ieee_div_zero 0
		.amdhsa_exception_fp_ieee_overflow 0
		.amdhsa_exception_fp_ieee_underflow 0
		.amdhsa_exception_fp_ieee_inexact 0
		.amdhsa_exception_int_div_zero 0
	.end_amdhsa_kernel
	.section	.text._ZN5aiter23act_and_mul_bias_kernelIDF16_DF16_lfTnPFfRKT2_EXadL_ZNS_11gelu_kernelIfEEfRKT_EELi4EEEvPT0_PS8_PKT1_PS2_il,"axG",@progbits,_ZN5aiter23act_and_mul_bias_kernelIDF16_DF16_lfTnPFfRKT2_EXadL_ZNS_11gelu_kernelIfEEfRKT_EELi4EEEvPT0_PS8_PKT1_PS2_il,comdat
.Lfunc_end478:
	.size	_ZN5aiter23act_and_mul_bias_kernelIDF16_DF16_lfTnPFfRKT2_EXadL_ZNS_11gelu_kernelIfEEfRKT_EELi4EEEvPT0_PS8_PKT1_PS2_il, .Lfunc_end478-_ZN5aiter23act_and_mul_bias_kernelIDF16_DF16_lfTnPFfRKT2_EXadL_ZNS_11gelu_kernelIfEEfRKT_EELi4EEEvPT0_PS8_PKT1_PS2_il
                                        ; -- End function
	.section	.AMDGPU.csdata,"",@progbits
; Kernel info:
; codeLenInByte = 1824
; NumSgprs: 48
; NumVgprs: 24
; NumAgprs: 0
; TotalNumVgprs: 24
; ScratchSize: 0
; MemoryBound: 0
; FloatMode: 240
; IeeeMode: 1
; LDSByteSize: 0 bytes/workgroup (compile time only)
; SGPRBlocks: 5
; VGPRBlocks: 2
; NumSGPRsForWavesPerEU: 48
; NumVGPRsForWavesPerEU: 24
; AccumOffset: 24
; Occupancy: 8
; WaveLimiterHint : 0
; COMPUTE_PGM_RSRC2:SCRATCH_EN: 0
; COMPUTE_PGM_RSRC2:USER_SGPR: 2
; COMPUTE_PGM_RSRC2:TRAP_HANDLER: 0
; COMPUTE_PGM_RSRC2:TGID_X_EN: 1
; COMPUTE_PGM_RSRC2:TGID_Y_EN: 0
; COMPUTE_PGM_RSRC2:TGID_Z_EN: 0
; COMPUTE_PGM_RSRC2:TIDIG_COMP_CNT: 0
; COMPUTE_PGM_RSRC3_GFX90A:ACCUM_OFFSET: 5
; COMPUTE_PGM_RSRC3_GFX90A:TG_SPLIT: 0
	.section	.text._ZN5aiter23act_and_mul_bias_kernelIDF16_DF16_lfTnPFfRKT2_EXadL_ZNS_11gelu_kernelIfEEfRKT_EELi2EEEvPT0_PS8_PKT1_PS2_il,"axG",@progbits,_ZN5aiter23act_and_mul_bias_kernelIDF16_DF16_lfTnPFfRKT2_EXadL_ZNS_11gelu_kernelIfEEfRKT_EELi2EEEvPT0_PS8_PKT1_PS2_il,comdat
	.protected	_ZN5aiter23act_and_mul_bias_kernelIDF16_DF16_lfTnPFfRKT2_EXadL_ZNS_11gelu_kernelIfEEfRKT_EELi2EEEvPT0_PS8_PKT1_PS2_il ; -- Begin function _ZN5aiter23act_and_mul_bias_kernelIDF16_DF16_lfTnPFfRKT2_EXadL_ZNS_11gelu_kernelIfEEfRKT_EELi2EEEvPT0_PS8_PKT1_PS2_il
	.globl	_ZN5aiter23act_and_mul_bias_kernelIDF16_DF16_lfTnPFfRKT2_EXadL_ZNS_11gelu_kernelIfEEfRKT_EELi2EEEvPT0_PS8_PKT1_PS2_il
	.p2align	8
	.type	_ZN5aiter23act_and_mul_bias_kernelIDF16_DF16_lfTnPFfRKT2_EXadL_ZNS_11gelu_kernelIfEEfRKT_EELi2EEEvPT0_PS8_PKT1_PS2_il,@function
_ZN5aiter23act_and_mul_bias_kernelIDF16_DF16_lfTnPFfRKT2_EXadL_ZNS_11gelu_kernelIfEEfRKT_EELi2EEEvPT0_PS8_PKT1_PS2_il: ; @_ZN5aiter23act_and_mul_bias_kernelIDF16_DF16_lfTnPFfRKT2_EXadL_ZNS_11gelu_kernelIfEEfRKT_EELi2EEEvPT0_PS8_PKT1_PS2_il
; %bb.0:
	s_load_dword s24, s[0:1], 0x20
	s_load_dwordx2 s[4:5], s[0:1], 0x0
	s_load_dwordx2 s[6:7], s[0:1], 0x10
	;; [unrolled: 1-line block ×3, first 2 shown]
	s_mov_b32 s3, 0
	s_waitcnt lgkmcnt(0)
	s_ashr_i32 s25, s24, 31
	s_lshl_b64 s[8:9], s[2:3], 3
	s_add_u32 s6, s6, s8
	s_addc_u32 s7, s7, s9
	s_add_i32 s3, s24, 1
	s_load_dwordx2 s[8:9], s[6:7], 0x0
	s_lshr_b32 s6, s3, 31
	s_add_i32 s3, s3, s6
	s_lshl_b32 s3, s3, 1
	s_and_b32 s6, s3, -4
	s_mul_hi_u32 s3, s24, s2
	s_mul_i32 s7, s25, s2
	s_add_i32 s11, s3, s7
	s_mul_i32 s10, s24, s2
	s_lshl_b64 s[10:11], s[10:11], 1
	v_mov_b64_e32 v[2:3], s[12:13]
	s_add_u32 s4, s4, s10
	s_waitcnt lgkmcnt(0)
	v_cmp_gt_i64_e64 s[14:15], s[8:9], -1
	v_cmp_lt_i64_e32 vcc, s[8:9], v[2:3]
	s_addc_u32 s3, s5, s11
	s_and_b64 s[12:13], s[14:15], vcc
	s_and_b32 s5, s3, 0xffff
	s_mov_b64 s[10:11], -1
	s_and_b64 vcc, exec, s[12:13]
	v_lshlrev_b32_e32 v2, 1, v0
	s_cbranch_vccnz .LBB479_5
; %bb.1:
	v_cmp_gt_i32_e32 vcc, s24, v2
	s_and_saveexec_b64 s[10:11], vcc
	s_cbranch_execz .LBB479_4
; %bb.2:
	s_load_dword s3, s[0:1], 0x3c
	v_mov_b32_e32 v3, 0
	s_mov_b32 s13, 0
	v_lshlrev_b32_e32 v4, 2, v0
	s_mov_b64 s[14:15], 0
	s_waitcnt lgkmcnt(0)
	s_and_b32 s3, s3, 0xffff
	s_lshl_b32 s12, s3, 1
	s_lshl_b32 s3, s3, 2
	s_mov_b32 s7, 0x20000
	v_mov_b64_e32 v[0:1], v[2:3]
.LBB479_3:                              ; =>This Inner Loop Header: Depth=1
	v_lshl_add_u64 v[0:1], s[12:13], 0, v[0:1]
	v_cmp_le_i64_e32 vcc, s[24:25], v[0:1]
	buffer_store_dword v3, v4, s[4:7], 0 offen
	s_or_b64 s[14:15], vcc, s[14:15]
	v_add_u32_e32 v4, s3, v4
	s_andn2_b64 exec, exec, s[14:15]
	s_cbranch_execnz .LBB479_3
.LBB479_4:
	s_or_b64 exec, exec, s[10:11]
	s_mov_b64 s[10:11], 0
.LBB479_5:
	s_andn2_b64 vcc, exec, s[10:11]
	s_cbranch_vccnz .LBB479_13
; %bb.6:
	v_cmp_gt_i32_e32 vcc, s24, v2
	s_and_saveexec_b64 s[10:11], vcc
	s_cbranch_execz .LBB479_13
; %bb.7:
	s_load_dwordx2 s[14:15], s[0:1], 0x8
	s_load_dwordx2 s[10:11], s[0:1], 0x18
	s_mul_i32 s3, s24, s9
	s_mul_hi_u32 s7, s24, s8
	s_add_i32 s3, s7, s3
	s_mul_i32 s7, s25, s8
	s_add_i32 s9, s3, s7
	s_mul_i32 s8, s24, s8
	s_lshl_b64 s[8:9], s[8:9], 3
	s_waitcnt lgkmcnt(0)
	s_add_u32 s8, s10, s8
	s_addc_u32 s3, s11, s9
	s_lshl_b64 s[10:11], s[24:25], 2
	s_add_u32 s12, s8, s10
	s_addc_u32 s13, s3, s11
	s_and_b32 s9, s3, 0xffff
	s_mul_i32 s3, s2, s25
	s_mul_hi_u32 s16, s2, s24
	s_add_i32 s3, s16, s3
	s_mul_i32 s2, s2, s24
	s_lshl_b32 s10, s24, 2
	s_and_b32 s13, s13, 0xffff
	s_lshl_b64 s[2:3], s[2:3], 2
	s_add_u32 s16, s14, s2
	s_addc_u32 s14, s15, s3
	s_lshl_b64 s[2:3], s[24:25], 1
	s_add_u32 s20, s16, s2
	s_addc_u32 s2, s14, s3
	s_and_b32 s17, s14, 0xffff
	s_and_b32 s21, s2, 0xffff
	s_mov_b32 s7, 0x20000
	s_add_u32 s0, s0, 48
	s_mov_b32 s11, s7
	s_mov_b64 s[22:23], s[6:7]
	v_mov_b32_e32 v3, 0
	s_addc_u32 s1, s1, 0
	s_mov_b64 s[2:3], 0
	s_mov_b32 s27, 0
	s_mov_b32 s28, 0x3f3504f3
	;; [unrolled: 1-line block ×11, first 2 shown]
	v_mov_b32_e32 v10, 0x3ba10414
	v_mov_b32_e32 v11, 0xb9c68948
	v_mov_b32_e32 v12, 0x7f800000
	s_brev_b32 s39, -2
	s_mov_b32 s18, s6
	s_mov_b32 s19, s7
                                        ; implicit-def: $vgpr0
                                        ; implicit-def: $vgpr0
	;; [unrolled: 1-line block ×4, first 2 shown]
	s_branch .LBB479_9
.LBB479_8:                              ;   in Loop: Header=BB479_9 Depth=1
	s_or_b64 exec, exec, s[14:15]
	v_fma_f32 v8, |v1|, s29, v11
	v_fma_f32 v8, |v1|, v8, s30
	;; [unrolled: 1-line block ×6, first 2 shown]
	v_fma_f32 v8, |v1|, v8, |v1|
	s_waitcnt vmcnt(1)
	v_cvt_f32_f16_sdwa v17, v14 dst_sel:DWORD dst_unused:UNUSED_PAD src0_sel:WORD_1
	v_cvt_f32_f16_e32 v16, v14
	v_mul_f32_e32 v14, 0xbfb8aa3b, v8
	v_fma_f32 v18, v8, s36, -v14
	v_rndne_f32_e32 v19, v14
	v_fmac_f32_e32 v18, 0xb2a5705f, v8
	v_sub_f32_e32 v14, v14, v19
	v_add_f32_e32 v14, v14, v18
	v_exp_f32_e32 v14, v14
	v_cvt_i32_f32_e32 v18, v19
	v_cmp_nlt_f32_e32 vcc, s37, v8
	v_bfi_b32 v0, s39, v15, v0
	v_mul_f32_e32 v5, 0.5, v5
	v_ldexp_f32 v14, v14, v18
	v_cndmask_b32_e32 v14, 0, v14, vcc
	v_cmp_ngt_f32_e32 vcc, s38, v8
	v_mul_f32_e32 v4, 0.5, v4
	s_waitcnt vmcnt(0)
	v_pk_add_f32 v[6:7], v[6:7], v[16:17]
	v_cndmask_b32_e32 v8, v12, v14, vcc
	v_fmamk_f32 v14, v9, 0xba1345e1, v10
	v_fmaak_f32 v14, v9, v14, 0xbcdac9b8
	v_fmaak_f32 v14, v9, v14, 0x3de703be
	;; [unrolled: 1-line block ×4, first 2 shown]
	v_sub_f32_e32 v8, 1.0, v8
	v_fma_f32 v9, |v1|, v9, |v1|
	v_cmp_lt_f32_e64 vcc, |v1|, 1.0
	s_nop 1
	v_cndmask_b32_e32 v8, v8, v9, vcc
	v_bfi_b32 v1, s39, v8, v1
	v_pk_add_f32 v[0:1], v[0:1], 1.0 op_sel_hi:[1,0]
	s_nop 0
	v_pk_mul_f32 v[0:1], v[4:5], v[0:1]
	s_nop 0
	;;#ASMSTART
	v_pk_mul_f32 v[0:1], v[0:1], v[6:7]
	;;#ASMEND
	s_load_dword s14, s[0:1], 0xc
	v_cvt_f16_f32_e32 v0, v0
	v_cvt_f16_f32_e32 v1, v1
	s_waitcnt lgkmcnt(0)
	s_and_b32 s14, s14, 0xffff
	s_lshl_b32 s26, s14, 1
	v_lshl_add_u64 v[2:3], s[26:27], 0, v[2:3]
	v_cmp_le_i64_e32 vcc, s[24:25], v[2:3]
	v_pack_b32_f16 v0, v0, v1
	s_or_b64 s[2:3], vcc, s[2:3]
	buffer_store_dword v0, v13, s[4:7], 0 offen
	s_andn2_b64 exec, exec, s[2:3]
	s_cbranch_execz .LBB479_13
.LBB479_9:                              ; =>This Inner Loop Header: Depth=1
	v_lshlrev_b32_e32 v13, 1, v2
	buffer_load_dword v5, v13, s[16:19], 0 offen
	v_lshlrev_b32_e32 v4, 2, v2
	buffer_load_dwordx2 v[0:1], v4, s[8:11], 0 offen
	s_mov_b32 s14, s10
	s_mov_b32 s15, s11
	buffer_load_dword v14, v13, s[20:23], 0 offen
	buffer_load_dwordx2 v[6:7], v4, s[12:15], 0 offen
                                        ; implicit-def: $vgpr15
	s_waitcnt vmcnt(3)
	v_cvt_f32_f16_e32 v4, v5
	v_cvt_f32_f16_sdwa v5, v5 dst_sel:DWORD dst_unused:UNUSED_PAD src0_sel:WORD_1
	s_waitcnt vmcnt(2)
	v_pk_add_f32 v[4:5], v[0:1], v[4:5]
	s_nop 0
	v_pk_mul_f32 v[0:1], v[4:5], s[28:29] op_sel_hi:[1,0]
	s_nop 0
	v_cmp_nlt_f32_e64 s[14:15], |v0|, 1.0
	s_and_saveexec_b64 s[40:41], s[14:15]
	s_xor_b64 s[14:15], exec, s[40:41]
	s_cbranch_execz .LBB479_11
; %bb.10:                               ;   in Loop: Header=BB479_9 Depth=1
	v_fma_f32 v8, |v0|, s29, v11
	v_fma_f32 v8, |v0|, v8, s30
	;; [unrolled: 1-line block ×6, first 2 shown]
	v_fma_f32 v8, |v0|, v8, |v0|
	v_mul_f32_e32 v9, 0xbfb8aa3b, v8
	v_fma_f32 v15, v8, s36, -v9
	v_rndne_f32_e32 v16, v9
	v_fmac_f32_e32 v15, 0xb2a5705f, v8
	v_sub_f32_e32 v9, v9, v16
	v_add_f32_e32 v9, v9, v15
	v_cvt_i32_f32_e32 v15, v16
	v_exp_f32_e32 v9, v9
	v_cmp_nlt_f32_e32 vcc, s37, v8
	v_ldexp_f32 v9, v9, v15
	s_nop 0
	v_cndmask_b32_e32 v9, 0, v9, vcc
	v_cmp_ngt_f32_e32 vcc, s38, v8
	s_nop 1
	v_cndmask_b32_e32 v8, v12, v9, vcc
	v_sub_f32_e32 v15, 1.0, v8
.LBB479_11:                             ;   in Loop: Header=BB479_9 Depth=1
	s_or_saveexec_b64 s[14:15], s[14:15]
	v_pk_mul_f32 v[8:9], v[0:1], v[0:1]
	s_xor_b64 exec, exec, s[14:15]
	s_cbranch_execz .LBB479_8
; %bb.12:                               ;   in Loop: Header=BB479_9 Depth=1
	v_fmamk_f32 v15, v8, 0xba1345e1, v10
	v_fmaak_f32 v15, v8, v15, 0xbcdac9b8
	v_fmaak_f32 v15, v8, v15, 0x3de703be
	;; [unrolled: 1-line block ×4, first 2 shown]
	v_fma_f32 v15, |v0|, v8, |v0|
	s_branch .LBB479_8
.LBB479_13:
	s_endpgm
	.section	.rodata,"a",@progbits
	.p2align	6, 0x0
	.amdhsa_kernel _ZN5aiter23act_and_mul_bias_kernelIDF16_DF16_lfTnPFfRKT2_EXadL_ZNS_11gelu_kernelIfEEfRKT_EELi2EEEvPT0_PS8_PKT1_PS2_il
		.amdhsa_group_segment_fixed_size 0
		.amdhsa_private_segment_fixed_size 0
		.amdhsa_kernarg_size 304
		.amdhsa_user_sgpr_count 2
		.amdhsa_user_sgpr_dispatch_ptr 0
		.amdhsa_user_sgpr_queue_ptr 0
		.amdhsa_user_sgpr_kernarg_segment_ptr 1
		.amdhsa_user_sgpr_dispatch_id 0
		.amdhsa_user_sgpr_kernarg_preload_length 0
		.amdhsa_user_sgpr_kernarg_preload_offset 0
		.amdhsa_user_sgpr_private_segment_size 0
		.amdhsa_uses_dynamic_stack 0
		.amdhsa_enable_private_segment 0
		.amdhsa_system_sgpr_workgroup_id_x 1
		.amdhsa_system_sgpr_workgroup_id_y 0
		.amdhsa_system_sgpr_workgroup_id_z 0
		.amdhsa_system_sgpr_workgroup_info 0
		.amdhsa_system_vgpr_workitem_id 0
		.amdhsa_next_free_vgpr 20
		.amdhsa_next_free_sgpr 42
		.amdhsa_accum_offset 20
		.amdhsa_reserve_vcc 1
		.amdhsa_float_round_mode_32 0
		.amdhsa_float_round_mode_16_64 0
		.amdhsa_float_denorm_mode_32 3
		.amdhsa_float_denorm_mode_16_64 3
		.amdhsa_dx10_clamp 1
		.amdhsa_ieee_mode 1
		.amdhsa_fp16_overflow 0
		.amdhsa_tg_split 0
		.amdhsa_exception_fp_ieee_invalid_op 0
		.amdhsa_exception_fp_denorm_src 0
		.amdhsa_exception_fp_ieee_div_zero 0
		.amdhsa_exception_fp_ieee_overflow 0
		.amdhsa_exception_fp_ieee_underflow 0
		.amdhsa_exception_fp_ieee_inexact 0
		.amdhsa_exception_int_div_zero 0
	.end_amdhsa_kernel
	.section	.text._ZN5aiter23act_and_mul_bias_kernelIDF16_DF16_lfTnPFfRKT2_EXadL_ZNS_11gelu_kernelIfEEfRKT_EELi2EEEvPT0_PS8_PKT1_PS2_il,"axG",@progbits,_ZN5aiter23act_and_mul_bias_kernelIDF16_DF16_lfTnPFfRKT2_EXadL_ZNS_11gelu_kernelIfEEfRKT_EELi2EEEvPT0_PS8_PKT1_PS2_il,comdat
.Lfunc_end479:
	.size	_ZN5aiter23act_and_mul_bias_kernelIDF16_DF16_lfTnPFfRKT2_EXadL_ZNS_11gelu_kernelIfEEfRKT_EELi2EEEvPT0_PS8_PKT1_PS2_il, .Lfunc_end479-_ZN5aiter23act_and_mul_bias_kernelIDF16_DF16_lfTnPFfRKT2_EXadL_ZNS_11gelu_kernelIfEEfRKT_EELi2EEEvPT0_PS8_PKT1_PS2_il
                                        ; -- End function
	.section	.AMDGPU.csdata,"",@progbits
; Kernel info:
; codeLenInByte = 1268
; NumSgprs: 48
; NumVgprs: 20
; NumAgprs: 0
; TotalNumVgprs: 20
; ScratchSize: 0
; MemoryBound: 0
; FloatMode: 240
; IeeeMode: 1
; LDSByteSize: 0 bytes/workgroup (compile time only)
; SGPRBlocks: 5
; VGPRBlocks: 2
; NumSGPRsForWavesPerEU: 48
; NumVGPRsForWavesPerEU: 20
; AccumOffset: 20
; Occupancy: 8
; WaveLimiterHint : 0
; COMPUTE_PGM_RSRC2:SCRATCH_EN: 0
; COMPUTE_PGM_RSRC2:USER_SGPR: 2
; COMPUTE_PGM_RSRC2:TRAP_HANDLER: 0
; COMPUTE_PGM_RSRC2:TGID_X_EN: 1
; COMPUTE_PGM_RSRC2:TGID_Y_EN: 0
; COMPUTE_PGM_RSRC2:TGID_Z_EN: 0
; COMPUTE_PGM_RSRC2:TIDIG_COMP_CNT: 0
; COMPUTE_PGM_RSRC3_GFX90A:ACCUM_OFFSET: 4
; COMPUTE_PGM_RSRC3_GFX90A:TG_SPLIT: 0
	.section	.text._ZN5aiter23act_and_mul_bias_kernelIDF16_DF16_lfTnPFfRKT2_EXadL_ZNS_11gelu_kernelIfEEfRKT_EELi1EEEvPT0_PS8_PKT1_PS2_il,"axG",@progbits,_ZN5aiter23act_and_mul_bias_kernelIDF16_DF16_lfTnPFfRKT2_EXadL_ZNS_11gelu_kernelIfEEfRKT_EELi1EEEvPT0_PS8_PKT1_PS2_il,comdat
	.protected	_ZN5aiter23act_and_mul_bias_kernelIDF16_DF16_lfTnPFfRKT2_EXadL_ZNS_11gelu_kernelIfEEfRKT_EELi1EEEvPT0_PS8_PKT1_PS2_il ; -- Begin function _ZN5aiter23act_and_mul_bias_kernelIDF16_DF16_lfTnPFfRKT2_EXadL_ZNS_11gelu_kernelIfEEfRKT_EELi1EEEvPT0_PS8_PKT1_PS2_il
	.globl	_ZN5aiter23act_and_mul_bias_kernelIDF16_DF16_lfTnPFfRKT2_EXadL_ZNS_11gelu_kernelIfEEfRKT_EELi1EEEvPT0_PS8_PKT1_PS2_il
	.p2align	8
	.type	_ZN5aiter23act_and_mul_bias_kernelIDF16_DF16_lfTnPFfRKT2_EXadL_ZNS_11gelu_kernelIfEEfRKT_EELi1EEEvPT0_PS8_PKT1_PS2_il,@function
_ZN5aiter23act_and_mul_bias_kernelIDF16_DF16_lfTnPFfRKT2_EXadL_ZNS_11gelu_kernelIfEEfRKT_EELi1EEEvPT0_PS8_PKT1_PS2_il: ; @_ZN5aiter23act_and_mul_bias_kernelIDF16_DF16_lfTnPFfRKT2_EXadL_ZNS_11gelu_kernelIfEEfRKT_EELi1EEEvPT0_PS8_PKT1_PS2_il
; %bb.0:
	s_load_dword s20, s[0:1], 0x20
	s_load_dwordx2 s[4:5], s[0:1], 0x0
	s_load_dwordx2 s[6:7], s[0:1], 0x10
	;; [unrolled: 1-line block ×3, first 2 shown]
	s_mov_b32 s3, 0
	s_waitcnt lgkmcnt(0)
	s_ashr_i32 s21, s20, 31
	s_lshl_b64 s[8:9], s[2:3], 3
	s_add_u32 s6, s6, s8
	s_addc_u32 s7, s7, s9
	s_add_i32 s3, s20, 1
	s_lshr_b32 s8, s3, 31
	s_add_i32 s3, s3, s8
	s_load_dwordx2 s[6:7], s[6:7], 0x0
	s_lshl_b32 s3, s3, 1
	s_and_b32 s10, s3, -4
	s_mul_hi_u32 s3, s20, s2
	s_mul_i32 s8, s21, s2
	s_add_i32 s9, s3, s8
	s_mul_i32 s8, s20, s2
	s_lshl_b64 s[8:9], s[8:9], 1
	s_add_u32 s8, s4, s8
	v_mov_b64_e32 v[2:3], s[14:15]
	s_addc_u32 s3, s5, s9
	s_waitcnt lgkmcnt(0)
	v_cmp_gt_i64_e64 s[4:5], s[6:7], -1
	v_cmp_lt_i64_e32 vcc, s[6:7], v[2:3]
	s_and_b64 s[4:5], s[4:5], vcc
	s_and_b32 s9, s3, 0xffff
	s_mov_b64 s[12:13], -1
	s_and_b64 vcc, exec, s[4:5]
	v_cmp_gt_i32_e64 s[4:5], s20, v0
	s_cbranch_vccnz .LBB480_5
; %bb.1:
	s_and_saveexec_b64 s[12:13], s[4:5]
	s_cbranch_execz .LBB480_4
; %bb.2:
	s_load_dword s3, s[0:1], 0x3c
	v_mov_b32_e32 v1, 0
	s_mov_b32 s5, 0
	v_lshlrev_b32_e32 v4, 1, v0
	s_mov_b64 s[14:15], 0
	s_waitcnt lgkmcnt(0)
	s_and_b32 s4, s3, 0xffff
	s_lshl_b32 s3, s4, 1
	s_mov_b32 s11, 0x20000
	v_mov_b64_e32 v[2:3], v[0:1]
.LBB480_3:                              ; =>This Inner Loop Header: Depth=1
	v_lshl_add_u64 v[2:3], v[2:3], 0, s[4:5]
	v_cmp_le_i64_e32 vcc, s[20:21], v[2:3]
	buffer_store_short v1, v4, s[8:11], 0 offen
	s_or_b64 s[14:15], vcc, s[14:15]
	v_add_u32_e32 v4, s3, v4
	s_andn2_b64 exec, exec, s[14:15]
	s_cbranch_execnz .LBB480_3
.LBB480_4:
	s_or_b64 exec, exec, s[12:13]
	s_mov_b64 s[12:13], 0
.LBB480_5:
	s_andn2_b64 vcc, exec, s[12:13]
	s_cbranch_vccnz .LBB480_13
; %bb.6:
	v_cmp_gt_i32_e32 vcc, s20, v0
	s_and_saveexec_b64 s[4:5], vcc
	s_cbranch_execz .LBB480_13
; %bb.7:
	s_mul_i32 s3, s20, s7
	s_mul_hi_u32 s4, s20, s6
	s_add_i32 s3, s4, s3
	s_load_dwordx2 s[12:13], s[0:1], 0x8
	s_load_dwordx2 s[4:5], s[0:1], 0x18
	s_mul_i32 s7, s21, s6
	s_add_i32 s7, s3, s7
	s_mul_i32 s6, s20, s6
	s_lshl_b64 s[6:7], s[6:7], 3
	s_waitcnt lgkmcnt(0)
	s_add_u32 s4, s4, s6
	s_load_dword s14, s[0:1], 0x3c
	s_addc_u32 s3, s5, s7
	s_lshl_b64 s[0:1], s[20:21], 2
	s_add_u32 s0, s4, s0
	s_addc_u32 s1, s3, s1
	s_and_b32 s5, s3, 0xffff
	s_mul_i32 s3, s2, s21
	s_mul_hi_u32 s15, s2, s20
	s_add_i32 s3, s15, s3
	s_mul_i32 s2, s2, s20
	s_lshl_b32 s6, s20, 2
	s_and_b32 s1, s1, 0xffff
	s_lshl_b64 s[2:3], s[2:3], 2
	s_add_u32 s12, s12, s2
	s_addc_u32 s13, s13, s3
	s_lshl_b64 s[2:3], s[20:21], 1
	s_add_u32 s16, s12, s2
	s_mov_b32 s11, 0x20000
	s_addc_u32 s2, s13, s3
	s_waitcnt lgkmcnt(0)
	s_and_b32 s22, s14, 0xffff
                                        ; implicit-def: $vgpr5
                                        ; implicit-def: $vgpr5
	;; [unrolled: 1-line block ×4, first 2 shown]
	s_mov_b32 s7, s11
	s_and_b32 s13, s13, 0xffff
	s_mov_b64 s[18:19], s[10:11]
	s_and_b32 s17, s2, 0xffff
	s_mov_b32 s23, 0
	v_mov_b32_e32 v1, 0
	v_lshlrev_b32_e32 v2, 2, v0
	s_lshl_b32 s26, s22, 2
	v_lshlrev_b32_e32 v3, 1, v0
	s_lshl_b32 s27, s22, 1
	s_mov_b64 s[24:25], 0
	s_mov_b32 s15, s11
	s_mov_b32 s14, s10
	;; [unrolled: 1-line block ×11, first 2 shown]
	v_mov_b32_e32 v4, 0x3ba10414
	s_brev_b32 s38, -2
	v_mov_b32_e32 v5, 0xb9c68948
	v_mov_b32_e32 v6, 0x7f800000
	s_branch .LBB480_9
.LBB480_8:                              ;   in Loop: Header=BB480_9 Depth=1
	s_or_b64 exec, exec, s[2:3]
	v_cvt_f32_f16_e32 v7, v7
	v_bfi_b32 v10, s38, v11, v10
	v_mul_f32_e32 v9, 0.5, v9
	v_add_f32_e32 v10, 1.0, v10
	s_waitcnt vmcnt(0)
	v_add_f32_e32 v7, v7, v8
	v_mul_f32_e32 v8, v9, v10
	v_lshl_add_u64 v[0:1], v[0:1], 0, s[22:23]
	v_fma_mixlo_f16 v7, v7, v8, 0
	v_cmp_le_i64_e32 vcc, s[20:21], v[0:1]
	buffer_store_short v7, v3, s[8:11], 0 offen
	v_add_u32_e32 v2, s26, v2
	s_or_b64 s[24:25], vcc, s[24:25]
	v_add_u32_e32 v3, s27, v3
	s_andn2_b64 exec, exec, s[24:25]
	s_cbranch_execz .LBB480_13
.LBB480_9:                              ; =>This Inner Loop Header: Depth=1
	buffer_load_ushort v9, v3, s[12:15], 0 offen
	buffer_load_ushort v7, v3, s[16:19], 0 offen
	buffer_load_dword v10, v2, s[4:7], 0 offen
	s_mov_b32 s2, s6
	s_mov_b32 s3, s7
	buffer_load_dword v8, v2, s[0:3], 0 offen
                                        ; implicit-def: $vgpr11
	s_waitcnt vmcnt(3)
	v_cvt_f32_f16_e32 v9, v9
	s_waitcnt vmcnt(1)
	v_add_f32_e32 v9, v9, v10
	v_mul_f32_e32 v10, 0x3f3504f3, v9
	v_cmp_nlt_f32_e64 s[2:3], |v10|, 1.0
	s_and_saveexec_b64 s[40:41], s[2:3]
	s_xor_b64 s[2:3], exec, s[40:41]
	s_cbranch_execz .LBB480_11
; %bb.10:                               ;   in Loop: Header=BB480_9 Depth=1
	v_fma_f32 v11, |v10|, s28, v5
	v_fma_f32 v11, |v10|, v11, s29
	;; [unrolled: 1-line block ×6, first 2 shown]
	v_fma_f32 v11, |v10|, v11, |v10|
	v_mul_f32_e32 v12, 0xbfb8aa3b, v11
	v_fma_f32 v13, v11, s35, -v12
	v_rndne_f32_e32 v14, v12
	v_fmac_f32_e32 v13, 0xb2a5705f, v11
	v_sub_f32_e32 v12, v12, v14
	v_add_f32_e32 v12, v12, v13
	v_cvt_i32_f32_e32 v13, v14
	v_exp_f32_e32 v12, v12
	v_cmp_nlt_f32_e32 vcc, s36, v11
	v_ldexp_f32 v12, v12, v13
	s_nop 0
	v_cndmask_b32_e32 v12, 0, v12, vcc
	v_cmp_ngt_f32_e32 vcc, s37, v11
	s_nop 1
	v_cndmask_b32_e32 v11, v6, v12, vcc
	v_sub_f32_e32 v11, 1.0, v11
.LBB480_11:                             ;   in Loop: Header=BB480_9 Depth=1
	s_andn2_saveexec_b64 s[2:3], s[2:3]
	s_cbranch_execz .LBB480_8
; %bb.12:                               ;   in Loop: Header=BB480_9 Depth=1
	v_mul_f32_e32 v11, v10, v10
	v_fmamk_f32 v12, v11, 0xba1345e1, v4
	v_fmaak_f32 v12, v11, v12, 0xbcdac9b8
	v_fmaak_f32 v12, v11, v12, 0x3de703be
	;; [unrolled: 1-line block ×4, first 2 shown]
	v_fma_f32 v11, |v10|, v11, |v10|
	s_branch .LBB480_8
.LBB480_13:
	s_endpgm
	.section	.rodata,"a",@progbits
	.p2align	6, 0x0
	.amdhsa_kernel _ZN5aiter23act_and_mul_bias_kernelIDF16_DF16_lfTnPFfRKT2_EXadL_ZNS_11gelu_kernelIfEEfRKT_EELi1EEEvPT0_PS8_PKT1_PS2_il
		.amdhsa_group_segment_fixed_size 0
		.amdhsa_private_segment_fixed_size 0
		.amdhsa_kernarg_size 304
		.amdhsa_user_sgpr_count 2
		.amdhsa_user_sgpr_dispatch_ptr 0
		.amdhsa_user_sgpr_queue_ptr 0
		.amdhsa_user_sgpr_kernarg_segment_ptr 1
		.amdhsa_user_sgpr_dispatch_id 0
		.amdhsa_user_sgpr_kernarg_preload_length 0
		.amdhsa_user_sgpr_kernarg_preload_offset 0
		.amdhsa_user_sgpr_private_segment_size 0
		.amdhsa_uses_dynamic_stack 0
		.amdhsa_enable_private_segment 0
		.amdhsa_system_sgpr_workgroup_id_x 1
		.amdhsa_system_sgpr_workgroup_id_y 0
		.amdhsa_system_sgpr_workgroup_id_z 0
		.amdhsa_system_sgpr_workgroup_info 0
		.amdhsa_system_vgpr_workitem_id 0
		.amdhsa_next_free_vgpr 15
		.amdhsa_next_free_sgpr 42
		.amdhsa_accum_offset 16
		.amdhsa_reserve_vcc 1
		.amdhsa_float_round_mode_32 0
		.amdhsa_float_round_mode_16_64 0
		.amdhsa_float_denorm_mode_32 3
		.amdhsa_float_denorm_mode_16_64 3
		.amdhsa_dx10_clamp 1
		.amdhsa_ieee_mode 1
		.amdhsa_fp16_overflow 0
		.amdhsa_tg_split 0
		.amdhsa_exception_fp_ieee_invalid_op 0
		.amdhsa_exception_fp_denorm_src 0
		.amdhsa_exception_fp_ieee_div_zero 0
		.amdhsa_exception_fp_ieee_overflow 0
		.amdhsa_exception_fp_ieee_underflow 0
		.amdhsa_exception_fp_ieee_inexact 0
		.amdhsa_exception_int_div_zero 0
	.end_amdhsa_kernel
	.section	.text._ZN5aiter23act_and_mul_bias_kernelIDF16_DF16_lfTnPFfRKT2_EXadL_ZNS_11gelu_kernelIfEEfRKT_EELi1EEEvPT0_PS8_PKT1_PS2_il,"axG",@progbits,_ZN5aiter23act_and_mul_bias_kernelIDF16_DF16_lfTnPFfRKT2_EXadL_ZNS_11gelu_kernelIfEEfRKT_EELi1EEEvPT0_PS8_PKT1_PS2_il,comdat
.Lfunc_end480:
	.size	_ZN5aiter23act_and_mul_bias_kernelIDF16_DF16_lfTnPFfRKT2_EXadL_ZNS_11gelu_kernelIfEEfRKT_EELi1EEEvPT0_PS8_PKT1_PS2_il, .Lfunc_end480-_ZN5aiter23act_and_mul_bias_kernelIDF16_DF16_lfTnPFfRKT2_EXadL_ZNS_11gelu_kernelIfEEfRKT_EELi1EEEvPT0_PS8_PKT1_PS2_il
                                        ; -- End function
	.section	.AMDGPU.csdata,"",@progbits
; Kernel info:
; codeLenInByte = 980
; NumSgprs: 48
; NumVgprs: 15
; NumAgprs: 0
; TotalNumVgprs: 15
; ScratchSize: 0
; MemoryBound: 0
; FloatMode: 240
; IeeeMode: 1
; LDSByteSize: 0 bytes/workgroup (compile time only)
; SGPRBlocks: 5
; VGPRBlocks: 1
; NumSGPRsForWavesPerEU: 48
; NumVGPRsForWavesPerEU: 15
; AccumOffset: 16
; Occupancy: 8
; WaveLimiterHint : 0
; COMPUTE_PGM_RSRC2:SCRATCH_EN: 0
; COMPUTE_PGM_RSRC2:USER_SGPR: 2
; COMPUTE_PGM_RSRC2:TRAP_HANDLER: 0
; COMPUTE_PGM_RSRC2:TGID_X_EN: 1
; COMPUTE_PGM_RSRC2:TGID_Y_EN: 0
; COMPUTE_PGM_RSRC2:TGID_Z_EN: 0
; COMPUTE_PGM_RSRC2:TIDIG_COMP_CNT: 0
; COMPUTE_PGM_RSRC3_GFX90A:ACCUM_OFFSET: 3
; COMPUTE_PGM_RSRC3_GFX90A:TG_SPLIT: 0
	.section	.text._ZN5aiter23act_and_mul_bias_kernelIttlfTnPFfRKT2_EXadL_ZNS_11gelu_kernelIfEEfRKT_EELi32EEEvPT0_PS8_PKT1_PS2_il,"axG",@progbits,_ZN5aiter23act_and_mul_bias_kernelIttlfTnPFfRKT2_EXadL_ZNS_11gelu_kernelIfEEfRKT_EELi32EEEvPT0_PS8_PKT1_PS2_il,comdat
	.protected	_ZN5aiter23act_and_mul_bias_kernelIttlfTnPFfRKT2_EXadL_ZNS_11gelu_kernelIfEEfRKT_EELi32EEEvPT0_PS8_PKT1_PS2_il ; -- Begin function _ZN5aiter23act_and_mul_bias_kernelIttlfTnPFfRKT2_EXadL_ZNS_11gelu_kernelIfEEfRKT_EELi32EEEvPT0_PS8_PKT1_PS2_il
	.globl	_ZN5aiter23act_and_mul_bias_kernelIttlfTnPFfRKT2_EXadL_ZNS_11gelu_kernelIfEEfRKT_EELi32EEEvPT0_PS8_PKT1_PS2_il
	.p2align	8
	.type	_ZN5aiter23act_and_mul_bias_kernelIttlfTnPFfRKT2_EXadL_ZNS_11gelu_kernelIfEEfRKT_EELi32EEEvPT0_PS8_PKT1_PS2_il,@function
_ZN5aiter23act_and_mul_bias_kernelIttlfTnPFfRKT2_EXadL_ZNS_11gelu_kernelIfEEfRKT_EELi32EEEvPT0_PS8_PKT1_PS2_il: ; @_ZN5aiter23act_and_mul_bias_kernelIttlfTnPFfRKT2_EXadL_ZNS_11gelu_kernelIfEEfRKT_EELi32EEEvPT0_PS8_PKT1_PS2_il
; %bb.0:
	s_load_dword s24, s[0:1], 0x20
	s_load_dwordx2 s[4:5], s[0:1], 0x0
	s_load_dwordx2 s[6:7], s[0:1], 0x10
	;; [unrolled: 1-line block ×3, first 2 shown]
	s_mov_b32 s3, 0
	s_waitcnt lgkmcnt(0)
	s_ashr_i32 s25, s24, 31
	s_lshl_b64 s[8:9], s[2:3], 3
	s_add_u32 s6, s6, s8
	s_addc_u32 s7, s7, s9
	s_add_i32 s3, s24, 1
	s_load_dwordx2 s[8:9], s[6:7], 0x0
	s_lshr_b32 s6, s3, 31
	s_add_i32 s3, s3, s6
	s_lshl_b32 s3, s3, 1
	s_and_b32 s6, s3, -4
	s_mul_hi_u32 s3, s24, s2
	s_mul_i32 s7, s25, s2
	s_add_i32 s11, s3, s7
	s_mul_i32 s10, s24, s2
	s_lshl_b64 s[10:11], s[10:11], 1
	v_mov_b64_e32 v[2:3], s[12:13]
	s_add_u32 s4, s4, s10
	s_waitcnt lgkmcnt(0)
	v_cmp_gt_i64_e64 s[14:15], s[8:9], -1
	v_cmp_lt_i64_e32 vcc, s[8:9], v[2:3]
	s_addc_u32 s3, s5, s11
	s_and_b64 s[12:13], s[14:15], vcc
	s_and_b32 s5, s3, 0xffff
	s_mov_b64 s[10:11], -1
	s_and_b64 vcc, exec, s[12:13]
	v_lshlrev_b32_e32 v96, 5, v0
	s_cbranch_vccnz .LBB481_5
; %bb.1:
	v_cmp_gt_i32_e32 vcc, s24, v96
	s_and_saveexec_b64 s[10:11], vcc
	s_cbranch_execz .LBB481_4
; %bb.2:
	s_load_dword s3, s[0:1], 0x3c
	s_mov_b32 s13, 0
	s_mov_b32 s16, s13
	;; [unrolled: 1-line block ×3, first 2 shown]
	v_mov_b32_e32 v97, 0
	v_lshlrev_b32_e32 v6, 6, v0
	s_waitcnt lgkmcnt(0)
	s_and_b32 s3, s3, 0xffff
	s_mov_b32 s18, s13
	s_mov_b32 s19, s13
	v_mov_b64_e32 v[0:1], s[16:17]
	s_lshl_b32 s12, s3, 5
	s_lshl_b32 s3, s3, 6
	s_mov_b64 s[14:15], 0
	s_mov_b32 s7, 0x20000
	v_mov_b64_e32 v[2:3], s[18:19]
	v_mov_b64_e32 v[4:5], v[96:97]
.LBB481_3:                              ; =>This Inner Loop Header: Depth=1
	v_lshl_add_u64 v[4:5], s[12:13], 0, v[4:5]
	v_cmp_le_i64_e32 vcc, s[24:25], v[4:5]
	buffer_store_dwordx4 v[0:3], v6, s[4:7], 0 offen
	buffer_store_dwordx4 v[0:3], v6, s[4:7], 16 offen
	;; [unrolled: 1-line block ×4, first 2 shown]
	s_or_b64 s[14:15], vcc, s[14:15]
	v_add_u32_e32 v6, s3, v6
	s_andn2_b64 exec, exec, s[14:15]
	s_cbranch_execnz .LBB481_3
.LBB481_4:
	s_or_b64 exec, exec, s[10:11]
	s_mov_b64 s[10:11], 0
.LBB481_5:
	s_andn2_b64 vcc, exec, s[10:11]
	s_cbranch_vccnz .LBB481_137
; %bb.6:
	v_cmp_gt_i32_e32 vcc, s24, v96
	s_and_saveexec_b64 s[10:11], vcc
	s_cbranch_execz .LBB481_137
; %bb.7:
	s_load_dwordx2 s[14:15], s[0:1], 0x8
	s_load_dwordx2 s[10:11], s[0:1], 0x18
	s_mul_i32 s3, s24, s9
	s_mul_hi_u32 s7, s24, s8
	s_add_i32 s3, s7, s3
	s_mul_i32 s7, s25, s8
	s_add_i32 s9, s3, s7
	s_mul_i32 s8, s24, s8
	s_lshl_b64 s[8:9], s[8:9], 3
	s_waitcnt lgkmcnt(0)
	s_add_u32 s8, s10, s8
	s_addc_u32 s3, s11, s9
	s_lshl_b64 s[10:11], s[24:25], 2
	s_add_u32 s12, s8, s10
	s_addc_u32 s13, s3, s11
	s_and_b32 s9, s3, 0xffff
	s_mul_i32 s3, s2, s25
	s_mul_hi_u32 s16, s2, s24
	s_add_i32 s3, s16, s3
	s_mul_i32 s2, s2, s24
	s_lshl_b32 s10, s24, 2
	s_and_b32 s13, s13, 0xffff
	s_lshl_b64 s[2:3], s[2:3], 2
	s_add_u32 s16, s14, s2
	s_addc_u32 s14, s15, s3
	s_lshl_b64 s[2:3], s[24:25], 1
	s_add_u32 s20, s16, s2
	s_addc_u32 s2, s14, s3
	s_and_b32 s17, s14, 0xffff
	s_and_b32 s21, s2, 0xffff
	s_mov_b32 s7, 0x20000
	s_add_u32 s0, s0, 48
	s_mov_b32 s11, s7
	s_mov_b64 s[22:23], s[6:7]
	v_mov_b32_e32 v97, 0
	s_addc_u32 s1, s1, 0
	s_mov_b64 s[2:3], 0
	s_mov_b32 s19, s7
	s_mov_b32 s18, s6
	;; [unrolled: 1-line block ×3, first 2 shown]
	s_movk_i32 s28, 0x50
	s_movk_i32 s29, 0x60
	;; [unrolled: 1-line block ×3, first 2 shown]
	s_mov_b32 s31, 0x378e98ab
	s_mov_b32 s33, 0x3b7cd369
	;; [unrolled: 1-line block ×9, first 2 shown]
	v_mov_b32_e32 v98, 0x3ba10414
	s_brev_b32 s41, -2
	s_mov_b32 s42, 0x7060302
	v_mov_b32_e32 v99, 0xb9c68948
	v_mov_b32_e32 v100, 0x7f800000
                                        ; implicit-def: $vgpr0
                                        ; implicit-def: $vgpr0
	;; [unrolled: 1-line block ×4, first 2 shown]
	s_branch .LBB481_9
.LBB481_8:                              ;   in Loop: Header=BB481_9 Depth=1
	s_or_b64 exec, exec, s[14:15]
	v_bfi_b32 v8, s41, v9, v8
	v_mul_f32_e32 v2, 0.5, v2
	v_add_f32_e32 v8, 1.0, v8
	v_mul_f32_e32 v2, v2, v8
	v_and_b32_e32 v8, 0xffff0000, v3
	v_add_f32_e32 v7, v7, v8
	v_lshlrev_b32_e32 v3, 16, v3
	v_bfi_b32 v8, s41, v12, v11
	v_add_f32_e32 v6, v6, v3
	v_mul_f32_e32 v3, 0.5, v10
	v_add_f32_e32 v8, 1.0, v8
	v_mul_f32_e32 v3, v3, v8
	;;#ASMSTART
	v_pk_mul_f32 v[2:3], v[2:3], v[6:7]
	;;#ASMEND
	s_load_dword s14, s[0:1], 0xc
	v_perm_b32 v9, v75, v74, s42
	v_perm_b32 v8, v77, v76, s42
	;; [unrolled: 1-line block ×4, first 2 shown]
	s_waitcnt lgkmcnt(0)
	s_and_b32 s14, s14, 0xffff
	s_lshl_b32 s26, s14, 5
	v_lshl_add_u64 v[96:97], s[26:27], 0, v[96:97]
	buffer_store_dwordx4 v[6:9], v101, s[4:7], 0 offen
	v_cmp_le_i64_e32 vcc, s[24:25], v[96:97]
	v_perm_b32 v3, v3, v2, s42
	v_perm_b32 v9, v51, v50, s42
	;; [unrolled: 1-line block ×5, first 2 shown]
	buffer_store_dwordx4 v[6:9], v101, s[4:7], 16 offen
	v_perm_b32 v2, v5, v4, s42
	v_perm_b32 v1, v1, v0, s42
	;; [unrolled: 1-line block ×7, first 2 shown]
	s_or_b64 s[2:3], vcc, s[2:3]
	buffer_store_dwordx4 v[6:9], v101, s[4:7], 32 offen
	buffer_store_dwordx4 v[0:3], v101, s[4:7], 48 offen
	s_andn2_b64 exec, exec, s[2:3]
	s_cbranch_execz .LBB481_137
.LBB481_9:                              ; =>This Inner Loop Header: Depth=1
	v_lshlrev_b32_e32 v101, 1, v96
	v_lshlrev_b32_e32 v4, 2, v96
	s_mov_b32 s14, s10
	s_mov_b32 s15, s11
	buffer_load_dwordx4 v[80:83], v101, s[16:19], 0 offen
	buffer_load_dwordx4 v[56:59], v101, s[16:19], 16 offen
	;; [unrolled: 1-line block ×23, first 2 shown]
	s_nop 0
	buffer_load_dwordx4 v[4:7], v4, s[12:15], s30 offen
                                        ; implicit-def: $vgpr103
	s_waitcnt vmcnt(23)
	v_lshlrev_b32_e32 v102, 16, v80
	s_waitcnt vmcnt(15)
	v_add_f32_e32 v92, v92, v102
	v_mul_f32_e32 v102, 0x3f3504f3, v92
	v_cmp_nlt_f32_e64 s[14:15], |v102|, 1.0
	s_and_saveexec_b64 s[44:45], s[14:15]
	s_xor_b64 s[14:15], exec, s[44:45]
	s_cbranch_execz .LBB481_11
; %bb.10:                               ;   in Loop: Header=BB481_9 Depth=1
	v_fma_f32 v103, |v102|, s31, v99
	v_fma_f32 v103, |v102|, v103, s33
	v_fma_f32 v103, |v102|, v103, s34
	v_fma_f32 v103, |v102|, v103, s35
	v_fma_f32 v103, |v102|, v103, s36
	v_fma_f32 v103, |v102|, v103, s37
	v_fma_f32 v103, |v102|, v103, |v102|
	v_mul_f32_e32 v104, 0xbfb8aa3b, v103
	v_fma_f32 v105, v103, s38, -v104
	v_rndne_f32_e32 v106, v104
	v_fmac_f32_e32 v105, 0xb2a5705f, v103
	v_sub_f32_e32 v104, v104, v106
	v_add_f32_e32 v104, v104, v105
	v_cvt_i32_f32_e32 v105, v106
	v_exp_f32_e32 v104, v104
	v_cmp_nlt_f32_e32 vcc, s39, v103
	v_ldexp_f32 v104, v104, v105
	s_nop 0
	v_cndmask_b32_e32 v104, 0, v104, vcc
	v_cmp_ngt_f32_e32 vcc, s40, v103
	s_nop 1
	v_cndmask_b32_e32 v103, v100, v104, vcc
	v_sub_f32_e32 v103, 1.0, v103
.LBB481_11:                             ;   in Loop: Header=BB481_9 Depth=1
	s_andn2_saveexec_b64 s[14:15], s[14:15]
; %bb.12:                               ;   in Loop: Header=BB481_9 Depth=1
	v_mul_f32_e32 v103, v102, v102
	v_fmamk_f32 v104, v103, 0xba1345e1, v98
	v_fmaak_f32 v104, v103, v104, 0xbcdac9b8
	v_fmaak_f32 v104, v103, v104, 0x3de703be
	;; [unrolled: 1-line block ×4, first 2 shown]
	v_fma_f32 v103, |v102|, v103, |v102|
; %bb.13:                               ;   in Loop: Header=BB481_9 Depth=1
	s_or_b64 exec, exec, s[14:15]
	v_and_b32_e32 v80, 0xffff0000, v80
	v_add_f32_e32 v80, v93, v80
	v_mul_f32_e32 v93, 0x3f3504f3, v80
	v_cmp_nlt_f32_e64 s[14:15], |v93|, 1.0
                                        ; implicit-def: $vgpr104
	s_and_saveexec_b64 s[44:45], s[14:15]
	s_xor_b64 s[14:15], exec, s[44:45]
	s_cbranch_execz .LBB481_15
; %bb.14:                               ;   in Loop: Header=BB481_9 Depth=1
	v_fma_f32 v104, |v93|, s31, v99
	v_fma_f32 v104, |v93|, v104, s33
	;; [unrolled: 1-line block ×6, first 2 shown]
	v_fma_f32 v104, |v93|, v104, |v93|
	v_mul_f32_e32 v105, 0xbfb8aa3b, v104
	v_fma_f32 v106, v104, s38, -v105
	v_rndne_f32_e32 v107, v105
	v_fmac_f32_e32 v106, 0xb2a5705f, v104
	v_sub_f32_e32 v105, v105, v107
	v_add_f32_e32 v105, v105, v106
	v_cvt_i32_f32_e32 v106, v107
	v_exp_f32_e32 v105, v105
	v_cmp_nlt_f32_e32 vcc, s39, v104
	v_ldexp_f32 v105, v105, v106
	s_nop 0
	v_cndmask_b32_e32 v105, 0, v105, vcc
	v_cmp_ngt_f32_e32 vcc, s40, v104
	s_nop 1
	v_cndmask_b32_e32 v104, v100, v105, vcc
	v_sub_f32_e32 v104, 1.0, v104
.LBB481_15:                             ;   in Loop: Header=BB481_9 Depth=1
	s_andn2_saveexec_b64 s[14:15], s[14:15]
; %bb.16:                               ;   in Loop: Header=BB481_9 Depth=1
	v_mul_f32_e32 v104, v93, v93
	v_fmamk_f32 v105, v104, 0xba1345e1, v98
	v_fmaak_f32 v105, v104, v105, 0xbcdac9b8
	v_fmaak_f32 v105, v104, v105, 0x3de703be
	;; [unrolled: 1-line block ×4, first 2 shown]
	v_fma_f32 v104, |v93|, v104, |v93|
; %bb.17:                               ;   in Loop: Header=BB481_9 Depth=1
	s_or_b64 exec, exec, s[14:15]
	v_bfi_b32 v102, s41, v103, v102
	v_mul_f32_e32 v92, 0.5, v92
	v_add_f32_e32 v102, 1.0, v102
	v_mul_f32_e32 v92, v92, v102
	v_and_b32_e32 v102, 0xffff0000, v72
	v_lshlrev_b32_e32 v72, 16, v72
	s_waitcnt vmcnt(7)
	v_add_f32_e32 v88, v88, v72
	v_mul_f32_e32 v72, 0.5, v80
	v_bfi_b32 v80, s41, v104, v93
	v_add_f32_e32 v80, 1.0, v80
	v_mul_f32_e32 v93, v72, v80
	v_lshlrev_b32_e32 v72, 16, v81
	v_add_f32_e32 v72, v94, v72
	v_mul_f32_e32 v80, 0x3f3504f3, v72
	v_add_f32_e32 v89, v89, v102
	v_cmp_nlt_f32_e64 s[14:15], |v80|, 1.0
	;;#ASMSTART
	v_pk_mul_f32 v[88:89], v[92:93], v[88:89]
	;;#ASMEND
                                        ; implicit-def: $vgpr92
	s_and_saveexec_b64 s[44:45], s[14:15]
	s_xor_b64 s[14:15], exec, s[44:45]
	s_cbranch_execz .LBB481_19
; %bb.18:                               ;   in Loop: Header=BB481_9 Depth=1
	v_fma_f32 v92, |v80|, s31, v99
	v_fma_f32 v92, |v80|, v92, s33
	v_fma_f32 v92, |v80|, v92, s34
	v_fma_f32 v92, |v80|, v92, s35
	v_fma_f32 v92, |v80|, v92, s36
	v_fma_f32 v92, |v80|, v92, s37
	v_fma_f32 v92, |v80|, v92, |v80|
	v_mul_f32_e32 v93, 0xbfb8aa3b, v92
	v_fma_f32 v94, v92, s38, -v93
	v_rndne_f32_e32 v102, v93
	v_fmac_f32_e32 v94, 0xb2a5705f, v92
	v_sub_f32_e32 v93, v93, v102
	v_add_f32_e32 v93, v93, v94
	v_cvt_i32_f32_e32 v94, v102
	v_exp_f32_e32 v93, v93
	v_cmp_nlt_f32_e32 vcc, s39, v92
	v_ldexp_f32 v93, v93, v94
	s_nop 0
	v_cndmask_b32_e32 v93, 0, v93, vcc
	v_cmp_ngt_f32_e32 vcc, s40, v92
	s_nop 1
	v_cndmask_b32_e32 v92, v100, v93, vcc
	v_sub_f32_e32 v92, 1.0, v92
.LBB481_19:                             ;   in Loop: Header=BB481_9 Depth=1
	s_andn2_saveexec_b64 s[14:15], s[14:15]
; %bb.20:                               ;   in Loop: Header=BB481_9 Depth=1
	v_mul_f32_e32 v92, v80, v80
	v_fmamk_f32 v93, v92, 0xba1345e1, v98
	v_fmaak_f32 v93, v92, v93, 0xbcdac9b8
	v_fmaak_f32 v93, v92, v93, 0x3de703be
	;; [unrolled: 1-line block ×4, first 2 shown]
	v_fma_f32 v92, |v80|, v92, |v80|
; %bb.21:                               ;   in Loop: Header=BB481_9 Depth=1
	s_or_b64 exec, exec, s[14:15]
	v_and_b32_e32 v81, 0xffff0000, v81
	v_add_f32_e32 v81, v95, v81
	v_mul_f32_e32 v93, 0x3f3504f3, v81
	v_cmp_nlt_f32_e64 s[14:15], |v93|, 1.0
                                        ; implicit-def: $vgpr94
	s_and_saveexec_b64 s[44:45], s[14:15]
	s_xor_b64 s[14:15], exec, s[44:45]
	s_cbranch_execz .LBB481_23
; %bb.22:                               ;   in Loop: Header=BB481_9 Depth=1
	v_fma_f32 v94, |v93|, s31, v99
	v_fma_f32 v94, |v93|, v94, s33
	;; [unrolled: 1-line block ×6, first 2 shown]
	v_fma_f32 v94, |v93|, v94, |v93|
	v_mul_f32_e32 v95, 0xbfb8aa3b, v94
	v_fma_f32 v102, v94, s38, -v95
	v_rndne_f32_e32 v103, v95
	v_fmac_f32_e32 v102, 0xb2a5705f, v94
	v_sub_f32_e32 v95, v95, v103
	v_add_f32_e32 v95, v95, v102
	v_cvt_i32_f32_e32 v102, v103
	v_exp_f32_e32 v95, v95
	v_cmp_nlt_f32_e32 vcc, s39, v94
	v_ldexp_f32 v95, v95, v102
	s_nop 0
	v_cndmask_b32_e32 v95, 0, v95, vcc
	v_cmp_ngt_f32_e32 vcc, s40, v94
	s_nop 1
	v_cndmask_b32_e32 v94, v100, v95, vcc
	v_sub_f32_e32 v94, 1.0, v94
.LBB481_23:                             ;   in Loop: Header=BB481_9 Depth=1
	s_andn2_saveexec_b64 s[14:15], s[14:15]
; %bb.24:                               ;   in Loop: Header=BB481_9 Depth=1
	v_mul_f32_e32 v94, v93, v93
	v_fmamk_f32 v95, v94, 0xba1345e1, v98
	v_fmaak_f32 v95, v94, v95, 0xbcdac9b8
	v_fmaak_f32 v95, v94, v95, 0x3de703be
	;; [unrolled: 1-line block ×4, first 2 shown]
	v_fma_f32 v94, |v93|, v94, |v93|
; %bb.25:                               ;   in Loop: Header=BB481_9 Depth=1
	s_or_b64 exec, exec, s[14:15]
	v_bfi_b32 v80, s41, v92, v80
	v_mul_f32_e32 v72, 0.5, v72
	v_add_f32_e32 v80, 1.0, v80
	v_mul_f32_e32 v72, v72, v80
	v_and_b32_e32 v80, 0xffff0000, v73
	v_add_f32_e32 v91, v91, v80
	v_lshlrev_b32_e32 v73, 16, v73
	v_bfi_b32 v80, s41, v94, v93
	v_add_f32_e32 v90, v90, v73
	v_mul_f32_e32 v73, 0.5, v81
	v_add_f32_e32 v80, 1.0, v80
	v_mul_f32_e32 v73, v73, v80
	v_lshlrev_b32_e32 v80, 16, v82
	v_add_f32_e32 v80, v84, v80
	v_mul_f32_e32 v81, 0x3f3504f3, v80
	v_cmp_nlt_f32_e64 s[14:15], |v81|, 1.0
	;;#ASMSTART
	v_pk_mul_f32 v[72:73], v[72:73], v[90:91]
	;;#ASMEND
                                        ; implicit-def: $vgpr84
	s_and_saveexec_b64 s[44:45], s[14:15]
	s_xor_b64 s[14:15], exec, s[44:45]
	s_cbranch_execz .LBB481_27
; %bb.26:                               ;   in Loop: Header=BB481_9 Depth=1
	v_fma_f32 v84, |v81|, s31, v99
	v_fma_f32 v84, |v81|, v84, s33
	;; [unrolled: 1-line block ×6, first 2 shown]
	v_fma_f32 v84, |v81|, v84, |v81|
	v_mul_f32_e32 v90, 0xbfb8aa3b, v84
	v_fma_f32 v91, v84, s38, -v90
	v_rndne_f32_e32 v92, v90
	v_fmac_f32_e32 v91, 0xb2a5705f, v84
	v_sub_f32_e32 v90, v90, v92
	v_add_f32_e32 v90, v90, v91
	v_cvt_i32_f32_e32 v91, v92
	v_exp_f32_e32 v90, v90
	v_cmp_nlt_f32_e32 vcc, s39, v84
	v_ldexp_f32 v90, v90, v91
	s_nop 0
	v_cndmask_b32_e32 v90, 0, v90, vcc
	v_cmp_ngt_f32_e32 vcc, s40, v84
	s_nop 1
	v_cndmask_b32_e32 v84, v100, v90, vcc
	v_sub_f32_e32 v84, 1.0, v84
.LBB481_27:                             ;   in Loop: Header=BB481_9 Depth=1
	s_andn2_saveexec_b64 s[14:15], s[14:15]
; %bb.28:                               ;   in Loop: Header=BB481_9 Depth=1
	v_mul_f32_e32 v84, v81, v81
	v_fmamk_f32 v90, v84, 0xba1345e1, v98
	v_fmaak_f32 v90, v84, v90, 0xbcdac9b8
	v_fmaak_f32 v90, v84, v90, 0x3de703be
	;; [unrolled: 1-line block ×4, first 2 shown]
	v_fma_f32 v84, |v81|, v84, |v81|
; %bb.29:                               ;   in Loop: Header=BB481_9 Depth=1
	s_or_b64 exec, exec, s[14:15]
	v_and_b32_e32 v82, 0xffff0000, v82
	v_add_f32_e32 v82, v85, v82
	v_mul_f32_e32 v85, 0x3f3504f3, v82
	v_cmp_nlt_f32_e64 s[14:15], |v85|, 1.0
                                        ; implicit-def: $vgpr90
	s_and_saveexec_b64 s[44:45], s[14:15]
	s_xor_b64 s[14:15], exec, s[44:45]
	s_cbranch_execz .LBB481_31
; %bb.30:                               ;   in Loop: Header=BB481_9 Depth=1
	v_fma_f32 v90, |v85|, s31, v99
	v_fma_f32 v90, |v85|, v90, s33
	;; [unrolled: 1-line block ×6, first 2 shown]
	v_fma_f32 v90, |v85|, v90, |v85|
	v_mul_f32_e32 v91, 0xbfb8aa3b, v90
	v_fma_f32 v92, v90, s38, -v91
	v_rndne_f32_e32 v93, v91
	v_fmac_f32_e32 v92, 0xb2a5705f, v90
	v_sub_f32_e32 v91, v91, v93
	v_add_f32_e32 v91, v91, v92
	v_cvt_i32_f32_e32 v92, v93
	v_exp_f32_e32 v91, v91
	v_cmp_nlt_f32_e32 vcc, s39, v90
	v_ldexp_f32 v91, v91, v92
	s_nop 0
	v_cndmask_b32_e32 v91, 0, v91, vcc
	v_cmp_ngt_f32_e32 vcc, s40, v90
	s_nop 1
	v_cndmask_b32_e32 v90, v100, v91, vcc
	v_sub_f32_e32 v90, 1.0, v90
.LBB481_31:                             ;   in Loop: Header=BB481_9 Depth=1
	s_andn2_saveexec_b64 s[14:15], s[14:15]
; %bb.32:                               ;   in Loop: Header=BB481_9 Depth=1
	v_mul_f32_e32 v90, v85, v85
	v_fmamk_f32 v91, v90, 0xba1345e1, v98
	v_fmaak_f32 v91, v90, v91, 0xbcdac9b8
	v_fmaak_f32 v91, v90, v91, 0x3de703be
	;; [unrolled: 1-line block ×4, first 2 shown]
	v_fma_f32 v90, |v85|, v90, |v85|
; %bb.33:                               ;   in Loop: Header=BB481_9 Depth=1
	s_or_b64 exec, exec, s[14:15]
	v_bfi_b32 v81, s41, v84, v81
	v_mul_f32_e32 v80, 0.5, v80
	v_add_f32_e32 v81, 1.0, v81
	v_mul_f32_e32 v80, v80, v81
	v_and_b32_e32 v81, 0xffff0000, v74
	s_waitcnt vmcnt(6)
	v_add_f32_e32 v77, v77, v81
	v_lshlrev_b32_e32 v74, 16, v74
	v_bfi_b32 v81, s41, v90, v85
	v_add_f32_e32 v76, v76, v74
	v_mul_f32_e32 v74, 0.5, v82
	v_add_f32_e32 v81, 1.0, v81
	v_mul_f32_e32 v81, v74, v81
	v_lshlrev_b32_e32 v74, 16, v83
	v_add_f32_e32 v74, v86, v74
	;;#ASMSTART
	v_pk_mul_f32 v[76:77], v[80:81], v[76:77]
	;;#ASMEND
	v_mul_f32_e32 v80, 0x3f3504f3, v74
	v_cmp_nlt_f32_e64 s[14:15], |v80|, 1.0
                                        ; implicit-def: $vgpr81
	s_and_saveexec_b64 s[44:45], s[14:15]
	s_xor_b64 s[14:15], exec, s[44:45]
	s_cbranch_execz .LBB481_35
; %bb.34:                               ;   in Loop: Header=BB481_9 Depth=1
	v_fma_f32 v81, |v80|, s31, v99
	v_fma_f32 v81, |v80|, v81, s33
	;; [unrolled: 1-line block ×6, first 2 shown]
	v_fma_f32 v81, |v80|, v81, |v80|
	v_mul_f32_e32 v82, 0xbfb8aa3b, v81
	v_fma_f32 v84, v81, s38, -v82
	v_rndne_f32_e32 v85, v82
	v_fmac_f32_e32 v84, 0xb2a5705f, v81
	v_sub_f32_e32 v82, v82, v85
	v_add_f32_e32 v82, v82, v84
	v_cvt_i32_f32_e32 v84, v85
	v_exp_f32_e32 v82, v82
	v_cmp_nlt_f32_e32 vcc, s39, v81
	v_ldexp_f32 v82, v82, v84
	s_nop 0
	v_cndmask_b32_e32 v82, 0, v82, vcc
	v_cmp_ngt_f32_e32 vcc, s40, v81
	s_nop 1
	v_cndmask_b32_e32 v81, v100, v82, vcc
	v_sub_f32_e32 v81, 1.0, v81
.LBB481_35:                             ;   in Loop: Header=BB481_9 Depth=1
	s_andn2_saveexec_b64 s[14:15], s[14:15]
; %bb.36:                               ;   in Loop: Header=BB481_9 Depth=1
	v_mul_f32_e32 v81, v80, v80
	v_fmamk_f32 v82, v81, 0xba1345e1, v98
	v_fmaak_f32 v82, v81, v82, 0xbcdac9b8
	v_fmaak_f32 v82, v81, v82, 0x3de703be
	;; [unrolled: 1-line block ×4, first 2 shown]
	v_fma_f32 v81, |v80|, v81, |v80|
; %bb.37:                               ;   in Loop: Header=BB481_9 Depth=1
	s_or_b64 exec, exec, s[14:15]
	v_and_b32_e32 v82, 0xffff0000, v83
	v_add_f32_e32 v82, v87, v82
	v_mul_f32_e32 v83, 0x3f3504f3, v82
	v_cmp_nlt_f32_e64 s[14:15], |v83|, 1.0
                                        ; implicit-def: $vgpr84
	s_and_saveexec_b64 s[44:45], s[14:15]
	s_xor_b64 s[14:15], exec, s[44:45]
	s_cbranch_execz .LBB481_39
; %bb.38:                               ;   in Loop: Header=BB481_9 Depth=1
	v_fma_f32 v84, |v83|, s31, v99
	v_fma_f32 v84, |v83|, v84, s33
	;; [unrolled: 1-line block ×6, first 2 shown]
	v_fma_f32 v84, |v83|, v84, |v83|
	v_mul_f32_e32 v85, 0xbfb8aa3b, v84
	v_fma_f32 v86, v84, s38, -v85
	v_rndne_f32_e32 v87, v85
	v_fmac_f32_e32 v86, 0xb2a5705f, v84
	v_sub_f32_e32 v85, v85, v87
	v_add_f32_e32 v85, v85, v86
	v_cvt_i32_f32_e32 v86, v87
	v_exp_f32_e32 v85, v85
	v_cmp_nlt_f32_e32 vcc, s39, v84
	v_ldexp_f32 v85, v85, v86
	s_nop 0
	v_cndmask_b32_e32 v85, 0, v85, vcc
	v_cmp_ngt_f32_e32 vcc, s40, v84
	s_nop 1
	v_cndmask_b32_e32 v84, v100, v85, vcc
	v_sub_f32_e32 v84, 1.0, v84
.LBB481_39:                             ;   in Loop: Header=BB481_9 Depth=1
	s_andn2_saveexec_b64 s[14:15], s[14:15]
; %bb.40:                               ;   in Loop: Header=BB481_9 Depth=1
	v_mul_f32_e32 v84, v83, v83
	v_fmamk_f32 v85, v84, 0xba1345e1, v98
	v_fmaak_f32 v85, v84, v85, 0xbcdac9b8
	v_fmaak_f32 v85, v84, v85, 0x3de703be
	;; [unrolled: 1-line block ×4, first 2 shown]
	v_fma_f32 v84, |v83|, v84, |v83|
; %bb.41:                               ;   in Loop: Header=BB481_9 Depth=1
	s_or_b64 exec, exec, s[14:15]
	v_bfi_b32 v80, s41, v81, v80
	v_mul_f32_e32 v74, 0.5, v74
	v_add_f32_e32 v80, 1.0, v80
	v_mul_f32_e32 v74, v74, v80
	v_and_b32_e32 v80, 0xffff0000, v75
	v_add_f32_e32 v79, v79, v80
	v_lshlrev_b32_e32 v75, 16, v75
	v_bfi_b32 v80, s41, v84, v83
	v_add_f32_e32 v78, v78, v75
	v_mul_f32_e32 v75, 0.5, v82
	v_add_f32_e32 v80, 1.0, v80
	v_mul_f32_e32 v75, v75, v80
	;;#ASMSTART
	v_pk_mul_f32 v[74:75], v[74:75], v[78:79]
	;;#ASMEND
	v_lshlrev_b32_e32 v78, 16, v56
	v_add_f32_e32 v68, v68, v78
	v_mul_f32_e32 v78, 0x3f3504f3, v68
	v_cmp_nlt_f32_e64 s[14:15], |v78|, 1.0
                                        ; implicit-def: $vgpr79
	s_and_saveexec_b64 s[44:45], s[14:15]
	s_xor_b64 s[14:15], exec, s[44:45]
	s_cbranch_execz .LBB481_43
; %bb.42:                               ;   in Loop: Header=BB481_9 Depth=1
	v_fma_f32 v79, |v78|, s31, v99
	v_fma_f32 v79, |v78|, v79, s33
	;; [unrolled: 1-line block ×6, first 2 shown]
	v_fma_f32 v79, |v78|, v79, |v78|
	v_mul_f32_e32 v80, 0xbfb8aa3b, v79
	v_fma_f32 v81, v79, s38, -v80
	v_rndne_f32_e32 v82, v80
	v_fmac_f32_e32 v81, 0xb2a5705f, v79
	v_sub_f32_e32 v80, v80, v82
	v_add_f32_e32 v80, v80, v81
	v_cvt_i32_f32_e32 v81, v82
	v_exp_f32_e32 v80, v80
	v_cmp_nlt_f32_e32 vcc, s39, v79
	v_ldexp_f32 v80, v80, v81
	s_nop 0
	v_cndmask_b32_e32 v80, 0, v80, vcc
	v_cmp_ngt_f32_e32 vcc, s40, v79
	s_nop 1
	v_cndmask_b32_e32 v79, v100, v80, vcc
	v_sub_f32_e32 v79, 1.0, v79
.LBB481_43:                             ;   in Loop: Header=BB481_9 Depth=1
	s_andn2_saveexec_b64 s[14:15], s[14:15]
; %bb.44:                               ;   in Loop: Header=BB481_9 Depth=1
	v_mul_f32_e32 v79, v78, v78
	v_fmamk_f32 v80, v79, 0xba1345e1, v98
	v_fmaak_f32 v80, v79, v80, 0xbcdac9b8
	v_fmaak_f32 v80, v79, v80, 0x3de703be
	;; [unrolled: 1-line block ×4, first 2 shown]
	v_fma_f32 v79, |v78|, v79, |v78|
; %bb.45:                               ;   in Loop: Header=BB481_9 Depth=1
	s_or_b64 exec, exec, s[14:15]
	v_and_b32_e32 v56, 0xffff0000, v56
	v_add_f32_e32 v56, v69, v56
	v_mul_f32_e32 v69, 0x3f3504f3, v56
	v_cmp_nlt_f32_e64 s[14:15], |v69|, 1.0
                                        ; implicit-def: $vgpr80
	s_and_saveexec_b64 s[44:45], s[14:15]
	s_xor_b64 s[14:15], exec, s[44:45]
	s_cbranch_execz .LBB481_47
; %bb.46:                               ;   in Loop: Header=BB481_9 Depth=1
	v_fma_f32 v80, |v69|, s31, v99
	v_fma_f32 v80, |v69|, v80, s33
	;; [unrolled: 1-line block ×6, first 2 shown]
	v_fma_f32 v80, |v69|, v80, |v69|
	v_mul_f32_e32 v81, 0xbfb8aa3b, v80
	v_fma_f32 v82, v80, s38, -v81
	v_rndne_f32_e32 v83, v81
	v_fmac_f32_e32 v82, 0xb2a5705f, v80
	v_sub_f32_e32 v81, v81, v83
	v_add_f32_e32 v81, v81, v82
	v_cvt_i32_f32_e32 v82, v83
	v_exp_f32_e32 v81, v81
	v_cmp_nlt_f32_e32 vcc, s39, v80
	v_ldexp_f32 v81, v81, v82
	s_nop 0
	v_cndmask_b32_e32 v81, 0, v81, vcc
	v_cmp_ngt_f32_e32 vcc, s40, v80
	s_nop 1
	v_cndmask_b32_e32 v80, v100, v81, vcc
	v_sub_f32_e32 v80, 1.0, v80
.LBB481_47:                             ;   in Loop: Header=BB481_9 Depth=1
	s_andn2_saveexec_b64 s[14:15], s[14:15]
; %bb.48:                               ;   in Loop: Header=BB481_9 Depth=1
	v_mul_f32_e32 v80, v69, v69
	v_fmamk_f32 v81, v80, 0xba1345e1, v98
	v_fmaak_f32 v81, v80, v81, 0xbcdac9b8
	v_fmaak_f32 v81, v80, v81, 0x3de703be
	;; [unrolled: 1-line block ×4, first 2 shown]
	v_fma_f32 v80, |v69|, v80, |v69|
; %bb.49:                               ;   in Loop: Header=BB481_9 Depth=1
	s_or_b64 exec, exec, s[14:15]
	v_bfi_b32 v78, s41, v79, v78
	v_mul_f32_e32 v68, 0.5, v68
	v_add_f32_e32 v78, 1.0, v78
	v_mul_f32_e32 v68, v68, v78
	v_and_b32_e32 v78, 0xffff0000, v48
	v_lshlrev_b32_e32 v48, 16, v48
	s_waitcnt vmcnt(5)
	v_add_f32_e32 v64, v64, v48
	v_mul_f32_e32 v48, 0.5, v56
	v_bfi_b32 v56, s41, v80, v69
	v_add_f32_e32 v56, 1.0, v56
	v_mul_f32_e32 v69, v48, v56
	v_lshlrev_b32_e32 v48, 16, v57
	v_add_f32_e32 v48, v70, v48
	v_mul_f32_e32 v56, 0x3f3504f3, v48
	v_add_f32_e32 v65, v65, v78
	v_cmp_nlt_f32_e64 s[14:15], |v56|, 1.0
	;;#ASMSTART
	v_pk_mul_f32 v[64:65], v[68:69], v[64:65]
	;;#ASMEND
                                        ; implicit-def: $vgpr68
	s_and_saveexec_b64 s[44:45], s[14:15]
	s_xor_b64 s[14:15], exec, s[44:45]
	s_cbranch_execz .LBB481_51
; %bb.50:                               ;   in Loop: Header=BB481_9 Depth=1
	v_fma_f32 v68, |v56|, s31, v99
	v_fma_f32 v68, |v56|, v68, s33
	;; [unrolled: 1-line block ×6, first 2 shown]
	v_fma_f32 v68, |v56|, v68, |v56|
	v_mul_f32_e32 v69, 0xbfb8aa3b, v68
	v_fma_f32 v70, v68, s38, -v69
	v_rndne_f32_e32 v78, v69
	v_fmac_f32_e32 v70, 0xb2a5705f, v68
	v_sub_f32_e32 v69, v69, v78
	v_add_f32_e32 v69, v69, v70
	v_cvt_i32_f32_e32 v70, v78
	v_exp_f32_e32 v69, v69
	v_cmp_nlt_f32_e32 vcc, s39, v68
	v_ldexp_f32 v69, v69, v70
	s_nop 0
	v_cndmask_b32_e32 v69, 0, v69, vcc
	v_cmp_ngt_f32_e32 vcc, s40, v68
	s_nop 1
	v_cndmask_b32_e32 v68, v100, v69, vcc
	v_sub_f32_e32 v68, 1.0, v68
.LBB481_51:                             ;   in Loop: Header=BB481_9 Depth=1
	s_andn2_saveexec_b64 s[14:15], s[14:15]
; %bb.52:                               ;   in Loop: Header=BB481_9 Depth=1
	v_mul_f32_e32 v68, v56, v56
	v_fmamk_f32 v69, v68, 0xba1345e1, v98
	v_fmaak_f32 v69, v68, v69, 0xbcdac9b8
	v_fmaak_f32 v69, v68, v69, 0x3de703be
	;; [unrolled: 1-line block ×4, first 2 shown]
	v_fma_f32 v68, |v56|, v68, |v56|
; %bb.53:                               ;   in Loop: Header=BB481_9 Depth=1
	s_or_b64 exec, exec, s[14:15]
	v_and_b32_e32 v57, 0xffff0000, v57
	v_add_f32_e32 v57, v71, v57
	v_mul_f32_e32 v69, 0x3f3504f3, v57
	v_cmp_nlt_f32_e64 s[14:15], |v69|, 1.0
                                        ; implicit-def: $vgpr70
	s_and_saveexec_b64 s[44:45], s[14:15]
	s_xor_b64 s[14:15], exec, s[44:45]
	s_cbranch_execz .LBB481_55
; %bb.54:                               ;   in Loop: Header=BB481_9 Depth=1
	v_fma_f32 v70, |v69|, s31, v99
	v_fma_f32 v70, |v69|, v70, s33
	;; [unrolled: 1-line block ×6, first 2 shown]
	v_fma_f32 v70, |v69|, v70, |v69|
	v_mul_f32_e32 v71, 0xbfb8aa3b, v70
	v_fma_f32 v78, v70, s38, -v71
	v_rndne_f32_e32 v79, v71
	v_fmac_f32_e32 v78, 0xb2a5705f, v70
	v_sub_f32_e32 v71, v71, v79
	v_add_f32_e32 v71, v71, v78
	v_cvt_i32_f32_e32 v78, v79
	v_exp_f32_e32 v71, v71
	v_cmp_nlt_f32_e32 vcc, s39, v70
	v_ldexp_f32 v71, v71, v78
	s_nop 0
	v_cndmask_b32_e32 v71, 0, v71, vcc
	v_cmp_ngt_f32_e32 vcc, s40, v70
	s_nop 1
	v_cndmask_b32_e32 v70, v100, v71, vcc
	v_sub_f32_e32 v70, 1.0, v70
.LBB481_55:                             ;   in Loop: Header=BB481_9 Depth=1
	s_andn2_saveexec_b64 s[14:15], s[14:15]
; %bb.56:                               ;   in Loop: Header=BB481_9 Depth=1
	v_mul_f32_e32 v70, v69, v69
	v_fmamk_f32 v71, v70, 0xba1345e1, v98
	v_fmaak_f32 v71, v70, v71, 0xbcdac9b8
	v_fmaak_f32 v71, v70, v71, 0x3de703be
	;; [unrolled: 1-line block ×4, first 2 shown]
	v_fma_f32 v70, |v69|, v70, |v69|
; %bb.57:                               ;   in Loop: Header=BB481_9 Depth=1
	s_or_b64 exec, exec, s[14:15]
	v_bfi_b32 v56, s41, v68, v56
	v_mul_f32_e32 v48, 0.5, v48
	v_add_f32_e32 v56, 1.0, v56
	v_mul_f32_e32 v48, v48, v56
	v_and_b32_e32 v56, 0xffff0000, v49
	v_add_f32_e32 v67, v67, v56
	v_lshlrev_b32_e32 v49, 16, v49
	v_bfi_b32 v56, s41, v70, v69
	v_add_f32_e32 v66, v66, v49
	v_mul_f32_e32 v49, 0.5, v57
	v_add_f32_e32 v56, 1.0, v56
	v_mul_f32_e32 v49, v49, v56
	v_lshlrev_b32_e32 v56, 16, v58
	v_add_f32_e32 v56, v60, v56
	v_mul_f32_e32 v57, 0x3f3504f3, v56
	v_cmp_nlt_f32_e64 s[14:15], |v57|, 1.0
	;;#ASMSTART
	v_pk_mul_f32 v[48:49], v[48:49], v[66:67]
	;;#ASMEND
                                        ; implicit-def: $vgpr60
	s_and_saveexec_b64 s[44:45], s[14:15]
	s_xor_b64 s[14:15], exec, s[44:45]
	s_cbranch_execz .LBB481_59
; %bb.58:                               ;   in Loop: Header=BB481_9 Depth=1
	v_fma_f32 v60, |v57|, s31, v99
	v_fma_f32 v60, |v57|, v60, s33
	;; [unrolled: 1-line block ×6, first 2 shown]
	v_fma_f32 v60, |v57|, v60, |v57|
	v_mul_f32_e32 v66, 0xbfb8aa3b, v60
	v_fma_f32 v67, v60, s38, -v66
	v_rndne_f32_e32 v68, v66
	v_fmac_f32_e32 v67, 0xb2a5705f, v60
	v_sub_f32_e32 v66, v66, v68
	v_add_f32_e32 v66, v66, v67
	v_cvt_i32_f32_e32 v67, v68
	v_exp_f32_e32 v66, v66
	v_cmp_nlt_f32_e32 vcc, s39, v60
	v_ldexp_f32 v66, v66, v67
	s_nop 0
	v_cndmask_b32_e32 v66, 0, v66, vcc
	v_cmp_ngt_f32_e32 vcc, s40, v60
	s_nop 1
	v_cndmask_b32_e32 v60, v100, v66, vcc
	v_sub_f32_e32 v60, 1.0, v60
.LBB481_59:                             ;   in Loop: Header=BB481_9 Depth=1
	s_andn2_saveexec_b64 s[14:15], s[14:15]
; %bb.60:                               ;   in Loop: Header=BB481_9 Depth=1
	v_mul_f32_e32 v60, v57, v57
	v_fmamk_f32 v66, v60, 0xba1345e1, v98
	v_fmaak_f32 v66, v60, v66, 0xbcdac9b8
	v_fmaak_f32 v66, v60, v66, 0x3de703be
	;; [unrolled: 1-line block ×4, first 2 shown]
	v_fma_f32 v60, |v57|, v60, |v57|
; %bb.61:                               ;   in Loop: Header=BB481_9 Depth=1
	s_or_b64 exec, exec, s[14:15]
	v_and_b32_e32 v58, 0xffff0000, v58
	v_add_f32_e32 v58, v61, v58
	v_mul_f32_e32 v61, 0x3f3504f3, v58
	v_cmp_nlt_f32_e64 s[14:15], |v61|, 1.0
                                        ; implicit-def: $vgpr66
	s_and_saveexec_b64 s[44:45], s[14:15]
	s_xor_b64 s[14:15], exec, s[44:45]
	s_cbranch_execz .LBB481_63
; %bb.62:                               ;   in Loop: Header=BB481_9 Depth=1
	v_fma_f32 v66, |v61|, s31, v99
	v_fma_f32 v66, |v61|, v66, s33
	;; [unrolled: 1-line block ×6, first 2 shown]
	v_fma_f32 v66, |v61|, v66, |v61|
	v_mul_f32_e32 v67, 0xbfb8aa3b, v66
	v_fma_f32 v68, v66, s38, -v67
	v_rndne_f32_e32 v69, v67
	v_fmac_f32_e32 v68, 0xb2a5705f, v66
	v_sub_f32_e32 v67, v67, v69
	v_add_f32_e32 v67, v67, v68
	v_cvt_i32_f32_e32 v68, v69
	v_exp_f32_e32 v67, v67
	v_cmp_nlt_f32_e32 vcc, s39, v66
	v_ldexp_f32 v67, v67, v68
	s_nop 0
	v_cndmask_b32_e32 v67, 0, v67, vcc
	v_cmp_ngt_f32_e32 vcc, s40, v66
	s_nop 1
	v_cndmask_b32_e32 v66, v100, v67, vcc
	v_sub_f32_e32 v66, 1.0, v66
.LBB481_63:                             ;   in Loop: Header=BB481_9 Depth=1
	s_andn2_saveexec_b64 s[14:15], s[14:15]
; %bb.64:                               ;   in Loop: Header=BB481_9 Depth=1
	v_mul_f32_e32 v66, v61, v61
	v_fmamk_f32 v67, v66, 0xba1345e1, v98
	v_fmaak_f32 v67, v66, v67, 0xbcdac9b8
	v_fmaak_f32 v67, v66, v67, 0x3de703be
	;; [unrolled: 1-line block ×4, first 2 shown]
	v_fma_f32 v66, |v61|, v66, |v61|
; %bb.65:                               ;   in Loop: Header=BB481_9 Depth=1
	s_or_b64 exec, exec, s[14:15]
	v_bfi_b32 v57, s41, v60, v57
	v_mul_f32_e32 v56, 0.5, v56
	v_add_f32_e32 v57, 1.0, v57
	v_mul_f32_e32 v56, v56, v57
	v_and_b32_e32 v57, 0xffff0000, v50
	s_waitcnt vmcnt(4)
	v_add_f32_e32 v53, v53, v57
	v_lshlrev_b32_e32 v50, 16, v50
	v_bfi_b32 v57, s41, v66, v61
	v_add_f32_e32 v52, v52, v50
	v_mul_f32_e32 v50, 0.5, v58
	v_add_f32_e32 v57, 1.0, v57
	v_mul_f32_e32 v57, v50, v57
	v_lshlrev_b32_e32 v50, 16, v59
	v_add_f32_e32 v50, v62, v50
	;;#ASMSTART
	v_pk_mul_f32 v[52:53], v[56:57], v[52:53]
	;;#ASMEND
	v_mul_f32_e32 v56, 0x3f3504f3, v50
	v_cmp_nlt_f32_e64 s[14:15], |v56|, 1.0
                                        ; implicit-def: $vgpr57
	s_and_saveexec_b64 s[44:45], s[14:15]
	s_xor_b64 s[14:15], exec, s[44:45]
	s_cbranch_execz .LBB481_67
; %bb.66:                               ;   in Loop: Header=BB481_9 Depth=1
	v_fma_f32 v57, |v56|, s31, v99
	v_fma_f32 v57, |v56|, v57, s33
	;; [unrolled: 1-line block ×6, first 2 shown]
	v_fma_f32 v57, |v56|, v57, |v56|
	v_mul_f32_e32 v58, 0xbfb8aa3b, v57
	v_fma_f32 v60, v57, s38, -v58
	v_rndne_f32_e32 v61, v58
	v_fmac_f32_e32 v60, 0xb2a5705f, v57
	v_sub_f32_e32 v58, v58, v61
	v_add_f32_e32 v58, v58, v60
	v_cvt_i32_f32_e32 v60, v61
	v_exp_f32_e32 v58, v58
	v_cmp_nlt_f32_e32 vcc, s39, v57
	v_ldexp_f32 v58, v58, v60
	s_nop 0
	v_cndmask_b32_e32 v58, 0, v58, vcc
	v_cmp_ngt_f32_e32 vcc, s40, v57
	s_nop 1
	v_cndmask_b32_e32 v57, v100, v58, vcc
	v_sub_f32_e32 v57, 1.0, v57
.LBB481_67:                             ;   in Loop: Header=BB481_9 Depth=1
	s_andn2_saveexec_b64 s[14:15], s[14:15]
; %bb.68:                               ;   in Loop: Header=BB481_9 Depth=1
	v_mul_f32_e32 v57, v56, v56
	v_fmamk_f32 v58, v57, 0xba1345e1, v98
	v_fmaak_f32 v58, v57, v58, 0xbcdac9b8
	v_fmaak_f32 v58, v57, v58, 0x3de703be
	;; [unrolled: 1-line block ×4, first 2 shown]
	v_fma_f32 v57, |v56|, v57, |v56|
; %bb.69:                               ;   in Loop: Header=BB481_9 Depth=1
	s_or_b64 exec, exec, s[14:15]
	v_and_b32_e32 v58, 0xffff0000, v59
	v_add_f32_e32 v58, v63, v58
	v_mul_f32_e32 v59, 0x3f3504f3, v58
	v_cmp_nlt_f32_e64 s[14:15], |v59|, 1.0
                                        ; implicit-def: $vgpr60
	s_and_saveexec_b64 s[44:45], s[14:15]
	s_xor_b64 s[14:15], exec, s[44:45]
	s_cbranch_execz .LBB481_71
; %bb.70:                               ;   in Loop: Header=BB481_9 Depth=1
	v_fma_f32 v60, |v59|, s31, v99
	v_fma_f32 v60, |v59|, v60, s33
	v_fma_f32 v60, |v59|, v60, s34
	v_fma_f32 v60, |v59|, v60, s35
	v_fma_f32 v60, |v59|, v60, s36
	v_fma_f32 v60, |v59|, v60, s37
	v_fma_f32 v60, |v59|, v60, |v59|
	v_mul_f32_e32 v61, 0xbfb8aa3b, v60
	v_fma_f32 v62, v60, s38, -v61
	v_rndne_f32_e32 v63, v61
	v_fmac_f32_e32 v62, 0xb2a5705f, v60
	v_sub_f32_e32 v61, v61, v63
	v_add_f32_e32 v61, v61, v62
	v_cvt_i32_f32_e32 v62, v63
	v_exp_f32_e32 v61, v61
	v_cmp_nlt_f32_e32 vcc, s39, v60
	v_ldexp_f32 v61, v61, v62
	s_nop 0
	v_cndmask_b32_e32 v61, 0, v61, vcc
	v_cmp_ngt_f32_e32 vcc, s40, v60
	s_nop 1
	v_cndmask_b32_e32 v60, v100, v61, vcc
	v_sub_f32_e32 v60, 1.0, v60
.LBB481_71:                             ;   in Loop: Header=BB481_9 Depth=1
	s_andn2_saveexec_b64 s[14:15], s[14:15]
; %bb.72:                               ;   in Loop: Header=BB481_9 Depth=1
	v_mul_f32_e32 v60, v59, v59
	v_fmamk_f32 v61, v60, 0xba1345e1, v98
	v_fmaak_f32 v61, v60, v61, 0xbcdac9b8
	v_fmaak_f32 v61, v60, v61, 0x3de703be
	v_fmaak_f32 v61, v60, v61, 0xbec09330
	v_fmaak_f32 v60, v60, v61, 0x3e0375d0
	v_fma_f32 v60, |v59|, v60, |v59|
; %bb.73:                               ;   in Loop: Header=BB481_9 Depth=1
	s_or_b64 exec, exec, s[14:15]
	v_bfi_b32 v56, s41, v57, v56
	v_mul_f32_e32 v50, 0.5, v50
	v_add_f32_e32 v56, 1.0, v56
	v_mul_f32_e32 v50, v50, v56
	v_and_b32_e32 v56, 0xffff0000, v51
	v_add_f32_e32 v55, v55, v56
	v_lshlrev_b32_e32 v51, 16, v51
	v_bfi_b32 v56, s41, v60, v59
	v_add_f32_e32 v54, v54, v51
	v_mul_f32_e32 v51, 0.5, v58
	v_add_f32_e32 v56, 1.0, v56
	v_mul_f32_e32 v51, v51, v56
	;;#ASMSTART
	v_pk_mul_f32 v[50:51], v[50:51], v[54:55]
	;;#ASMEND
	v_lshlrev_b32_e32 v54, 16, v32
	v_add_f32_e32 v44, v44, v54
	v_mul_f32_e32 v54, 0x3f3504f3, v44
	v_cmp_nlt_f32_e64 s[14:15], |v54|, 1.0
                                        ; implicit-def: $vgpr55
	s_and_saveexec_b64 s[44:45], s[14:15]
	s_xor_b64 s[14:15], exec, s[44:45]
	s_cbranch_execz .LBB481_75
; %bb.74:                               ;   in Loop: Header=BB481_9 Depth=1
	v_fma_f32 v55, |v54|, s31, v99
	v_fma_f32 v55, |v54|, v55, s33
	;; [unrolled: 1-line block ×6, first 2 shown]
	v_fma_f32 v55, |v54|, v55, |v54|
	v_mul_f32_e32 v56, 0xbfb8aa3b, v55
	v_fma_f32 v57, v55, s38, -v56
	v_rndne_f32_e32 v58, v56
	v_fmac_f32_e32 v57, 0xb2a5705f, v55
	v_sub_f32_e32 v56, v56, v58
	v_add_f32_e32 v56, v56, v57
	v_cvt_i32_f32_e32 v57, v58
	v_exp_f32_e32 v56, v56
	v_cmp_nlt_f32_e32 vcc, s39, v55
	v_ldexp_f32 v56, v56, v57
	s_nop 0
	v_cndmask_b32_e32 v56, 0, v56, vcc
	v_cmp_ngt_f32_e32 vcc, s40, v55
	s_nop 1
	v_cndmask_b32_e32 v55, v100, v56, vcc
	v_sub_f32_e32 v55, 1.0, v55
.LBB481_75:                             ;   in Loop: Header=BB481_9 Depth=1
	s_andn2_saveexec_b64 s[14:15], s[14:15]
; %bb.76:                               ;   in Loop: Header=BB481_9 Depth=1
	v_mul_f32_e32 v55, v54, v54
	v_fmamk_f32 v56, v55, 0xba1345e1, v98
	v_fmaak_f32 v56, v55, v56, 0xbcdac9b8
	v_fmaak_f32 v56, v55, v56, 0x3de703be
	;; [unrolled: 1-line block ×4, first 2 shown]
	v_fma_f32 v55, |v54|, v55, |v54|
; %bb.77:                               ;   in Loop: Header=BB481_9 Depth=1
	s_or_b64 exec, exec, s[14:15]
	v_and_b32_e32 v32, 0xffff0000, v32
	v_add_f32_e32 v32, v45, v32
	v_mul_f32_e32 v45, 0x3f3504f3, v32
	v_cmp_nlt_f32_e64 s[14:15], |v45|, 1.0
                                        ; implicit-def: $vgpr56
	s_and_saveexec_b64 s[44:45], s[14:15]
	s_xor_b64 s[14:15], exec, s[44:45]
	s_cbranch_execz .LBB481_79
; %bb.78:                               ;   in Loop: Header=BB481_9 Depth=1
	v_fma_f32 v56, |v45|, s31, v99
	v_fma_f32 v56, |v45|, v56, s33
	;; [unrolled: 1-line block ×6, first 2 shown]
	v_fma_f32 v56, |v45|, v56, |v45|
	v_mul_f32_e32 v57, 0xbfb8aa3b, v56
	v_fma_f32 v58, v56, s38, -v57
	v_rndne_f32_e32 v59, v57
	v_fmac_f32_e32 v58, 0xb2a5705f, v56
	v_sub_f32_e32 v57, v57, v59
	v_add_f32_e32 v57, v57, v58
	v_cvt_i32_f32_e32 v58, v59
	v_exp_f32_e32 v57, v57
	v_cmp_nlt_f32_e32 vcc, s39, v56
	v_ldexp_f32 v57, v57, v58
	s_nop 0
	v_cndmask_b32_e32 v57, 0, v57, vcc
	v_cmp_ngt_f32_e32 vcc, s40, v56
	s_nop 1
	v_cndmask_b32_e32 v56, v100, v57, vcc
	v_sub_f32_e32 v56, 1.0, v56
.LBB481_79:                             ;   in Loop: Header=BB481_9 Depth=1
	s_andn2_saveexec_b64 s[14:15], s[14:15]
; %bb.80:                               ;   in Loop: Header=BB481_9 Depth=1
	v_mul_f32_e32 v56, v45, v45
	v_fmamk_f32 v57, v56, 0xba1345e1, v98
	v_fmaak_f32 v57, v56, v57, 0xbcdac9b8
	v_fmaak_f32 v57, v56, v57, 0x3de703be
	v_fmaak_f32 v57, v56, v57, 0xbec09330
	v_fmaak_f32 v56, v56, v57, 0x3e0375d0
	v_fma_f32 v56, |v45|, v56, |v45|
; %bb.81:                               ;   in Loop: Header=BB481_9 Depth=1
	s_or_b64 exec, exec, s[14:15]
	v_bfi_b32 v54, s41, v55, v54
	v_mul_f32_e32 v44, 0.5, v44
	v_add_f32_e32 v54, 1.0, v54
	v_mul_f32_e32 v44, v44, v54
	v_and_b32_e32 v54, 0xffff0000, v24
	v_lshlrev_b32_e32 v24, 16, v24
	s_waitcnt vmcnt(3)
	v_add_f32_e32 v40, v40, v24
	v_mul_f32_e32 v24, 0.5, v32
	v_bfi_b32 v32, s41, v56, v45
	v_add_f32_e32 v32, 1.0, v32
	v_mul_f32_e32 v45, v24, v32
	v_lshlrev_b32_e32 v24, 16, v33
	v_add_f32_e32 v24, v46, v24
	v_mul_f32_e32 v32, 0x3f3504f3, v24
	v_add_f32_e32 v41, v41, v54
	v_cmp_nlt_f32_e64 s[14:15], |v32|, 1.0
	;;#ASMSTART
	v_pk_mul_f32 v[40:41], v[44:45], v[40:41]
	;;#ASMEND
                                        ; implicit-def: $vgpr44
	s_and_saveexec_b64 s[44:45], s[14:15]
	s_xor_b64 s[14:15], exec, s[44:45]
	s_cbranch_execz .LBB481_83
; %bb.82:                               ;   in Loop: Header=BB481_9 Depth=1
	v_fma_f32 v44, |v32|, s31, v99
	v_fma_f32 v44, |v32|, v44, s33
	;; [unrolled: 1-line block ×6, first 2 shown]
	v_fma_f32 v44, |v32|, v44, |v32|
	v_mul_f32_e32 v45, 0xbfb8aa3b, v44
	v_fma_f32 v46, v44, s38, -v45
	v_rndne_f32_e32 v54, v45
	v_fmac_f32_e32 v46, 0xb2a5705f, v44
	v_sub_f32_e32 v45, v45, v54
	v_add_f32_e32 v45, v45, v46
	v_cvt_i32_f32_e32 v46, v54
	v_exp_f32_e32 v45, v45
	v_cmp_nlt_f32_e32 vcc, s39, v44
	v_ldexp_f32 v45, v45, v46
	s_nop 0
	v_cndmask_b32_e32 v45, 0, v45, vcc
	v_cmp_ngt_f32_e32 vcc, s40, v44
	s_nop 1
	v_cndmask_b32_e32 v44, v100, v45, vcc
	v_sub_f32_e32 v44, 1.0, v44
.LBB481_83:                             ;   in Loop: Header=BB481_9 Depth=1
	s_andn2_saveexec_b64 s[14:15], s[14:15]
; %bb.84:                               ;   in Loop: Header=BB481_9 Depth=1
	v_mul_f32_e32 v44, v32, v32
	v_fmamk_f32 v45, v44, 0xba1345e1, v98
	v_fmaak_f32 v45, v44, v45, 0xbcdac9b8
	v_fmaak_f32 v45, v44, v45, 0x3de703be
	v_fmaak_f32 v45, v44, v45, 0xbec09330
	v_fmaak_f32 v44, v44, v45, 0x3e0375d0
	v_fma_f32 v44, |v32|, v44, |v32|
; %bb.85:                               ;   in Loop: Header=BB481_9 Depth=1
	s_or_b64 exec, exec, s[14:15]
	v_and_b32_e32 v33, 0xffff0000, v33
	v_add_f32_e32 v33, v47, v33
	v_mul_f32_e32 v45, 0x3f3504f3, v33
	v_cmp_nlt_f32_e64 s[14:15], |v45|, 1.0
                                        ; implicit-def: $vgpr46
	s_and_saveexec_b64 s[44:45], s[14:15]
	s_xor_b64 s[14:15], exec, s[44:45]
	s_cbranch_execz .LBB481_87
; %bb.86:                               ;   in Loop: Header=BB481_9 Depth=1
	v_fma_f32 v46, |v45|, s31, v99
	v_fma_f32 v46, |v45|, v46, s33
	;; [unrolled: 1-line block ×6, first 2 shown]
	v_fma_f32 v46, |v45|, v46, |v45|
	v_mul_f32_e32 v47, 0xbfb8aa3b, v46
	v_fma_f32 v54, v46, s38, -v47
	v_rndne_f32_e32 v55, v47
	v_fmac_f32_e32 v54, 0xb2a5705f, v46
	v_sub_f32_e32 v47, v47, v55
	v_add_f32_e32 v47, v47, v54
	v_cvt_i32_f32_e32 v54, v55
	v_exp_f32_e32 v47, v47
	v_cmp_nlt_f32_e32 vcc, s39, v46
	v_ldexp_f32 v47, v47, v54
	s_nop 0
	v_cndmask_b32_e32 v47, 0, v47, vcc
	v_cmp_ngt_f32_e32 vcc, s40, v46
	s_nop 1
	v_cndmask_b32_e32 v46, v100, v47, vcc
	v_sub_f32_e32 v46, 1.0, v46
.LBB481_87:                             ;   in Loop: Header=BB481_9 Depth=1
	s_andn2_saveexec_b64 s[14:15], s[14:15]
; %bb.88:                               ;   in Loop: Header=BB481_9 Depth=1
	v_mul_f32_e32 v46, v45, v45
	v_fmamk_f32 v47, v46, 0xba1345e1, v98
	v_fmaak_f32 v47, v46, v47, 0xbcdac9b8
	v_fmaak_f32 v47, v46, v47, 0x3de703be
	v_fmaak_f32 v47, v46, v47, 0xbec09330
	v_fmaak_f32 v46, v46, v47, 0x3e0375d0
	v_fma_f32 v46, |v45|, v46, |v45|
; %bb.89:                               ;   in Loop: Header=BB481_9 Depth=1
	s_or_b64 exec, exec, s[14:15]
	v_bfi_b32 v32, s41, v44, v32
	v_mul_f32_e32 v24, 0.5, v24
	v_add_f32_e32 v32, 1.0, v32
	v_mul_f32_e32 v24, v24, v32
	v_and_b32_e32 v32, 0xffff0000, v25
	v_add_f32_e32 v43, v43, v32
	v_lshlrev_b32_e32 v25, 16, v25
	v_bfi_b32 v32, s41, v46, v45
	v_add_f32_e32 v42, v42, v25
	v_mul_f32_e32 v25, 0.5, v33
	v_add_f32_e32 v32, 1.0, v32
	v_mul_f32_e32 v25, v25, v32
	v_lshlrev_b32_e32 v32, 16, v34
	v_add_f32_e32 v32, v36, v32
	v_mul_f32_e32 v33, 0x3f3504f3, v32
	v_cmp_nlt_f32_e64 s[14:15], |v33|, 1.0
	;;#ASMSTART
	v_pk_mul_f32 v[24:25], v[24:25], v[42:43]
	;;#ASMEND
                                        ; implicit-def: $vgpr36
	s_and_saveexec_b64 s[44:45], s[14:15]
	s_xor_b64 s[14:15], exec, s[44:45]
	s_cbranch_execz .LBB481_91
; %bb.90:                               ;   in Loop: Header=BB481_9 Depth=1
	v_fma_f32 v36, |v33|, s31, v99
	v_fma_f32 v36, |v33|, v36, s33
	;; [unrolled: 1-line block ×6, first 2 shown]
	v_fma_f32 v36, |v33|, v36, |v33|
	v_mul_f32_e32 v42, 0xbfb8aa3b, v36
	v_fma_f32 v43, v36, s38, -v42
	v_rndne_f32_e32 v44, v42
	v_fmac_f32_e32 v43, 0xb2a5705f, v36
	v_sub_f32_e32 v42, v42, v44
	v_add_f32_e32 v42, v42, v43
	v_cvt_i32_f32_e32 v43, v44
	v_exp_f32_e32 v42, v42
	v_cmp_nlt_f32_e32 vcc, s39, v36
	v_ldexp_f32 v42, v42, v43
	s_nop 0
	v_cndmask_b32_e32 v42, 0, v42, vcc
	v_cmp_ngt_f32_e32 vcc, s40, v36
	s_nop 1
	v_cndmask_b32_e32 v36, v100, v42, vcc
	v_sub_f32_e32 v36, 1.0, v36
.LBB481_91:                             ;   in Loop: Header=BB481_9 Depth=1
	s_andn2_saveexec_b64 s[14:15], s[14:15]
; %bb.92:                               ;   in Loop: Header=BB481_9 Depth=1
	v_mul_f32_e32 v36, v33, v33
	v_fmamk_f32 v42, v36, 0xba1345e1, v98
	v_fmaak_f32 v42, v36, v42, 0xbcdac9b8
	v_fmaak_f32 v42, v36, v42, 0x3de703be
	;; [unrolled: 1-line block ×4, first 2 shown]
	v_fma_f32 v36, |v33|, v36, |v33|
; %bb.93:                               ;   in Loop: Header=BB481_9 Depth=1
	s_or_b64 exec, exec, s[14:15]
	v_and_b32_e32 v34, 0xffff0000, v34
	v_add_f32_e32 v34, v37, v34
	v_mul_f32_e32 v37, 0x3f3504f3, v34
	v_cmp_nlt_f32_e64 s[14:15], |v37|, 1.0
                                        ; implicit-def: $vgpr42
	s_and_saveexec_b64 s[44:45], s[14:15]
	s_xor_b64 s[14:15], exec, s[44:45]
	s_cbranch_execz .LBB481_95
; %bb.94:                               ;   in Loop: Header=BB481_9 Depth=1
	v_fma_f32 v42, |v37|, s31, v99
	v_fma_f32 v42, |v37|, v42, s33
	;; [unrolled: 1-line block ×6, first 2 shown]
	v_fma_f32 v42, |v37|, v42, |v37|
	v_mul_f32_e32 v43, 0xbfb8aa3b, v42
	v_fma_f32 v44, v42, s38, -v43
	v_rndne_f32_e32 v45, v43
	v_fmac_f32_e32 v44, 0xb2a5705f, v42
	v_sub_f32_e32 v43, v43, v45
	v_add_f32_e32 v43, v43, v44
	v_cvt_i32_f32_e32 v44, v45
	v_exp_f32_e32 v43, v43
	v_cmp_nlt_f32_e32 vcc, s39, v42
	v_ldexp_f32 v43, v43, v44
	s_nop 0
	v_cndmask_b32_e32 v43, 0, v43, vcc
	v_cmp_ngt_f32_e32 vcc, s40, v42
	s_nop 1
	v_cndmask_b32_e32 v42, v100, v43, vcc
	v_sub_f32_e32 v42, 1.0, v42
.LBB481_95:                             ;   in Loop: Header=BB481_9 Depth=1
	s_andn2_saveexec_b64 s[14:15], s[14:15]
; %bb.96:                               ;   in Loop: Header=BB481_9 Depth=1
	v_mul_f32_e32 v42, v37, v37
	v_fmamk_f32 v43, v42, 0xba1345e1, v98
	v_fmaak_f32 v43, v42, v43, 0xbcdac9b8
	v_fmaak_f32 v43, v42, v43, 0x3de703be
	;; [unrolled: 1-line block ×4, first 2 shown]
	v_fma_f32 v42, |v37|, v42, |v37|
; %bb.97:                               ;   in Loop: Header=BB481_9 Depth=1
	s_or_b64 exec, exec, s[14:15]
	v_bfi_b32 v33, s41, v36, v33
	v_mul_f32_e32 v32, 0.5, v32
	v_add_f32_e32 v33, 1.0, v33
	v_mul_f32_e32 v32, v32, v33
	v_and_b32_e32 v33, 0xffff0000, v26
	s_waitcnt vmcnt(2)
	v_add_f32_e32 v29, v29, v33
	v_lshlrev_b32_e32 v26, 16, v26
	v_bfi_b32 v33, s41, v42, v37
	v_add_f32_e32 v28, v28, v26
	v_mul_f32_e32 v26, 0.5, v34
	v_add_f32_e32 v33, 1.0, v33
	v_mul_f32_e32 v33, v26, v33
	v_lshlrev_b32_e32 v26, 16, v35
	v_add_f32_e32 v26, v38, v26
	;;#ASMSTART
	v_pk_mul_f32 v[28:29], v[32:33], v[28:29]
	;;#ASMEND
	v_mul_f32_e32 v32, 0x3f3504f3, v26
	v_cmp_nlt_f32_e64 s[14:15], |v32|, 1.0
                                        ; implicit-def: $vgpr33
	s_and_saveexec_b64 s[44:45], s[14:15]
	s_xor_b64 s[14:15], exec, s[44:45]
	s_cbranch_execz .LBB481_99
; %bb.98:                               ;   in Loop: Header=BB481_9 Depth=1
	v_fma_f32 v33, |v32|, s31, v99
	v_fma_f32 v33, |v32|, v33, s33
	;; [unrolled: 1-line block ×6, first 2 shown]
	v_fma_f32 v33, |v32|, v33, |v32|
	v_mul_f32_e32 v34, 0xbfb8aa3b, v33
	v_fma_f32 v36, v33, s38, -v34
	v_rndne_f32_e32 v37, v34
	v_fmac_f32_e32 v36, 0xb2a5705f, v33
	v_sub_f32_e32 v34, v34, v37
	v_add_f32_e32 v34, v34, v36
	v_cvt_i32_f32_e32 v36, v37
	v_exp_f32_e32 v34, v34
	v_cmp_nlt_f32_e32 vcc, s39, v33
	v_ldexp_f32 v34, v34, v36
	s_nop 0
	v_cndmask_b32_e32 v34, 0, v34, vcc
	v_cmp_ngt_f32_e32 vcc, s40, v33
	s_nop 1
	v_cndmask_b32_e32 v33, v100, v34, vcc
	v_sub_f32_e32 v33, 1.0, v33
.LBB481_99:                             ;   in Loop: Header=BB481_9 Depth=1
	s_andn2_saveexec_b64 s[14:15], s[14:15]
; %bb.100:                              ;   in Loop: Header=BB481_9 Depth=1
	v_mul_f32_e32 v33, v32, v32
	v_fmamk_f32 v34, v33, 0xba1345e1, v98
	v_fmaak_f32 v34, v33, v34, 0xbcdac9b8
	v_fmaak_f32 v34, v33, v34, 0x3de703be
	;; [unrolled: 1-line block ×4, first 2 shown]
	v_fma_f32 v33, |v32|, v33, |v32|
; %bb.101:                              ;   in Loop: Header=BB481_9 Depth=1
	s_or_b64 exec, exec, s[14:15]
	v_and_b32_e32 v34, 0xffff0000, v35
	v_add_f32_e32 v34, v39, v34
	v_mul_f32_e32 v35, 0x3f3504f3, v34
	v_cmp_nlt_f32_e64 s[14:15], |v35|, 1.0
                                        ; implicit-def: $vgpr36
	s_and_saveexec_b64 s[44:45], s[14:15]
	s_xor_b64 s[14:15], exec, s[44:45]
	s_cbranch_execz .LBB481_103
; %bb.102:                              ;   in Loop: Header=BB481_9 Depth=1
	v_fma_f32 v36, |v35|, s31, v99
	v_fma_f32 v36, |v35|, v36, s33
	;; [unrolled: 1-line block ×6, first 2 shown]
	v_fma_f32 v36, |v35|, v36, |v35|
	v_mul_f32_e32 v37, 0xbfb8aa3b, v36
	v_fma_f32 v38, v36, s38, -v37
	v_rndne_f32_e32 v39, v37
	v_fmac_f32_e32 v38, 0xb2a5705f, v36
	v_sub_f32_e32 v37, v37, v39
	v_add_f32_e32 v37, v37, v38
	v_cvt_i32_f32_e32 v38, v39
	v_exp_f32_e32 v37, v37
	v_cmp_nlt_f32_e32 vcc, s39, v36
	v_ldexp_f32 v37, v37, v38
	s_nop 0
	v_cndmask_b32_e32 v37, 0, v37, vcc
	v_cmp_ngt_f32_e32 vcc, s40, v36
	s_nop 1
	v_cndmask_b32_e32 v36, v100, v37, vcc
	v_sub_f32_e32 v36, 1.0, v36
.LBB481_103:                            ;   in Loop: Header=BB481_9 Depth=1
	s_andn2_saveexec_b64 s[14:15], s[14:15]
; %bb.104:                              ;   in Loop: Header=BB481_9 Depth=1
	v_mul_f32_e32 v36, v35, v35
	v_fmamk_f32 v37, v36, 0xba1345e1, v98
	v_fmaak_f32 v37, v36, v37, 0xbcdac9b8
	v_fmaak_f32 v37, v36, v37, 0x3de703be
	;; [unrolled: 1-line block ×4, first 2 shown]
	v_fma_f32 v36, |v35|, v36, |v35|
; %bb.105:                              ;   in Loop: Header=BB481_9 Depth=1
	s_or_b64 exec, exec, s[14:15]
	v_bfi_b32 v32, s41, v33, v32
	v_mul_f32_e32 v26, 0.5, v26
	v_add_f32_e32 v32, 1.0, v32
	v_mul_f32_e32 v26, v26, v32
	v_and_b32_e32 v32, 0xffff0000, v27
	v_add_f32_e32 v31, v31, v32
	v_lshlrev_b32_e32 v27, 16, v27
	v_bfi_b32 v32, s41, v36, v35
	v_add_f32_e32 v30, v30, v27
	v_mul_f32_e32 v27, 0.5, v34
	v_add_f32_e32 v32, 1.0, v32
	v_mul_f32_e32 v27, v27, v32
	;;#ASMSTART
	v_pk_mul_f32 v[26:27], v[26:27], v[30:31]
	;;#ASMEND
	v_lshlrev_b32_e32 v30, 16, v8
	v_add_f32_e32 v20, v20, v30
	v_mul_f32_e32 v30, 0x3f3504f3, v20
	v_cmp_nlt_f32_e64 s[14:15], |v30|, 1.0
                                        ; implicit-def: $vgpr31
	s_and_saveexec_b64 s[44:45], s[14:15]
	s_xor_b64 s[14:15], exec, s[44:45]
	s_cbranch_execz .LBB481_107
; %bb.106:                              ;   in Loop: Header=BB481_9 Depth=1
	v_fma_f32 v31, |v30|, s31, v99
	v_fma_f32 v31, |v30|, v31, s33
	v_fma_f32 v31, |v30|, v31, s34
	v_fma_f32 v31, |v30|, v31, s35
	v_fma_f32 v31, |v30|, v31, s36
	v_fma_f32 v31, |v30|, v31, s37
	v_fma_f32 v31, |v30|, v31, |v30|
	v_mul_f32_e32 v32, 0xbfb8aa3b, v31
	v_fma_f32 v33, v31, s38, -v32
	v_rndne_f32_e32 v34, v32
	v_fmac_f32_e32 v33, 0xb2a5705f, v31
	v_sub_f32_e32 v32, v32, v34
	v_add_f32_e32 v32, v32, v33
	v_cvt_i32_f32_e32 v33, v34
	v_exp_f32_e32 v32, v32
	v_cmp_nlt_f32_e32 vcc, s39, v31
	v_ldexp_f32 v32, v32, v33
	s_nop 0
	v_cndmask_b32_e32 v32, 0, v32, vcc
	v_cmp_ngt_f32_e32 vcc, s40, v31
	s_nop 1
	v_cndmask_b32_e32 v31, v100, v32, vcc
	v_sub_f32_e32 v31, 1.0, v31
.LBB481_107:                            ;   in Loop: Header=BB481_9 Depth=1
	s_andn2_saveexec_b64 s[14:15], s[14:15]
; %bb.108:                              ;   in Loop: Header=BB481_9 Depth=1
	v_mul_f32_e32 v31, v30, v30
	v_fmamk_f32 v32, v31, 0xba1345e1, v98
	v_fmaak_f32 v32, v31, v32, 0xbcdac9b8
	v_fmaak_f32 v32, v31, v32, 0x3de703be
	;; [unrolled: 1-line block ×4, first 2 shown]
	v_fma_f32 v31, |v30|, v31, |v30|
; %bb.109:                              ;   in Loop: Header=BB481_9 Depth=1
	s_or_b64 exec, exec, s[14:15]
	v_and_b32_e32 v8, 0xffff0000, v8
	v_add_f32_e32 v8, v21, v8
	v_mul_f32_e32 v21, 0x3f3504f3, v8
	v_cmp_nlt_f32_e64 s[14:15], |v21|, 1.0
                                        ; implicit-def: $vgpr32
	s_and_saveexec_b64 s[44:45], s[14:15]
	s_xor_b64 s[14:15], exec, s[44:45]
	s_cbranch_execz .LBB481_111
; %bb.110:                              ;   in Loop: Header=BB481_9 Depth=1
	v_fma_f32 v32, |v21|, s31, v99
	v_fma_f32 v32, |v21|, v32, s33
	;; [unrolled: 1-line block ×6, first 2 shown]
	v_fma_f32 v32, |v21|, v32, |v21|
	v_mul_f32_e32 v33, 0xbfb8aa3b, v32
	v_fma_f32 v34, v32, s38, -v33
	v_rndne_f32_e32 v35, v33
	v_fmac_f32_e32 v34, 0xb2a5705f, v32
	v_sub_f32_e32 v33, v33, v35
	v_add_f32_e32 v33, v33, v34
	v_cvt_i32_f32_e32 v34, v35
	v_exp_f32_e32 v33, v33
	v_cmp_nlt_f32_e32 vcc, s39, v32
	v_ldexp_f32 v33, v33, v34
	s_nop 0
	v_cndmask_b32_e32 v33, 0, v33, vcc
	v_cmp_ngt_f32_e32 vcc, s40, v32
	s_nop 1
	v_cndmask_b32_e32 v32, v100, v33, vcc
	v_sub_f32_e32 v32, 1.0, v32
.LBB481_111:                            ;   in Loop: Header=BB481_9 Depth=1
	s_andn2_saveexec_b64 s[14:15], s[14:15]
; %bb.112:                              ;   in Loop: Header=BB481_9 Depth=1
	v_mul_f32_e32 v32, v21, v21
	v_fmamk_f32 v33, v32, 0xba1345e1, v98
	v_fmaak_f32 v33, v32, v33, 0xbcdac9b8
	v_fmaak_f32 v33, v32, v33, 0x3de703be
	;; [unrolled: 1-line block ×4, first 2 shown]
	v_fma_f32 v32, |v21|, v32, |v21|
; %bb.113:                              ;   in Loop: Header=BB481_9 Depth=1
	s_or_b64 exec, exec, s[14:15]
	v_bfi_b32 v30, s41, v31, v30
	v_mul_f32_e32 v20, 0.5, v20
	v_add_f32_e32 v30, 1.0, v30
	v_mul_f32_e32 v20, v20, v30
	v_and_b32_e32 v30, 0xffff0000, v0
	v_lshlrev_b32_e32 v0, 16, v0
	s_waitcnt vmcnt(1)
	v_add_f32_e32 v16, v16, v0
	v_mul_f32_e32 v0, 0.5, v8
	v_bfi_b32 v8, s41, v32, v21
	v_add_f32_e32 v8, 1.0, v8
	v_mul_f32_e32 v21, v0, v8
	v_lshlrev_b32_e32 v0, 16, v9
	v_add_f32_e32 v0, v22, v0
	v_mul_f32_e32 v8, 0x3f3504f3, v0
	v_add_f32_e32 v17, v17, v30
	v_cmp_nlt_f32_e64 s[14:15], |v8|, 1.0
	;;#ASMSTART
	v_pk_mul_f32 v[16:17], v[20:21], v[16:17]
	;;#ASMEND
                                        ; implicit-def: $vgpr20
	s_and_saveexec_b64 s[44:45], s[14:15]
	s_xor_b64 s[14:15], exec, s[44:45]
	s_cbranch_execz .LBB481_115
; %bb.114:                              ;   in Loop: Header=BB481_9 Depth=1
	v_fma_f32 v20, |v8|, s31, v99
	v_fma_f32 v20, |v8|, v20, s33
	;; [unrolled: 1-line block ×6, first 2 shown]
	v_fma_f32 v20, |v8|, v20, |v8|
	v_mul_f32_e32 v21, 0xbfb8aa3b, v20
	v_fma_f32 v22, v20, s38, -v21
	v_rndne_f32_e32 v30, v21
	v_fmac_f32_e32 v22, 0xb2a5705f, v20
	v_sub_f32_e32 v21, v21, v30
	v_add_f32_e32 v21, v21, v22
	v_cvt_i32_f32_e32 v22, v30
	v_exp_f32_e32 v21, v21
	v_cmp_nlt_f32_e32 vcc, s39, v20
	v_ldexp_f32 v21, v21, v22
	s_nop 0
	v_cndmask_b32_e32 v21, 0, v21, vcc
	v_cmp_ngt_f32_e32 vcc, s40, v20
	s_nop 1
	v_cndmask_b32_e32 v20, v100, v21, vcc
	v_sub_f32_e32 v20, 1.0, v20
.LBB481_115:                            ;   in Loop: Header=BB481_9 Depth=1
	s_andn2_saveexec_b64 s[14:15], s[14:15]
; %bb.116:                              ;   in Loop: Header=BB481_9 Depth=1
	v_mul_f32_e32 v20, v8, v8
	v_fmamk_f32 v21, v20, 0xba1345e1, v98
	v_fmaak_f32 v21, v20, v21, 0xbcdac9b8
	v_fmaak_f32 v21, v20, v21, 0x3de703be
	;; [unrolled: 1-line block ×4, first 2 shown]
	v_fma_f32 v20, |v8|, v20, |v8|
; %bb.117:                              ;   in Loop: Header=BB481_9 Depth=1
	s_or_b64 exec, exec, s[14:15]
	v_and_b32_e32 v9, 0xffff0000, v9
	v_add_f32_e32 v9, v23, v9
	v_mul_f32_e32 v21, 0x3f3504f3, v9
	v_cmp_nlt_f32_e64 s[14:15], |v21|, 1.0
                                        ; implicit-def: $vgpr22
	s_and_saveexec_b64 s[44:45], s[14:15]
	s_xor_b64 s[14:15], exec, s[44:45]
	s_cbranch_execz .LBB481_119
; %bb.118:                              ;   in Loop: Header=BB481_9 Depth=1
	v_fma_f32 v22, |v21|, s31, v99
	v_fma_f32 v22, |v21|, v22, s33
	;; [unrolled: 1-line block ×6, first 2 shown]
	v_fma_f32 v22, |v21|, v22, |v21|
	v_mul_f32_e32 v23, 0xbfb8aa3b, v22
	v_fma_f32 v30, v22, s38, -v23
	v_rndne_f32_e32 v31, v23
	v_fmac_f32_e32 v30, 0xb2a5705f, v22
	v_sub_f32_e32 v23, v23, v31
	v_add_f32_e32 v23, v23, v30
	v_cvt_i32_f32_e32 v30, v31
	v_exp_f32_e32 v23, v23
	v_cmp_nlt_f32_e32 vcc, s39, v22
	v_ldexp_f32 v23, v23, v30
	s_nop 0
	v_cndmask_b32_e32 v23, 0, v23, vcc
	v_cmp_ngt_f32_e32 vcc, s40, v22
	s_nop 1
	v_cndmask_b32_e32 v22, v100, v23, vcc
	v_sub_f32_e32 v22, 1.0, v22
.LBB481_119:                            ;   in Loop: Header=BB481_9 Depth=1
	s_andn2_saveexec_b64 s[14:15], s[14:15]
; %bb.120:                              ;   in Loop: Header=BB481_9 Depth=1
	v_mul_f32_e32 v22, v21, v21
	v_fmamk_f32 v23, v22, 0xba1345e1, v98
	v_fmaak_f32 v23, v22, v23, 0xbcdac9b8
	v_fmaak_f32 v23, v22, v23, 0x3de703be
	;; [unrolled: 1-line block ×4, first 2 shown]
	v_fma_f32 v22, |v21|, v22, |v21|
; %bb.121:                              ;   in Loop: Header=BB481_9 Depth=1
	s_or_b64 exec, exec, s[14:15]
	v_bfi_b32 v8, s41, v20, v8
	v_mul_f32_e32 v0, 0.5, v0
	v_add_f32_e32 v8, 1.0, v8
	v_mul_f32_e32 v0, v0, v8
	v_and_b32_e32 v8, 0xffff0000, v1
	v_add_f32_e32 v19, v19, v8
	v_lshlrev_b32_e32 v1, 16, v1
	v_bfi_b32 v8, s41, v22, v21
	v_add_f32_e32 v18, v18, v1
	v_mul_f32_e32 v1, 0.5, v9
	v_add_f32_e32 v8, 1.0, v8
	v_mul_f32_e32 v1, v1, v8
	v_lshlrev_b32_e32 v8, 16, v10
	v_add_f32_e32 v8, v12, v8
	v_mul_f32_e32 v9, 0x3f3504f3, v8
	v_cmp_nlt_f32_e64 s[14:15], |v9|, 1.0
	;;#ASMSTART
	v_pk_mul_f32 v[0:1], v[0:1], v[18:19]
	;;#ASMEND
                                        ; implicit-def: $vgpr12
	s_and_saveexec_b64 s[44:45], s[14:15]
	s_xor_b64 s[14:15], exec, s[44:45]
	s_cbranch_execz .LBB481_123
; %bb.122:                              ;   in Loop: Header=BB481_9 Depth=1
	v_fma_f32 v12, |v9|, s31, v99
	v_fma_f32 v12, |v9|, v12, s33
	;; [unrolled: 1-line block ×6, first 2 shown]
	v_fma_f32 v12, |v9|, v12, |v9|
	v_mul_f32_e32 v18, 0xbfb8aa3b, v12
	v_fma_f32 v19, v12, s38, -v18
	v_rndne_f32_e32 v20, v18
	v_fmac_f32_e32 v19, 0xb2a5705f, v12
	v_sub_f32_e32 v18, v18, v20
	v_add_f32_e32 v18, v18, v19
	v_cvt_i32_f32_e32 v19, v20
	v_exp_f32_e32 v18, v18
	v_cmp_nlt_f32_e32 vcc, s39, v12
	v_ldexp_f32 v18, v18, v19
	s_nop 0
	v_cndmask_b32_e32 v18, 0, v18, vcc
	v_cmp_ngt_f32_e32 vcc, s40, v12
	s_nop 1
	v_cndmask_b32_e32 v12, v100, v18, vcc
	v_sub_f32_e32 v12, 1.0, v12
.LBB481_123:                            ;   in Loop: Header=BB481_9 Depth=1
	s_andn2_saveexec_b64 s[14:15], s[14:15]
; %bb.124:                              ;   in Loop: Header=BB481_9 Depth=1
	v_mul_f32_e32 v12, v9, v9
	v_fmamk_f32 v18, v12, 0xba1345e1, v98
	v_fmaak_f32 v18, v12, v18, 0xbcdac9b8
	v_fmaak_f32 v18, v12, v18, 0x3de703be
	;; [unrolled: 1-line block ×4, first 2 shown]
	v_fma_f32 v12, |v9|, v12, |v9|
; %bb.125:                              ;   in Loop: Header=BB481_9 Depth=1
	s_or_b64 exec, exec, s[14:15]
	v_and_b32_e32 v10, 0xffff0000, v10
	v_add_f32_e32 v10, v13, v10
	v_mul_f32_e32 v13, 0x3f3504f3, v10
	v_cmp_nlt_f32_e64 s[14:15], |v13|, 1.0
                                        ; implicit-def: $vgpr18
	s_and_saveexec_b64 s[44:45], s[14:15]
	s_xor_b64 s[14:15], exec, s[44:45]
	s_cbranch_execz .LBB481_127
; %bb.126:                              ;   in Loop: Header=BB481_9 Depth=1
	v_fma_f32 v18, |v13|, s31, v99
	v_fma_f32 v18, |v13|, v18, s33
	;; [unrolled: 1-line block ×6, first 2 shown]
	v_fma_f32 v18, |v13|, v18, |v13|
	v_mul_f32_e32 v19, 0xbfb8aa3b, v18
	v_fma_f32 v20, v18, s38, -v19
	v_rndne_f32_e32 v21, v19
	v_fmac_f32_e32 v20, 0xb2a5705f, v18
	v_sub_f32_e32 v19, v19, v21
	v_add_f32_e32 v19, v19, v20
	v_cvt_i32_f32_e32 v20, v21
	v_exp_f32_e32 v19, v19
	v_cmp_nlt_f32_e32 vcc, s39, v18
	v_ldexp_f32 v19, v19, v20
	s_nop 0
	v_cndmask_b32_e32 v19, 0, v19, vcc
	v_cmp_ngt_f32_e32 vcc, s40, v18
	s_nop 1
	v_cndmask_b32_e32 v18, v100, v19, vcc
	v_sub_f32_e32 v18, 1.0, v18
.LBB481_127:                            ;   in Loop: Header=BB481_9 Depth=1
	s_andn2_saveexec_b64 s[14:15], s[14:15]
; %bb.128:                              ;   in Loop: Header=BB481_9 Depth=1
	v_mul_f32_e32 v18, v13, v13
	v_fmamk_f32 v19, v18, 0xba1345e1, v98
	v_fmaak_f32 v19, v18, v19, 0xbcdac9b8
	v_fmaak_f32 v19, v18, v19, 0x3de703be
	;; [unrolled: 1-line block ×4, first 2 shown]
	v_fma_f32 v18, |v13|, v18, |v13|
; %bb.129:                              ;   in Loop: Header=BB481_9 Depth=1
	s_or_b64 exec, exec, s[14:15]
	v_bfi_b32 v9, s41, v12, v9
	v_mul_f32_e32 v8, 0.5, v8
	v_add_f32_e32 v9, 1.0, v9
	v_mul_f32_e32 v8, v8, v9
	v_and_b32_e32 v9, 0xffff0000, v2
	s_waitcnt vmcnt(0)
	v_add_f32_e32 v5, v5, v9
	v_lshlrev_b32_e32 v2, 16, v2
	v_bfi_b32 v9, s41, v18, v13
	v_add_f32_e32 v4, v4, v2
	v_mul_f32_e32 v2, 0.5, v10
	v_add_f32_e32 v9, 1.0, v9
	v_mul_f32_e32 v9, v2, v9
	v_lshlrev_b32_e32 v2, 16, v11
	v_add_f32_e32 v2, v14, v2
	;;#ASMSTART
	v_pk_mul_f32 v[4:5], v[8:9], v[4:5]
	;;#ASMEND
	v_mul_f32_e32 v8, 0x3f3504f3, v2
	v_cmp_nlt_f32_e64 s[14:15], |v8|, 1.0
                                        ; implicit-def: $vgpr9
	s_and_saveexec_b64 s[44:45], s[14:15]
	s_xor_b64 s[14:15], exec, s[44:45]
	s_cbranch_execz .LBB481_131
; %bb.130:                              ;   in Loop: Header=BB481_9 Depth=1
	v_fma_f32 v9, |v8|, s31, v99
	v_fma_f32 v9, |v8|, v9, s33
	;; [unrolled: 1-line block ×6, first 2 shown]
	v_fma_f32 v9, |v8|, v9, |v8|
	v_mul_f32_e32 v10, 0xbfb8aa3b, v9
	v_fma_f32 v12, v9, s38, -v10
	v_rndne_f32_e32 v13, v10
	v_fmac_f32_e32 v12, 0xb2a5705f, v9
	v_sub_f32_e32 v10, v10, v13
	v_add_f32_e32 v10, v10, v12
	v_cvt_i32_f32_e32 v12, v13
	v_exp_f32_e32 v10, v10
	v_cmp_nlt_f32_e32 vcc, s39, v9
	v_ldexp_f32 v10, v10, v12
	s_nop 0
	v_cndmask_b32_e32 v10, 0, v10, vcc
	v_cmp_ngt_f32_e32 vcc, s40, v9
	s_nop 1
	v_cndmask_b32_e32 v9, v100, v10, vcc
	v_sub_f32_e32 v9, 1.0, v9
.LBB481_131:                            ;   in Loop: Header=BB481_9 Depth=1
	s_andn2_saveexec_b64 s[14:15], s[14:15]
; %bb.132:                              ;   in Loop: Header=BB481_9 Depth=1
	v_mul_f32_e32 v9, v8, v8
	v_fmamk_f32 v10, v9, 0xba1345e1, v98
	v_fmaak_f32 v10, v9, v10, 0xbcdac9b8
	v_fmaak_f32 v10, v9, v10, 0x3de703be
	;; [unrolled: 1-line block ×4, first 2 shown]
	v_fma_f32 v9, |v8|, v9, |v8|
; %bb.133:                              ;   in Loop: Header=BB481_9 Depth=1
	s_or_b64 exec, exec, s[14:15]
	v_and_b32_e32 v10, 0xffff0000, v11
	v_add_f32_e32 v10, v15, v10
	v_mul_f32_e32 v11, 0x3f3504f3, v10
	v_cmp_nlt_f32_e64 s[14:15], |v11|, 1.0
                                        ; implicit-def: $vgpr12
	s_and_saveexec_b64 s[44:45], s[14:15]
	s_xor_b64 s[14:15], exec, s[44:45]
	s_cbranch_execz .LBB481_135
; %bb.134:                              ;   in Loop: Header=BB481_9 Depth=1
	v_fma_f32 v12, |v11|, s31, v99
	v_fma_f32 v12, |v11|, v12, s33
	;; [unrolled: 1-line block ×6, first 2 shown]
	v_fma_f32 v12, |v11|, v12, |v11|
	v_mul_f32_e32 v13, 0xbfb8aa3b, v12
	v_fma_f32 v14, v12, s38, -v13
	v_rndne_f32_e32 v15, v13
	v_fmac_f32_e32 v14, 0xb2a5705f, v12
	v_sub_f32_e32 v13, v13, v15
	v_add_f32_e32 v13, v13, v14
	v_cvt_i32_f32_e32 v14, v15
	v_exp_f32_e32 v13, v13
	v_cmp_nlt_f32_e32 vcc, s39, v12
	v_ldexp_f32 v13, v13, v14
	s_nop 0
	v_cndmask_b32_e32 v13, 0, v13, vcc
	v_cmp_ngt_f32_e32 vcc, s40, v12
	s_nop 1
	v_cndmask_b32_e32 v12, v100, v13, vcc
	v_sub_f32_e32 v12, 1.0, v12
.LBB481_135:                            ;   in Loop: Header=BB481_9 Depth=1
	s_andn2_saveexec_b64 s[14:15], s[14:15]
	s_cbranch_execz .LBB481_8
; %bb.136:                              ;   in Loop: Header=BB481_9 Depth=1
	v_mul_f32_e32 v12, v11, v11
	v_fmamk_f32 v13, v12, 0xba1345e1, v98
	v_fmaak_f32 v13, v12, v13, 0xbcdac9b8
	v_fmaak_f32 v13, v12, v13, 0x3de703be
	;; [unrolled: 1-line block ×4, first 2 shown]
	v_fma_f32 v12, |v11|, v12, |v11|
	s_branch .LBB481_8
.LBB481_137:
	s_endpgm
	.section	.rodata,"a",@progbits
	.p2align	6, 0x0
	.amdhsa_kernel _ZN5aiter23act_and_mul_bias_kernelIttlfTnPFfRKT2_EXadL_ZNS_11gelu_kernelIfEEfRKT_EELi32EEEvPT0_PS8_PKT1_PS2_il
		.amdhsa_group_segment_fixed_size 0
		.amdhsa_private_segment_fixed_size 0
		.amdhsa_kernarg_size 304
		.amdhsa_user_sgpr_count 2
		.amdhsa_user_sgpr_dispatch_ptr 0
		.amdhsa_user_sgpr_queue_ptr 0
		.amdhsa_user_sgpr_kernarg_segment_ptr 1
		.amdhsa_user_sgpr_dispatch_id 0
		.amdhsa_user_sgpr_kernarg_preload_length 0
		.amdhsa_user_sgpr_kernarg_preload_offset 0
		.amdhsa_user_sgpr_private_segment_size 0
		.amdhsa_uses_dynamic_stack 0
		.amdhsa_enable_private_segment 0
		.amdhsa_system_sgpr_workgroup_id_x 1
		.amdhsa_system_sgpr_workgroup_id_y 0
		.amdhsa_system_sgpr_workgroup_id_z 0
		.amdhsa_system_sgpr_workgroup_info 0
		.amdhsa_system_vgpr_workitem_id 0
		.amdhsa_next_free_vgpr 108
		.amdhsa_next_free_sgpr 46
		.amdhsa_accum_offset 108
		.amdhsa_reserve_vcc 1
		.amdhsa_float_round_mode_32 0
		.amdhsa_float_round_mode_16_64 0
		.amdhsa_float_denorm_mode_32 3
		.amdhsa_float_denorm_mode_16_64 3
		.amdhsa_dx10_clamp 1
		.amdhsa_ieee_mode 1
		.amdhsa_fp16_overflow 0
		.amdhsa_tg_split 0
		.amdhsa_exception_fp_ieee_invalid_op 0
		.amdhsa_exception_fp_denorm_src 0
		.amdhsa_exception_fp_ieee_div_zero 0
		.amdhsa_exception_fp_ieee_overflow 0
		.amdhsa_exception_fp_ieee_underflow 0
		.amdhsa_exception_fp_ieee_inexact 0
		.amdhsa_exception_int_div_zero 0
	.end_amdhsa_kernel
	.section	.text._ZN5aiter23act_and_mul_bias_kernelIttlfTnPFfRKT2_EXadL_ZNS_11gelu_kernelIfEEfRKT_EELi32EEEvPT0_PS8_PKT1_PS2_il,"axG",@progbits,_ZN5aiter23act_and_mul_bias_kernelIttlfTnPFfRKT2_EXadL_ZNS_11gelu_kernelIfEEfRKT_EELi32EEEvPT0_PS8_PKT1_PS2_il,comdat
.Lfunc_end481:
	.size	_ZN5aiter23act_and_mul_bias_kernelIttlfTnPFfRKT2_EXadL_ZNS_11gelu_kernelIfEEfRKT_EELi32EEEvPT0_PS8_PKT1_PS2_il, .Lfunc_end481-_ZN5aiter23act_and_mul_bias_kernelIttlfTnPFfRKT2_EXadL_ZNS_11gelu_kernelIfEEfRKT_EELi32EEEvPT0_PS8_PKT1_PS2_il
                                        ; -- End function
	.section	.AMDGPU.csdata,"",@progbits
; Kernel info:
; codeLenInByte = 9700
; NumSgprs: 52
; NumVgprs: 108
; NumAgprs: 0
; TotalNumVgprs: 108
; ScratchSize: 0
; MemoryBound: 0
; FloatMode: 240
; IeeeMode: 1
; LDSByteSize: 0 bytes/workgroup (compile time only)
; SGPRBlocks: 6
; VGPRBlocks: 13
; NumSGPRsForWavesPerEU: 52
; NumVGPRsForWavesPerEU: 108
; AccumOffset: 108
; Occupancy: 4
; WaveLimiterHint : 0
; COMPUTE_PGM_RSRC2:SCRATCH_EN: 0
; COMPUTE_PGM_RSRC2:USER_SGPR: 2
; COMPUTE_PGM_RSRC2:TRAP_HANDLER: 0
; COMPUTE_PGM_RSRC2:TGID_X_EN: 1
; COMPUTE_PGM_RSRC2:TGID_Y_EN: 0
; COMPUTE_PGM_RSRC2:TGID_Z_EN: 0
; COMPUTE_PGM_RSRC2:TIDIG_COMP_CNT: 0
; COMPUTE_PGM_RSRC3_GFX90A:ACCUM_OFFSET: 26
; COMPUTE_PGM_RSRC3_GFX90A:TG_SPLIT: 0
	.section	.text._ZN5aiter23act_and_mul_bias_kernelIttlfTnPFfRKT2_EXadL_ZNS_11gelu_kernelIfEEfRKT_EELi16EEEvPT0_PS8_PKT1_PS2_il,"axG",@progbits,_ZN5aiter23act_and_mul_bias_kernelIttlfTnPFfRKT2_EXadL_ZNS_11gelu_kernelIfEEfRKT_EELi16EEEvPT0_PS8_PKT1_PS2_il,comdat
	.protected	_ZN5aiter23act_and_mul_bias_kernelIttlfTnPFfRKT2_EXadL_ZNS_11gelu_kernelIfEEfRKT_EELi16EEEvPT0_PS8_PKT1_PS2_il ; -- Begin function _ZN5aiter23act_and_mul_bias_kernelIttlfTnPFfRKT2_EXadL_ZNS_11gelu_kernelIfEEfRKT_EELi16EEEvPT0_PS8_PKT1_PS2_il
	.globl	_ZN5aiter23act_and_mul_bias_kernelIttlfTnPFfRKT2_EXadL_ZNS_11gelu_kernelIfEEfRKT_EELi16EEEvPT0_PS8_PKT1_PS2_il
	.p2align	8
	.type	_ZN5aiter23act_and_mul_bias_kernelIttlfTnPFfRKT2_EXadL_ZNS_11gelu_kernelIfEEfRKT_EELi16EEEvPT0_PS8_PKT1_PS2_il,@function
_ZN5aiter23act_and_mul_bias_kernelIttlfTnPFfRKT2_EXadL_ZNS_11gelu_kernelIfEEfRKT_EELi16EEEvPT0_PS8_PKT1_PS2_il: ; @_ZN5aiter23act_and_mul_bias_kernelIttlfTnPFfRKT2_EXadL_ZNS_11gelu_kernelIfEEfRKT_EELi16EEEvPT0_PS8_PKT1_PS2_il
; %bb.0:
	s_load_dword s24, s[0:1], 0x20
	s_load_dwordx2 s[4:5], s[0:1], 0x0
	s_load_dwordx2 s[6:7], s[0:1], 0x10
	;; [unrolled: 1-line block ×3, first 2 shown]
	s_mov_b32 s3, 0
	s_waitcnt lgkmcnt(0)
	s_ashr_i32 s25, s24, 31
	s_lshl_b64 s[8:9], s[2:3], 3
	s_add_u32 s6, s6, s8
	s_addc_u32 s7, s7, s9
	s_add_i32 s3, s24, 1
	s_load_dwordx2 s[8:9], s[6:7], 0x0
	s_lshr_b32 s6, s3, 31
	s_add_i32 s3, s3, s6
	s_lshl_b32 s3, s3, 1
	s_and_b32 s6, s3, -4
	s_mul_hi_u32 s3, s24, s2
	s_mul_i32 s7, s25, s2
	s_add_i32 s11, s3, s7
	s_mul_i32 s10, s24, s2
	s_lshl_b64 s[10:11], s[10:11], 1
	v_mov_b64_e32 v[2:3], s[12:13]
	s_add_u32 s4, s4, s10
	s_waitcnt lgkmcnt(0)
	v_cmp_gt_i64_e64 s[14:15], s[8:9], -1
	v_cmp_lt_i64_e32 vcc, s[8:9], v[2:3]
	s_addc_u32 s3, s5, s11
	s_and_b64 s[12:13], s[14:15], vcc
	s_and_b32 s5, s3, 0xffff
	s_mov_b64 s[10:11], -1
	s_and_b64 vcc, exec, s[12:13]
	v_lshlrev_b32_e32 v48, 4, v0
	s_cbranch_vccnz .LBB482_5
; %bb.1:
	v_cmp_gt_i32_e32 vcc, s24, v48
	s_and_saveexec_b64 s[10:11], vcc
	s_cbranch_execz .LBB482_4
; %bb.2:
	s_load_dword s3, s[0:1], 0x3c
	s_mov_b32 s13, 0
	s_mov_b32 s16, s13
	;; [unrolled: 1-line block ×3, first 2 shown]
	v_mov_b32_e32 v49, 0
	v_lshlrev_b32_e32 v6, 5, v0
	s_waitcnt lgkmcnt(0)
	s_and_b32 s3, s3, 0xffff
	s_mov_b32 s18, s13
	s_mov_b32 s19, s13
	v_mov_b64_e32 v[0:1], s[16:17]
	s_lshl_b32 s12, s3, 4
	s_lshl_b32 s3, s3, 5
	s_mov_b64 s[14:15], 0
	s_mov_b32 s7, 0x20000
	v_mov_b64_e32 v[2:3], s[18:19]
	v_mov_b64_e32 v[4:5], v[48:49]
.LBB482_3:                              ; =>This Inner Loop Header: Depth=1
	v_lshl_add_u64 v[4:5], s[12:13], 0, v[4:5]
	v_cmp_le_i64_e32 vcc, s[24:25], v[4:5]
	buffer_store_dwordx4 v[0:3], v6, s[4:7], 0 offen
	buffer_store_dwordx4 v[0:3], v6, s[4:7], 16 offen
	s_or_b64 s[14:15], vcc, s[14:15]
	v_add_u32_e32 v6, s3, v6
	s_andn2_b64 exec, exec, s[14:15]
	s_cbranch_execnz .LBB482_3
.LBB482_4:
	s_or_b64 exec, exec, s[10:11]
	s_mov_b64 s[10:11], 0
.LBB482_5:
	s_andn2_b64 vcc, exec, s[10:11]
	s_cbranch_vccnz .LBB482_73
; %bb.6:
	v_cmp_gt_i32_e32 vcc, s24, v48
	s_and_saveexec_b64 s[10:11], vcc
	s_cbranch_execz .LBB482_73
; %bb.7:
	s_load_dwordx2 s[14:15], s[0:1], 0x8
	s_load_dwordx2 s[10:11], s[0:1], 0x18
	s_mul_i32 s3, s24, s9
	s_mul_hi_u32 s7, s24, s8
	s_add_i32 s3, s7, s3
	s_mul_i32 s7, s25, s8
	s_add_i32 s9, s3, s7
	s_mul_i32 s8, s24, s8
	s_lshl_b64 s[8:9], s[8:9], 3
	s_waitcnt lgkmcnt(0)
	s_add_u32 s8, s10, s8
	s_addc_u32 s3, s11, s9
	s_lshl_b64 s[10:11], s[24:25], 2
	s_add_u32 s12, s8, s10
	s_addc_u32 s13, s3, s11
	s_and_b32 s9, s3, 0xffff
	s_mul_i32 s3, s2, s25
	s_mul_hi_u32 s16, s2, s24
	s_add_i32 s3, s16, s3
	s_mul_i32 s2, s2, s24
	s_lshl_b32 s10, s24, 2
	s_and_b32 s13, s13, 0xffff
	s_lshl_b64 s[2:3], s[2:3], 2
	s_add_u32 s16, s14, s2
	s_addc_u32 s14, s15, s3
	s_lshl_b64 s[2:3], s[24:25], 1
	s_add_u32 s20, s16, s2
	s_addc_u32 s2, s14, s3
	s_and_b32 s17, s14, 0xffff
	s_and_b32 s21, s2, 0xffff
	s_mov_b32 s7, 0x20000
	s_add_u32 s0, s0, 48
	s_mov_b32 s11, s7
	s_mov_b64 s[22:23], s[6:7]
	v_mov_b32_e32 v49, 0
	s_addc_u32 s1, s1, 0
	s_mov_b64 s[2:3], 0
	s_mov_b32 s19, s7
	s_mov_b32 s18, s6
	;; [unrolled: 1-line block ×12, first 2 shown]
	v_mov_b32_e32 v50, 0x3ba10414
	s_brev_b32 s38, -2
	s_mov_b32 s39, 0x7060302
	v_mov_b32_e32 v51, 0xb9c68948
	v_mov_b32_e32 v52, 0x7f800000
                                        ; implicit-def: $vgpr0
                                        ; implicit-def: $vgpr0
	;; [unrolled: 1-line block ×4, first 2 shown]
	s_branch .LBB482_9
.LBB482_8:                              ;   in Loop: Header=BB482_9 Depth=1
	s_or_b64 exec, exec, s[14:15]
	v_bfi_b32 v8, s38, v9, v8
	v_mul_f32_e32 v2, 0.5, v2
	v_add_f32_e32 v8, 1.0, v8
	v_mul_f32_e32 v2, v2, v8
	v_and_b32_e32 v8, 0xffff0000, v3
	v_add_f32_e32 v7, v7, v8
	v_lshlrev_b32_e32 v3, 16, v3
	v_bfi_b32 v8, s38, v12, v11
	v_add_f32_e32 v6, v6, v3
	v_mul_f32_e32 v3, 0.5, v10
	v_add_f32_e32 v8, 1.0, v8
	v_mul_f32_e32 v3, v3, v8
	;;#ASMSTART
	v_pk_mul_f32 v[2:3], v[2:3], v[6:7]
	;;#ASMEND
	s_load_dword s14, s[0:1], 0xc
	v_perm_b32 v9, v27, v26, s39
	v_perm_b32 v8, v29, v28, s39
	;; [unrolled: 1-line block ×4, first 2 shown]
	s_waitcnt lgkmcnt(0)
	s_and_b32 s14, s14, 0xffff
	s_lshl_b32 s26, s14, 4
	v_lshl_add_u64 v[48:49], s[26:27], 0, v[48:49]
	v_cmp_le_i64_e32 vcc, s[24:25], v[48:49]
	v_perm_b32 v3, v3, v2, s39
	v_perm_b32 v2, v5, v4, s39
	;; [unrolled: 1-line block ×4, first 2 shown]
	s_or_b64 s[2:3], vcc, s[2:3]
	buffer_store_dwordx4 v[6:9], v53, s[4:7], 0 offen
	buffer_store_dwordx4 v[0:3], v53, s[4:7], 16 offen
	s_andn2_b64 exec, exec, s[2:3]
	s_cbranch_execz .LBB482_73
.LBB482_9:                              ; =>This Inner Loop Header: Depth=1
	v_lshlrev_b32_e32 v53, 1, v48
	v_lshlrev_b32_e32 v54, 2, v48
	s_mov_b32 s14, s10
	s_mov_b32 s15, s11
	buffer_load_dwordx4 v[32:35], v53, s[16:19], 0 offen
	buffer_load_dwordx4 v[8:11], v53, s[16:19], 16 offen
	;; [unrolled: 1-line block ×12, first 2 shown]
                                        ; implicit-def: $vgpr55
	s_waitcnt vmcnt(11)
	v_lshlrev_b32_e32 v54, 16, v32
	s_waitcnt vmcnt(7)
	v_add_f32_e32 v44, v44, v54
	v_mul_f32_e32 v54, 0x3f3504f3, v44
	v_cmp_nlt_f32_e64 s[14:15], |v54|, 1.0
	s_and_saveexec_b64 s[40:41], s[14:15]
	s_xor_b64 s[14:15], exec, s[40:41]
	s_cbranch_execz .LBB482_11
; %bb.10:                               ;   in Loop: Header=BB482_9 Depth=1
	v_fma_f32 v55, |v54|, s28, v51
	v_fma_f32 v55, |v54|, v55, s29
	;; [unrolled: 1-line block ×6, first 2 shown]
	v_fma_f32 v55, |v54|, v55, |v54|
	v_mul_f32_e32 v56, 0xbfb8aa3b, v55
	v_fma_f32 v57, v55, s35, -v56
	v_rndne_f32_e32 v58, v56
	v_fmac_f32_e32 v57, 0xb2a5705f, v55
	v_sub_f32_e32 v56, v56, v58
	v_add_f32_e32 v56, v56, v57
	v_cvt_i32_f32_e32 v57, v58
	v_exp_f32_e32 v56, v56
	v_cmp_nlt_f32_e32 vcc, s36, v55
	v_ldexp_f32 v56, v56, v57
	s_nop 0
	v_cndmask_b32_e32 v56, 0, v56, vcc
	v_cmp_ngt_f32_e32 vcc, s37, v55
	s_nop 1
	v_cndmask_b32_e32 v55, v52, v56, vcc
	v_sub_f32_e32 v55, 1.0, v55
.LBB482_11:                             ;   in Loop: Header=BB482_9 Depth=1
	s_andn2_saveexec_b64 s[14:15], s[14:15]
; %bb.12:                               ;   in Loop: Header=BB482_9 Depth=1
	v_mul_f32_e32 v55, v54, v54
	v_fmamk_f32 v56, v55, 0xba1345e1, v50
	v_fmaak_f32 v56, v55, v56, 0xbcdac9b8
	v_fmaak_f32 v56, v55, v56, 0x3de703be
	;; [unrolled: 1-line block ×4, first 2 shown]
	v_fma_f32 v55, |v54|, v55, |v54|
; %bb.13:                               ;   in Loop: Header=BB482_9 Depth=1
	s_or_b64 exec, exec, s[14:15]
	v_and_b32_e32 v32, 0xffff0000, v32
	v_add_f32_e32 v32, v45, v32
	v_mul_f32_e32 v45, 0x3f3504f3, v32
	v_cmp_nlt_f32_e64 s[14:15], |v45|, 1.0
                                        ; implicit-def: $vgpr56
	s_and_saveexec_b64 s[40:41], s[14:15]
	s_xor_b64 s[14:15], exec, s[40:41]
	s_cbranch_execz .LBB482_15
; %bb.14:                               ;   in Loop: Header=BB482_9 Depth=1
	v_fma_f32 v56, |v45|, s28, v51
	v_fma_f32 v56, |v45|, v56, s29
	;; [unrolled: 1-line block ×6, first 2 shown]
	v_fma_f32 v56, |v45|, v56, |v45|
	v_mul_f32_e32 v57, 0xbfb8aa3b, v56
	v_fma_f32 v58, v56, s35, -v57
	v_rndne_f32_e32 v59, v57
	v_fmac_f32_e32 v58, 0xb2a5705f, v56
	v_sub_f32_e32 v57, v57, v59
	v_add_f32_e32 v57, v57, v58
	v_cvt_i32_f32_e32 v58, v59
	v_exp_f32_e32 v57, v57
	v_cmp_nlt_f32_e32 vcc, s36, v56
	v_ldexp_f32 v57, v57, v58
	s_nop 0
	v_cndmask_b32_e32 v57, 0, v57, vcc
	v_cmp_ngt_f32_e32 vcc, s37, v56
	s_nop 1
	v_cndmask_b32_e32 v56, v52, v57, vcc
	v_sub_f32_e32 v56, 1.0, v56
.LBB482_15:                             ;   in Loop: Header=BB482_9 Depth=1
	s_andn2_saveexec_b64 s[14:15], s[14:15]
; %bb.16:                               ;   in Loop: Header=BB482_9 Depth=1
	v_mul_f32_e32 v56, v45, v45
	v_fmamk_f32 v57, v56, 0xba1345e1, v50
	v_fmaak_f32 v57, v56, v57, 0xbcdac9b8
	v_fmaak_f32 v57, v56, v57, 0x3de703be
	;; [unrolled: 1-line block ×4, first 2 shown]
	v_fma_f32 v56, |v45|, v56, |v45|
; %bb.17:                               ;   in Loop: Header=BB482_9 Depth=1
	s_or_b64 exec, exec, s[14:15]
	v_bfi_b32 v54, s38, v55, v54
	v_mul_f32_e32 v44, 0.5, v44
	v_add_f32_e32 v54, 1.0, v54
	v_mul_f32_e32 v44, v44, v54
	v_and_b32_e32 v54, 0xffff0000, v24
	v_lshlrev_b32_e32 v24, 16, v24
	s_waitcnt vmcnt(3)
	v_add_f32_e32 v40, v40, v24
	v_mul_f32_e32 v24, 0.5, v32
	v_bfi_b32 v32, s38, v56, v45
	v_add_f32_e32 v32, 1.0, v32
	v_mul_f32_e32 v45, v24, v32
	v_lshlrev_b32_e32 v24, 16, v33
	v_add_f32_e32 v24, v46, v24
	v_mul_f32_e32 v32, 0x3f3504f3, v24
	v_add_f32_e32 v41, v41, v54
	v_cmp_nlt_f32_e64 s[14:15], |v32|, 1.0
	;;#ASMSTART
	v_pk_mul_f32 v[40:41], v[44:45], v[40:41]
	;;#ASMEND
                                        ; implicit-def: $vgpr44
	s_and_saveexec_b64 s[40:41], s[14:15]
	s_xor_b64 s[14:15], exec, s[40:41]
	s_cbranch_execz .LBB482_19
; %bb.18:                               ;   in Loop: Header=BB482_9 Depth=1
	v_fma_f32 v44, |v32|, s28, v51
	v_fma_f32 v44, |v32|, v44, s29
	;; [unrolled: 1-line block ×6, first 2 shown]
	v_fma_f32 v44, |v32|, v44, |v32|
	v_mul_f32_e32 v45, 0xbfb8aa3b, v44
	v_fma_f32 v46, v44, s35, -v45
	v_rndne_f32_e32 v54, v45
	v_fmac_f32_e32 v46, 0xb2a5705f, v44
	v_sub_f32_e32 v45, v45, v54
	v_add_f32_e32 v45, v45, v46
	v_cvt_i32_f32_e32 v46, v54
	v_exp_f32_e32 v45, v45
	v_cmp_nlt_f32_e32 vcc, s36, v44
	v_ldexp_f32 v45, v45, v46
	s_nop 0
	v_cndmask_b32_e32 v45, 0, v45, vcc
	v_cmp_ngt_f32_e32 vcc, s37, v44
	s_nop 1
	v_cndmask_b32_e32 v44, v52, v45, vcc
	v_sub_f32_e32 v44, 1.0, v44
.LBB482_19:                             ;   in Loop: Header=BB482_9 Depth=1
	s_andn2_saveexec_b64 s[14:15], s[14:15]
; %bb.20:                               ;   in Loop: Header=BB482_9 Depth=1
	v_mul_f32_e32 v44, v32, v32
	v_fmamk_f32 v45, v44, 0xba1345e1, v50
	v_fmaak_f32 v45, v44, v45, 0xbcdac9b8
	v_fmaak_f32 v45, v44, v45, 0x3de703be
	;; [unrolled: 1-line block ×4, first 2 shown]
	v_fma_f32 v44, |v32|, v44, |v32|
; %bb.21:                               ;   in Loop: Header=BB482_9 Depth=1
	s_or_b64 exec, exec, s[14:15]
	v_and_b32_e32 v33, 0xffff0000, v33
	v_add_f32_e32 v33, v47, v33
	v_mul_f32_e32 v45, 0x3f3504f3, v33
	v_cmp_nlt_f32_e64 s[14:15], |v45|, 1.0
                                        ; implicit-def: $vgpr46
	s_and_saveexec_b64 s[40:41], s[14:15]
	s_xor_b64 s[14:15], exec, s[40:41]
	s_cbranch_execz .LBB482_23
; %bb.22:                               ;   in Loop: Header=BB482_9 Depth=1
	v_fma_f32 v46, |v45|, s28, v51
	v_fma_f32 v46, |v45|, v46, s29
	;; [unrolled: 1-line block ×6, first 2 shown]
	v_fma_f32 v46, |v45|, v46, |v45|
	v_mul_f32_e32 v47, 0xbfb8aa3b, v46
	v_fma_f32 v54, v46, s35, -v47
	v_rndne_f32_e32 v55, v47
	v_fmac_f32_e32 v54, 0xb2a5705f, v46
	v_sub_f32_e32 v47, v47, v55
	v_add_f32_e32 v47, v47, v54
	v_cvt_i32_f32_e32 v54, v55
	v_exp_f32_e32 v47, v47
	v_cmp_nlt_f32_e32 vcc, s36, v46
	v_ldexp_f32 v47, v47, v54
	s_nop 0
	v_cndmask_b32_e32 v47, 0, v47, vcc
	v_cmp_ngt_f32_e32 vcc, s37, v46
	s_nop 1
	v_cndmask_b32_e32 v46, v52, v47, vcc
	v_sub_f32_e32 v46, 1.0, v46
.LBB482_23:                             ;   in Loop: Header=BB482_9 Depth=1
	s_andn2_saveexec_b64 s[14:15], s[14:15]
; %bb.24:                               ;   in Loop: Header=BB482_9 Depth=1
	v_mul_f32_e32 v46, v45, v45
	v_fmamk_f32 v47, v46, 0xba1345e1, v50
	v_fmaak_f32 v47, v46, v47, 0xbcdac9b8
	v_fmaak_f32 v47, v46, v47, 0x3de703be
	;; [unrolled: 1-line block ×4, first 2 shown]
	v_fma_f32 v46, |v45|, v46, |v45|
; %bb.25:                               ;   in Loop: Header=BB482_9 Depth=1
	s_or_b64 exec, exec, s[14:15]
	v_bfi_b32 v32, s38, v44, v32
	v_mul_f32_e32 v24, 0.5, v24
	v_add_f32_e32 v32, 1.0, v32
	v_mul_f32_e32 v24, v24, v32
	v_and_b32_e32 v32, 0xffff0000, v25
	v_add_f32_e32 v43, v43, v32
	v_lshlrev_b32_e32 v25, 16, v25
	v_bfi_b32 v32, s38, v46, v45
	v_add_f32_e32 v42, v42, v25
	v_mul_f32_e32 v25, 0.5, v33
	v_add_f32_e32 v32, 1.0, v32
	v_mul_f32_e32 v25, v25, v32
	v_lshlrev_b32_e32 v32, 16, v34
	v_add_f32_e32 v32, v36, v32
	v_mul_f32_e32 v33, 0x3f3504f3, v32
	v_cmp_nlt_f32_e64 s[14:15], |v33|, 1.0
	;;#ASMSTART
	v_pk_mul_f32 v[24:25], v[24:25], v[42:43]
	;;#ASMEND
                                        ; implicit-def: $vgpr36
	s_and_saveexec_b64 s[40:41], s[14:15]
	s_xor_b64 s[14:15], exec, s[40:41]
	s_cbranch_execz .LBB482_27
; %bb.26:                               ;   in Loop: Header=BB482_9 Depth=1
	v_fma_f32 v36, |v33|, s28, v51
	v_fma_f32 v36, |v33|, v36, s29
	;; [unrolled: 1-line block ×6, first 2 shown]
	v_fma_f32 v36, |v33|, v36, |v33|
	v_mul_f32_e32 v42, 0xbfb8aa3b, v36
	v_fma_f32 v43, v36, s35, -v42
	v_rndne_f32_e32 v44, v42
	v_fmac_f32_e32 v43, 0xb2a5705f, v36
	v_sub_f32_e32 v42, v42, v44
	v_add_f32_e32 v42, v42, v43
	v_cvt_i32_f32_e32 v43, v44
	v_exp_f32_e32 v42, v42
	v_cmp_nlt_f32_e32 vcc, s36, v36
	v_ldexp_f32 v42, v42, v43
	s_nop 0
	v_cndmask_b32_e32 v42, 0, v42, vcc
	v_cmp_ngt_f32_e32 vcc, s37, v36
	s_nop 1
	v_cndmask_b32_e32 v36, v52, v42, vcc
	v_sub_f32_e32 v36, 1.0, v36
.LBB482_27:                             ;   in Loop: Header=BB482_9 Depth=1
	s_andn2_saveexec_b64 s[14:15], s[14:15]
; %bb.28:                               ;   in Loop: Header=BB482_9 Depth=1
	v_mul_f32_e32 v36, v33, v33
	v_fmamk_f32 v42, v36, 0xba1345e1, v50
	v_fmaak_f32 v42, v36, v42, 0xbcdac9b8
	v_fmaak_f32 v42, v36, v42, 0x3de703be
	;; [unrolled: 1-line block ×4, first 2 shown]
	v_fma_f32 v36, |v33|, v36, |v33|
; %bb.29:                               ;   in Loop: Header=BB482_9 Depth=1
	s_or_b64 exec, exec, s[14:15]
	v_and_b32_e32 v34, 0xffff0000, v34
	v_add_f32_e32 v34, v37, v34
	v_mul_f32_e32 v37, 0x3f3504f3, v34
	v_cmp_nlt_f32_e64 s[14:15], |v37|, 1.0
                                        ; implicit-def: $vgpr42
	s_and_saveexec_b64 s[40:41], s[14:15]
	s_xor_b64 s[14:15], exec, s[40:41]
	s_cbranch_execz .LBB482_31
; %bb.30:                               ;   in Loop: Header=BB482_9 Depth=1
	v_fma_f32 v42, |v37|, s28, v51
	v_fma_f32 v42, |v37|, v42, s29
	;; [unrolled: 1-line block ×6, first 2 shown]
	v_fma_f32 v42, |v37|, v42, |v37|
	v_mul_f32_e32 v43, 0xbfb8aa3b, v42
	v_fma_f32 v44, v42, s35, -v43
	v_rndne_f32_e32 v45, v43
	v_fmac_f32_e32 v44, 0xb2a5705f, v42
	v_sub_f32_e32 v43, v43, v45
	v_add_f32_e32 v43, v43, v44
	v_cvt_i32_f32_e32 v44, v45
	v_exp_f32_e32 v43, v43
	v_cmp_nlt_f32_e32 vcc, s36, v42
	v_ldexp_f32 v43, v43, v44
	s_nop 0
	v_cndmask_b32_e32 v43, 0, v43, vcc
	v_cmp_ngt_f32_e32 vcc, s37, v42
	s_nop 1
	v_cndmask_b32_e32 v42, v52, v43, vcc
	v_sub_f32_e32 v42, 1.0, v42
.LBB482_31:                             ;   in Loop: Header=BB482_9 Depth=1
	s_andn2_saveexec_b64 s[14:15], s[14:15]
; %bb.32:                               ;   in Loop: Header=BB482_9 Depth=1
	v_mul_f32_e32 v42, v37, v37
	v_fmamk_f32 v43, v42, 0xba1345e1, v50
	v_fmaak_f32 v43, v42, v43, 0xbcdac9b8
	v_fmaak_f32 v43, v42, v43, 0x3de703be
	;; [unrolled: 1-line block ×4, first 2 shown]
	v_fma_f32 v42, |v37|, v42, |v37|
; %bb.33:                               ;   in Loop: Header=BB482_9 Depth=1
	s_or_b64 exec, exec, s[14:15]
	v_bfi_b32 v33, s38, v36, v33
	v_mul_f32_e32 v32, 0.5, v32
	v_add_f32_e32 v33, 1.0, v33
	v_mul_f32_e32 v32, v32, v33
	v_and_b32_e32 v33, 0xffff0000, v26
	s_waitcnt vmcnt(2)
	v_add_f32_e32 v29, v29, v33
	v_lshlrev_b32_e32 v26, 16, v26
	v_bfi_b32 v33, s38, v42, v37
	v_add_f32_e32 v28, v28, v26
	v_mul_f32_e32 v26, 0.5, v34
	v_add_f32_e32 v33, 1.0, v33
	v_mul_f32_e32 v33, v26, v33
	v_lshlrev_b32_e32 v26, 16, v35
	v_add_f32_e32 v26, v38, v26
	;;#ASMSTART
	v_pk_mul_f32 v[28:29], v[32:33], v[28:29]
	;;#ASMEND
	v_mul_f32_e32 v32, 0x3f3504f3, v26
	v_cmp_nlt_f32_e64 s[14:15], |v32|, 1.0
                                        ; implicit-def: $vgpr33
	s_and_saveexec_b64 s[40:41], s[14:15]
	s_xor_b64 s[14:15], exec, s[40:41]
	s_cbranch_execz .LBB482_35
; %bb.34:                               ;   in Loop: Header=BB482_9 Depth=1
	v_fma_f32 v33, |v32|, s28, v51
	v_fma_f32 v33, |v32|, v33, s29
	;; [unrolled: 1-line block ×6, first 2 shown]
	v_fma_f32 v33, |v32|, v33, |v32|
	v_mul_f32_e32 v34, 0xbfb8aa3b, v33
	v_fma_f32 v36, v33, s35, -v34
	v_rndne_f32_e32 v37, v34
	v_fmac_f32_e32 v36, 0xb2a5705f, v33
	v_sub_f32_e32 v34, v34, v37
	v_add_f32_e32 v34, v34, v36
	v_cvt_i32_f32_e32 v36, v37
	v_exp_f32_e32 v34, v34
	v_cmp_nlt_f32_e32 vcc, s36, v33
	v_ldexp_f32 v34, v34, v36
	s_nop 0
	v_cndmask_b32_e32 v34, 0, v34, vcc
	v_cmp_ngt_f32_e32 vcc, s37, v33
	s_nop 1
	v_cndmask_b32_e32 v33, v52, v34, vcc
	v_sub_f32_e32 v33, 1.0, v33
.LBB482_35:                             ;   in Loop: Header=BB482_9 Depth=1
	s_andn2_saveexec_b64 s[14:15], s[14:15]
; %bb.36:                               ;   in Loop: Header=BB482_9 Depth=1
	v_mul_f32_e32 v33, v32, v32
	v_fmamk_f32 v34, v33, 0xba1345e1, v50
	v_fmaak_f32 v34, v33, v34, 0xbcdac9b8
	v_fmaak_f32 v34, v33, v34, 0x3de703be
	;; [unrolled: 1-line block ×4, first 2 shown]
	v_fma_f32 v33, |v32|, v33, |v32|
; %bb.37:                               ;   in Loop: Header=BB482_9 Depth=1
	s_or_b64 exec, exec, s[14:15]
	v_and_b32_e32 v34, 0xffff0000, v35
	v_add_f32_e32 v34, v39, v34
	v_mul_f32_e32 v35, 0x3f3504f3, v34
	v_cmp_nlt_f32_e64 s[14:15], |v35|, 1.0
                                        ; implicit-def: $vgpr36
	s_and_saveexec_b64 s[40:41], s[14:15]
	s_xor_b64 s[14:15], exec, s[40:41]
	s_cbranch_execz .LBB482_39
; %bb.38:                               ;   in Loop: Header=BB482_9 Depth=1
	v_fma_f32 v36, |v35|, s28, v51
	v_fma_f32 v36, |v35|, v36, s29
	;; [unrolled: 1-line block ×6, first 2 shown]
	v_fma_f32 v36, |v35|, v36, |v35|
	v_mul_f32_e32 v37, 0xbfb8aa3b, v36
	v_fma_f32 v38, v36, s35, -v37
	v_rndne_f32_e32 v39, v37
	v_fmac_f32_e32 v38, 0xb2a5705f, v36
	v_sub_f32_e32 v37, v37, v39
	v_add_f32_e32 v37, v37, v38
	v_cvt_i32_f32_e32 v38, v39
	v_exp_f32_e32 v37, v37
	v_cmp_nlt_f32_e32 vcc, s36, v36
	v_ldexp_f32 v37, v37, v38
	s_nop 0
	v_cndmask_b32_e32 v37, 0, v37, vcc
	v_cmp_ngt_f32_e32 vcc, s37, v36
	s_nop 1
	v_cndmask_b32_e32 v36, v52, v37, vcc
	v_sub_f32_e32 v36, 1.0, v36
.LBB482_39:                             ;   in Loop: Header=BB482_9 Depth=1
	s_andn2_saveexec_b64 s[14:15], s[14:15]
; %bb.40:                               ;   in Loop: Header=BB482_9 Depth=1
	v_mul_f32_e32 v36, v35, v35
	v_fmamk_f32 v37, v36, 0xba1345e1, v50
	v_fmaak_f32 v37, v36, v37, 0xbcdac9b8
	v_fmaak_f32 v37, v36, v37, 0x3de703be
	;; [unrolled: 1-line block ×4, first 2 shown]
	v_fma_f32 v36, |v35|, v36, |v35|
; %bb.41:                               ;   in Loop: Header=BB482_9 Depth=1
	s_or_b64 exec, exec, s[14:15]
	v_bfi_b32 v32, s38, v33, v32
	v_mul_f32_e32 v26, 0.5, v26
	v_add_f32_e32 v32, 1.0, v32
	v_mul_f32_e32 v26, v26, v32
	v_and_b32_e32 v32, 0xffff0000, v27
	v_add_f32_e32 v31, v31, v32
	v_lshlrev_b32_e32 v27, 16, v27
	v_bfi_b32 v32, s38, v36, v35
	v_add_f32_e32 v30, v30, v27
	v_mul_f32_e32 v27, 0.5, v34
	v_add_f32_e32 v32, 1.0, v32
	v_mul_f32_e32 v27, v27, v32
	;;#ASMSTART
	v_pk_mul_f32 v[26:27], v[26:27], v[30:31]
	;;#ASMEND
	v_lshlrev_b32_e32 v30, 16, v8
	v_add_f32_e32 v20, v20, v30
	v_mul_f32_e32 v30, 0x3f3504f3, v20
	v_cmp_nlt_f32_e64 s[14:15], |v30|, 1.0
                                        ; implicit-def: $vgpr31
	s_and_saveexec_b64 s[40:41], s[14:15]
	s_xor_b64 s[14:15], exec, s[40:41]
	s_cbranch_execz .LBB482_43
; %bb.42:                               ;   in Loop: Header=BB482_9 Depth=1
	v_fma_f32 v31, |v30|, s28, v51
	v_fma_f32 v31, |v30|, v31, s29
	;; [unrolled: 1-line block ×6, first 2 shown]
	v_fma_f32 v31, |v30|, v31, |v30|
	v_mul_f32_e32 v32, 0xbfb8aa3b, v31
	v_fma_f32 v33, v31, s35, -v32
	v_rndne_f32_e32 v34, v32
	v_fmac_f32_e32 v33, 0xb2a5705f, v31
	v_sub_f32_e32 v32, v32, v34
	v_add_f32_e32 v32, v32, v33
	v_cvt_i32_f32_e32 v33, v34
	v_exp_f32_e32 v32, v32
	v_cmp_nlt_f32_e32 vcc, s36, v31
	v_ldexp_f32 v32, v32, v33
	s_nop 0
	v_cndmask_b32_e32 v32, 0, v32, vcc
	v_cmp_ngt_f32_e32 vcc, s37, v31
	s_nop 1
	v_cndmask_b32_e32 v31, v52, v32, vcc
	v_sub_f32_e32 v31, 1.0, v31
.LBB482_43:                             ;   in Loop: Header=BB482_9 Depth=1
	s_andn2_saveexec_b64 s[14:15], s[14:15]
; %bb.44:                               ;   in Loop: Header=BB482_9 Depth=1
	v_mul_f32_e32 v31, v30, v30
	v_fmamk_f32 v32, v31, 0xba1345e1, v50
	v_fmaak_f32 v32, v31, v32, 0xbcdac9b8
	v_fmaak_f32 v32, v31, v32, 0x3de703be
	;; [unrolled: 1-line block ×4, first 2 shown]
	v_fma_f32 v31, |v30|, v31, |v30|
; %bb.45:                               ;   in Loop: Header=BB482_9 Depth=1
	s_or_b64 exec, exec, s[14:15]
	v_and_b32_e32 v8, 0xffff0000, v8
	v_add_f32_e32 v8, v21, v8
	v_mul_f32_e32 v21, 0x3f3504f3, v8
	v_cmp_nlt_f32_e64 s[14:15], |v21|, 1.0
                                        ; implicit-def: $vgpr32
	s_and_saveexec_b64 s[40:41], s[14:15]
	s_xor_b64 s[14:15], exec, s[40:41]
	s_cbranch_execz .LBB482_47
; %bb.46:                               ;   in Loop: Header=BB482_9 Depth=1
	v_fma_f32 v32, |v21|, s28, v51
	v_fma_f32 v32, |v21|, v32, s29
	;; [unrolled: 1-line block ×6, first 2 shown]
	v_fma_f32 v32, |v21|, v32, |v21|
	v_mul_f32_e32 v33, 0xbfb8aa3b, v32
	v_fma_f32 v34, v32, s35, -v33
	v_rndne_f32_e32 v35, v33
	v_fmac_f32_e32 v34, 0xb2a5705f, v32
	v_sub_f32_e32 v33, v33, v35
	v_add_f32_e32 v33, v33, v34
	v_cvt_i32_f32_e32 v34, v35
	v_exp_f32_e32 v33, v33
	v_cmp_nlt_f32_e32 vcc, s36, v32
	v_ldexp_f32 v33, v33, v34
	s_nop 0
	v_cndmask_b32_e32 v33, 0, v33, vcc
	v_cmp_ngt_f32_e32 vcc, s37, v32
	s_nop 1
	v_cndmask_b32_e32 v32, v52, v33, vcc
	v_sub_f32_e32 v32, 1.0, v32
.LBB482_47:                             ;   in Loop: Header=BB482_9 Depth=1
	s_andn2_saveexec_b64 s[14:15], s[14:15]
; %bb.48:                               ;   in Loop: Header=BB482_9 Depth=1
	v_mul_f32_e32 v32, v21, v21
	v_fmamk_f32 v33, v32, 0xba1345e1, v50
	v_fmaak_f32 v33, v32, v33, 0xbcdac9b8
	v_fmaak_f32 v33, v32, v33, 0x3de703be
	;; [unrolled: 1-line block ×4, first 2 shown]
	v_fma_f32 v32, |v21|, v32, |v21|
; %bb.49:                               ;   in Loop: Header=BB482_9 Depth=1
	s_or_b64 exec, exec, s[14:15]
	v_bfi_b32 v30, s38, v31, v30
	v_mul_f32_e32 v20, 0.5, v20
	v_add_f32_e32 v30, 1.0, v30
	v_mul_f32_e32 v20, v20, v30
	v_and_b32_e32 v30, 0xffff0000, v0
	v_lshlrev_b32_e32 v0, 16, v0
	s_waitcnt vmcnt(1)
	v_add_f32_e32 v16, v16, v0
	v_mul_f32_e32 v0, 0.5, v8
	v_bfi_b32 v8, s38, v32, v21
	v_add_f32_e32 v8, 1.0, v8
	v_mul_f32_e32 v21, v0, v8
	v_lshlrev_b32_e32 v0, 16, v9
	v_add_f32_e32 v0, v22, v0
	v_mul_f32_e32 v8, 0x3f3504f3, v0
	v_add_f32_e32 v17, v17, v30
	v_cmp_nlt_f32_e64 s[14:15], |v8|, 1.0
	;;#ASMSTART
	v_pk_mul_f32 v[16:17], v[20:21], v[16:17]
	;;#ASMEND
                                        ; implicit-def: $vgpr20
	s_and_saveexec_b64 s[40:41], s[14:15]
	s_xor_b64 s[14:15], exec, s[40:41]
	s_cbranch_execz .LBB482_51
; %bb.50:                               ;   in Loop: Header=BB482_9 Depth=1
	v_fma_f32 v20, |v8|, s28, v51
	v_fma_f32 v20, |v8|, v20, s29
	;; [unrolled: 1-line block ×6, first 2 shown]
	v_fma_f32 v20, |v8|, v20, |v8|
	v_mul_f32_e32 v21, 0xbfb8aa3b, v20
	v_fma_f32 v22, v20, s35, -v21
	v_rndne_f32_e32 v30, v21
	v_fmac_f32_e32 v22, 0xb2a5705f, v20
	v_sub_f32_e32 v21, v21, v30
	v_add_f32_e32 v21, v21, v22
	v_cvt_i32_f32_e32 v22, v30
	v_exp_f32_e32 v21, v21
	v_cmp_nlt_f32_e32 vcc, s36, v20
	v_ldexp_f32 v21, v21, v22
	s_nop 0
	v_cndmask_b32_e32 v21, 0, v21, vcc
	v_cmp_ngt_f32_e32 vcc, s37, v20
	s_nop 1
	v_cndmask_b32_e32 v20, v52, v21, vcc
	v_sub_f32_e32 v20, 1.0, v20
.LBB482_51:                             ;   in Loop: Header=BB482_9 Depth=1
	s_andn2_saveexec_b64 s[14:15], s[14:15]
; %bb.52:                               ;   in Loop: Header=BB482_9 Depth=1
	v_mul_f32_e32 v20, v8, v8
	v_fmamk_f32 v21, v20, 0xba1345e1, v50
	v_fmaak_f32 v21, v20, v21, 0xbcdac9b8
	v_fmaak_f32 v21, v20, v21, 0x3de703be
	;; [unrolled: 1-line block ×4, first 2 shown]
	v_fma_f32 v20, |v8|, v20, |v8|
; %bb.53:                               ;   in Loop: Header=BB482_9 Depth=1
	s_or_b64 exec, exec, s[14:15]
	v_and_b32_e32 v9, 0xffff0000, v9
	v_add_f32_e32 v9, v23, v9
	v_mul_f32_e32 v21, 0x3f3504f3, v9
	v_cmp_nlt_f32_e64 s[14:15], |v21|, 1.0
                                        ; implicit-def: $vgpr22
	s_and_saveexec_b64 s[40:41], s[14:15]
	s_xor_b64 s[14:15], exec, s[40:41]
	s_cbranch_execz .LBB482_55
; %bb.54:                               ;   in Loop: Header=BB482_9 Depth=1
	v_fma_f32 v22, |v21|, s28, v51
	v_fma_f32 v22, |v21|, v22, s29
	;; [unrolled: 1-line block ×6, first 2 shown]
	v_fma_f32 v22, |v21|, v22, |v21|
	v_mul_f32_e32 v23, 0xbfb8aa3b, v22
	v_fma_f32 v30, v22, s35, -v23
	v_rndne_f32_e32 v31, v23
	v_fmac_f32_e32 v30, 0xb2a5705f, v22
	v_sub_f32_e32 v23, v23, v31
	v_add_f32_e32 v23, v23, v30
	v_cvt_i32_f32_e32 v30, v31
	v_exp_f32_e32 v23, v23
	v_cmp_nlt_f32_e32 vcc, s36, v22
	v_ldexp_f32 v23, v23, v30
	s_nop 0
	v_cndmask_b32_e32 v23, 0, v23, vcc
	v_cmp_ngt_f32_e32 vcc, s37, v22
	s_nop 1
	v_cndmask_b32_e32 v22, v52, v23, vcc
	v_sub_f32_e32 v22, 1.0, v22
.LBB482_55:                             ;   in Loop: Header=BB482_9 Depth=1
	s_andn2_saveexec_b64 s[14:15], s[14:15]
; %bb.56:                               ;   in Loop: Header=BB482_9 Depth=1
	v_mul_f32_e32 v22, v21, v21
	v_fmamk_f32 v23, v22, 0xba1345e1, v50
	v_fmaak_f32 v23, v22, v23, 0xbcdac9b8
	v_fmaak_f32 v23, v22, v23, 0x3de703be
	v_fmaak_f32 v23, v22, v23, 0xbec09330
	v_fmaak_f32 v22, v22, v23, 0x3e0375d0
	v_fma_f32 v22, |v21|, v22, |v21|
; %bb.57:                               ;   in Loop: Header=BB482_9 Depth=1
	s_or_b64 exec, exec, s[14:15]
	v_bfi_b32 v8, s38, v20, v8
	v_mul_f32_e32 v0, 0.5, v0
	v_add_f32_e32 v8, 1.0, v8
	v_mul_f32_e32 v0, v0, v8
	v_and_b32_e32 v8, 0xffff0000, v1
	v_add_f32_e32 v19, v19, v8
	v_lshlrev_b32_e32 v1, 16, v1
	v_bfi_b32 v8, s38, v22, v21
	v_add_f32_e32 v18, v18, v1
	v_mul_f32_e32 v1, 0.5, v9
	v_add_f32_e32 v8, 1.0, v8
	v_mul_f32_e32 v1, v1, v8
	v_lshlrev_b32_e32 v8, 16, v10
	v_add_f32_e32 v8, v12, v8
	v_mul_f32_e32 v9, 0x3f3504f3, v8
	v_cmp_nlt_f32_e64 s[14:15], |v9|, 1.0
	;;#ASMSTART
	v_pk_mul_f32 v[0:1], v[0:1], v[18:19]
	;;#ASMEND
                                        ; implicit-def: $vgpr12
	s_and_saveexec_b64 s[40:41], s[14:15]
	s_xor_b64 s[14:15], exec, s[40:41]
	s_cbranch_execz .LBB482_59
; %bb.58:                               ;   in Loop: Header=BB482_9 Depth=1
	v_fma_f32 v12, |v9|, s28, v51
	v_fma_f32 v12, |v9|, v12, s29
	;; [unrolled: 1-line block ×6, first 2 shown]
	v_fma_f32 v12, |v9|, v12, |v9|
	v_mul_f32_e32 v18, 0xbfb8aa3b, v12
	v_fma_f32 v19, v12, s35, -v18
	v_rndne_f32_e32 v20, v18
	v_fmac_f32_e32 v19, 0xb2a5705f, v12
	v_sub_f32_e32 v18, v18, v20
	v_add_f32_e32 v18, v18, v19
	v_cvt_i32_f32_e32 v19, v20
	v_exp_f32_e32 v18, v18
	v_cmp_nlt_f32_e32 vcc, s36, v12
	v_ldexp_f32 v18, v18, v19
	s_nop 0
	v_cndmask_b32_e32 v18, 0, v18, vcc
	v_cmp_ngt_f32_e32 vcc, s37, v12
	s_nop 1
	v_cndmask_b32_e32 v12, v52, v18, vcc
	v_sub_f32_e32 v12, 1.0, v12
.LBB482_59:                             ;   in Loop: Header=BB482_9 Depth=1
	s_andn2_saveexec_b64 s[14:15], s[14:15]
; %bb.60:                               ;   in Loop: Header=BB482_9 Depth=1
	v_mul_f32_e32 v12, v9, v9
	v_fmamk_f32 v18, v12, 0xba1345e1, v50
	v_fmaak_f32 v18, v12, v18, 0xbcdac9b8
	v_fmaak_f32 v18, v12, v18, 0x3de703be
	;; [unrolled: 1-line block ×4, first 2 shown]
	v_fma_f32 v12, |v9|, v12, |v9|
; %bb.61:                               ;   in Loop: Header=BB482_9 Depth=1
	s_or_b64 exec, exec, s[14:15]
	v_and_b32_e32 v10, 0xffff0000, v10
	v_add_f32_e32 v10, v13, v10
	v_mul_f32_e32 v13, 0x3f3504f3, v10
	v_cmp_nlt_f32_e64 s[14:15], |v13|, 1.0
                                        ; implicit-def: $vgpr18
	s_and_saveexec_b64 s[40:41], s[14:15]
	s_xor_b64 s[14:15], exec, s[40:41]
	s_cbranch_execz .LBB482_63
; %bb.62:                               ;   in Loop: Header=BB482_9 Depth=1
	v_fma_f32 v18, |v13|, s28, v51
	v_fma_f32 v18, |v13|, v18, s29
	;; [unrolled: 1-line block ×6, first 2 shown]
	v_fma_f32 v18, |v13|, v18, |v13|
	v_mul_f32_e32 v19, 0xbfb8aa3b, v18
	v_fma_f32 v20, v18, s35, -v19
	v_rndne_f32_e32 v21, v19
	v_fmac_f32_e32 v20, 0xb2a5705f, v18
	v_sub_f32_e32 v19, v19, v21
	v_add_f32_e32 v19, v19, v20
	v_cvt_i32_f32_e32 v20, v21
	v_exp_f32_e32 v19, v19
	v_cmp_nlt_f32_e32 vcc, s36, v18
	v_ldexp_f32 v19, v19, v20
	s_nop 0
	v_cndmask_b32_e32 v19, 0, v19, vcc
	v_cmp_ngt_f32_e32 vcc, s37, v18
	s_nop 1
	v_cndmask_b32_e32 v18, v52, v19, vcc
	v_sub_f32_e32 v18, 1.0, v18
.LBB482_63:                             ;   in Loop: Header=BB482_9 Depth=1
	s_andn2_saveexec_b64 s[14:15], s[14:15]
; %bb.64:                               ;   in Loop: Header=BB482_9 Depth=1
	v_mul_f32_e32 v18, v13, v13
	v_fmamk_f32 v19, v18, 0xba1345e1, v50
	v_fmaak_f32 v19, v18, v19, 0xbcdac9b8
	v_fmaak_f32 v19, v18, v19, 0x3de703be
	;; [unrolled: 1-line block ×4, first 2 shown]
	v_fma_f32 v18, |v13|, v18, |v13|
; %bb.65:                               ;   in Loop: Header=BB482_9 Depth=1
	s_or_b64 exec, exec, s[14:15]
	v_bfi_b32 v9, s38, v12, v9
	v_mul_f32_e32 v8, 0.5, v8
	v_add_f32_e32 v9, 1.0, v9
	v_mul_f32_e32 v8, v8, v9
	v_and_b32_e32 v9, 0xffff0000, v2
	s_waitcnt vmcnt(0)
	v_add_f32_e32 v5, v5, v9
	v_lshlrev_b32_e32 v2, 16, v2
	v_bfi_b32 v9, s38, v18, v13
	v_add_f32_e32 v4, v4, v2
	v_mul_f32_e32 v2, 0.5, v10
	v_add_f32_e32 v9, 1.0, v9
	v_mul_f32_e32 v9, v2, v9
	v_lshlrev_b32_e32 v2, 16, v11
	v_add_f32_e32 v2, v14, v2
	;;#ASMSTART
	v_pk_mul_f32 v[4:5], v[8:9], v[4:5]
	;;#ASMEND
	v_mul_f32_e32 v8, 0x3f3504f3, v2
	v_cmp_nlt_f32_e64 s[14:15], |v8|, 1.0
                                        ; implicit-def: $vgpr9
	s_and_saveexec_b64 s[40:41], s[14:15]
	s_xor_b64 s[14:15], exec, s[40:41]
	s_cbranch_execz .LBB482_67
; %bb.66:                               ;   in Loop: Header=BB482_9 Depth=1
	v_fma_f32 v9, |v8|, s28, v51
	v_fma_f32 v9, |v8|, v9, s29
	;; [unrolled: 1-line block ×6, first 2 shown]
	v_fma_f32 v9, |v8|, v9, |v8|
	v_mul_f32_e32 v10, 0xbfb8aa3b, v9
	v_fma_f32 v12, v9, s35, -v10
	v_rndne_f32_e32 v13, v10
	v_fmac_f32_e32 v12, 0xb2a5705f, v9
	v_sub_f32_e32 v10, v10, v13
	v_add_f32_e32 v10, v10, v12
	v_cvt_i32_f32_e32 v12, v13
	v_exp_f32_e32 v10, v10
	v_cmp_nlt_f32_e32 vcc, s36, v9
	v_ldexp_f32 v10, v10, v12
	s_nop 0
	v_cndmask_b32_e32 v10, 0, v10, vcc
	v_cmp_ngt_f32_e32 vcc, s37, v9
	s_nop 1
	v_cndmask_b32_e32 v9, v52, v10, vcc
	v_sub_f32_e32 v9, 1.0, v9
.LBB482_67:                             ;   in Loop: Header=BB482_9 Depth=1
	s_andn2_saveexec_b64 s[14:15], s[14:15]
; %bb.68:                               ;   in Loop: Header=BB482_9 Depth=1
	v_mul_f32_e32 v9, v8, v8
	v_fmamk_f32 v10, v9, 0xba1345e1, v50
	v_fmaak_f32 v10, v9, v10, 0xbcdac9b8
	v_fmaak_f32 v10, v9, v10, 0x3de703be
	;; [unrolled: 1-line block ×4, first 2 shown]
	v_fma_f32 v9, |v8|, v9, |v8|
; %bb.69:                               ;   in Loop: Header=BB482_9 Depth=1
	s_or_b64 exec, exec, s[14:15]
	v_and_b32_e32 v10, 0xffff0000, v11
	v_add_f32_e32 v10, v15, v10
	v_mul_f32_e32 v11, 0x3f3504f3, v10
	v_cmp_nlt_f32_e64 s[14:15], |v11|, 1.0
                                        ; implicit-def: $vgpr12
	s_and_saveexec_b64 s[40:41], s[14:15]
	s_xor_b64 s[14:15], exec, s[40:41]
	s_cbranch_execz .LBB482_71
; %bb.70:                               ;   in Loop: Header=BB482_9 Depth=1
	v_fma_f32 v12, |v11|, s28, v51
	v_fma_f32 v12, |v11|, v12, s29
	;; [unrolled: 1-line block ×6, first 2 shown]
	v_fma_f32 v12, |v11|, v12, |v11|
	v_mul_f32_e32 v13, 0xbfb8aa3b, v12
	v_fma_f32 v14, v12, s35, -v13
	v_rndne_f32_e32 v15, v13
	v_fmac_f32_e32 v14, 0xb2a5705f, v12
	v_sub_f32_e32 v13, v13, v15
	v_add_f32_e32 v13, v13, v14
	v_cvt_i32_f32_e32 v14, v15
	v_exp_f32_e32 v13, v13
	v_cmp_nlt_f32_e32 vcc, s36, v12
	v_ldexp_f32 v13, v13, v14
	s_nop 0
	v_cndmask_b32_e32 v13, 0, v13, vcc
	v_cmp_ngt_f32_e32 vcc, s37, v12
	s_nop 1
	v_cndmask_b32_e32 v12, v52, v13, vcc
	v_sub_f32_e32 v12, 1.0, v12
.LBB482_71:                             ;   in Loop: Header=BB482_9 Depth=1
	s_andn2_saveexec_b64 s[14:15], s[14:15]
	s_cbranch_execz .LBB482_8
; %bb.72:                               ;   in Loop: Header=BB482_9 Depth=1
	v_mul_f32_e32 v12, v11, v11
	v_fmamk_f32 v13, v12, 0xba1345e1, v50
	v_fmaak_f32 v13, v12, v13, 0xbcdac9b8
	v_fmaak_f32 v13, v12, v13, 0x3de703be
	v_fmaak_f32 v13, v12, v13, 0xbec09330
	v_fmaak_f32 v12, v12, v13, 0x3e0375d0
	v_fma_f32 v12, |v11|, v12, |v11|
	s_branch .LBB482_8
.LBB482_73:
	s_endpgm
	.section	.rodata,"a",@progbits
	.p2align	6, 0x0
	.amdhsa_kernel _ZN5aiter23act_and_mul_bias_kernelIttlfTnPFfRKT2_EXadL_ZNS_11gelu_kernelIfEEfRKT_EELi16EEEvPT0_PS8_PKT1_PS2_il
		.amdhsa_group_segment_fixed_size 0
		.amdhsa_private_segment_fixed_size 0
		.amdhsa_kernarg_size 304
		.amdhsa_user_sgpr_count 2
		.amdhsa_user_sgpr_dispatch_ptr 0
		.amdhsa_user_sgpr_queue_ptr 0
		.amdhsa_user_sgpr_kernarg_segment_ptr 1
		.amdhsa_user_sgpr_dispatch_id 0
		.amdhsa_user_sgpr_kernarg_preload_length 0
		.amdhsa_user_sgpr_kernarg_preload_offset 0
		.amdhsa_user_sgpr_private_segment_size 0
		.amdhsa_uses_dynamic_stack 0
		.amdhsa_enable_private_segment 0
		.amdhsa_system_sgpr_workgroup_id_x 1
		.amdhsa_system_sgpr_workgroup_id_y 0
		.amdhsa_system_sgpr_workgroup_id_z 0
		.amdhsa_system_sgpr_workgroup_info 0
		.amdhsa_system_vgpr_workitem_id 0
		.amdhsa_next_free_vgpr 60
		.amdhsa_next_free_sgpr 42
		.amdhsa_accum_offset 60
		.amdhsa_reserve_vcc 1
		.amdhsa_float_round_mode_32 0
		.amdhsa_float_round_mode_16_64 0
		.amdhsa_float_denorm_mode_32 3
		.amdhsa_float_denorm_mode_16_64 3
		.amdhsa_dx10_clamp 1
		.amdhsa_ieee_mode 1
		.amdhsa_fp16_overflow 0
		.amdhsa_tg_split 0
		.amdhsa_exception_fp_ieee_invalid_op 0
		.amdhsa_exception_fp_denorm_src 0
		.amdhsa_exception_fp_ieee_div_zero 0
		.amdhsa_exception_fp_ieee_overflow 0
		.amdhsa_exception_fp_ieee_underflow 0
		.amdhsa_exception_fp_ieee_inexact 0
		.amdhsa_exception_int_div_zero 0
	.end_amdhsa_kernel
	.section	.text._ZN5aiter23act_and_mul_bias_kernelIttlfTnPFfRKT2_EXadL_ZNS_11gelu_kernelIfEEfRKT_EELi16EEEvPT0_PS8_PKT1_PS2_il,"axG",@progbits,_ZN5aiter23act_and_mul_bias_kernelIttlfTnPFfRKT2_EXadL_ZNS_11gelu_kernelIfEEfRKT_EELi16EEEvPT0_PS8_PKT1_PS2_il,comdat
.Lfunc_end482:
	.size	_ZN5aiter23act_and_mul_bias_kernelIttlfTnPFfRKT2_EXadL_ZNS_11gelu_kernelIfEEfRKT_EELi16EEEvPT0_PS8_PKT1_PS2_il, .Lfunc_end482-_ZN5aiter23act_and_mul_bias_kernelIttlfTnPFfRKT2_EXadL_ZNS_11gelu_kernelIfEEfRKT_EELi16EEEvPT0_PS8_PKT1_PS2_il
                                        ; -- End function
	.section	.AMDGPU.csdata,"",@progbits
; Kernel info:
; codeLenInByte = 5188
; NumSgprs: 48
; NumVgprs: 60
; NumAgprs: 0
; TotalNumVgprs: 60
; ScratchSize: 0
; MemoryBound: 0
; FloatMode: 240
; IeeeMode: 1
; LDSByteSize: 0 bytes/workgroup (compile time only)
; SGPRBlocks: 5
; VGPRBlocks: 7
; NumSGPRsForWavesPerEU: 48
; NumVGPRsForWavesPerEU: 60
; AccumOffset: 60
; Occupancy: 8
; WaveLimiterHint : 0
; COMPUTE_PGM_RSRC2:SCRATCH_EN: 0
; COMPUTE_PGM_RSRC2:USER_SGPR: 2
; COMPUTE_PGM_RSRC2:TRAP_HANDLER: 0
; COMPUTE_PGM_RSRC2:TGID_X_EN: 1
; COMPUTE_PGM_RSRC2:TGID_Y_EN: 0
; COMPUTE_PGM_RSRC2:TGID_Z_EN: 0
; COMPUTE_PGM_RSRC2:TIDIG_COMP_CNT: 0
; COMPUTE_PGM_RSRC3_GFX90A:ACCUM_OFFSET: 14
; COMPUTE_PGM_RSRC3_GFX90A:TG_SPLIT: 0
	.section	.text._ZN5aiter23act_and_mul_bias_kernelIttlfTnPFfRKT2_EXadL_ZNS_11gelu_kernelIfEEfRKT_EELi8EEEvPT0_PS8_PKT1_PS2_il,"axG",@progbits,_ZN5aiter23act_and_mul_bias_kernelIttlfTnPFfRKT2_EXadL_ZNS_11gelu_kernelIfEEfRKT_EELi8EEEvPT0_PS8_PKT1_PS2_il,comdat
	.protected	_ZN5aiter23act_and_mul_bias_kernelIttlfTnPFfRKT2_EXadL_ZNS_11gelu_kernelIfEEfRKT_EELi8EEEvPT0_PS8_PKT1_PS2_il ; -- Begin function _ZN5aiter23act_and_mul_bias_kernelIttlfTnPFfRKT2_EXadL_ZNS_11gelu_kernelIfEEfRKT_EELi8EEEvPT0_PS8_PKT1_PS2_il
	.globl	_ZN5aiter23act_and_mul_bias_kernelIttlfTnPFfRKT2_EXadL_ZNS_11gelu_kernelIfEEfRKT_EELi8EEEvPT0_PS8_PKT1_PS2_il
	.p2align	8
	.type	_ZN5aiter23act_and_mul_bias_kernelIttlfTnPFfRKT2_EXadL_ZNS_11gelu_kernelIfEEfRKT_EELi8EEEvPT0_PS8_PKT1_PS2_il,@function
_ZN5aiter23act_and_mul_bias_kernelIttlfTnPFfRKT2_EXadL_ZNS_11gelu_kernelIfEEfRKT_EELi8EEEvPT0_PS8_PKT1_PS2_il: ; @_ZN5aiter23act_and_mul_bias_kernelIttlfTnPFfRKT2_EXadL_ZNS_11gelu_kernelIfEEfRKT_EELi8EEEvPT0_PS8_PKT1_PS2_il
; %bb.0:
	s_load_dword s24, s[0:1], 0x20
	s_load_dwordx2 s[4:5], s[0:1], 0x0
	s_load_dwordx2 s[6:7], s[0:1], 0x10
	;; [unrolled: 1-line block ×3, first 2 shown]
	s_mov_b32 s3, 0
	s_waitcnt lgkmcnt(0)
	s_ashr_i32 s25, s24, 31
	s_lshl_b64 s[8:9], s[2:3], 3
	s_add_u32 s6, s6, s8
	s_addc_u32 s7, s7, s9
	s_add_i32 s3, s24, 1
	s_load_dwordx2 s[8:9], s[6:7], 0x0
	s_lshr_b32 s6, s3, 31
	s_add_i32 s3, s3, s6
	s_lshl_b32 s3, s3, 1
	s_and_b32 s6, s3, -4
	s_mul_hi_u32 s3, s24, s2
	s_mul_i32 s7, s25, s2
	s_add_i32 s11, s3, s7
	s_mul_i32 s10, s24, s2
	s_lshl_b64 s[10:11], s[10:11], 1
	v_mov_b64_e32 v[2:3], s[12:13]
	s_add_u32 s4, s4, s10
	s_waitcnt lgkmcnt(0)
	v_cmp_gt_i64_e64 s[14:15], s[8:9], -1
	v_cmp_lt_i64_e32 vcc, s[8:9], v[2:3]
	s_addc_u32 s3, s5, s11
	s_and_b64 s[12:13], s[14:15], vcc
	s_and_b32 s5, s3, 0xffff
	s_mov_b64 s[10:11], -1
	s_and_b64 vcc, exec, s[12:13]
	v_lshlrev_b32_e32 v24, 3, v0
	s_cbranch_vccnz .LBB483_5
; %bb.1:
	v_cmp_gt_i32_e32 vcc, s24, v24
	s_and_saveexec_b64 s[10:11], vcc
	s_cbranch_execz .LBB483_4
; %bb.2:
	s_load_dword s3, s[0:1], 0x3c
	v_mov_b32_e32 v25, 0
	s_mov_b32 s13, 0
	v_lshlrev_b32_e32 v6, 4, v0
	s_mov_b64 s[14:15], 0
	s_waitcnt lgkmcnt(0)
	s_and_b32 s3, s3, 0xffff
	s_lshl_b32 s12, s3, 3
	s_lshl_b32 s3, s3, 4
	s_mov_b32 s7, 0x20000
	v_mov_b32_e32 v0, v25
	v_mov_b32_e32 v1, v25
	;; [unrolled: 1-line block ×4, first 2 shown]
	v_mov_b64_e32 v[4:5], v[24:25]
.LBB483_3:                              ; =>This Inner Loop Header: Depth=1
	v_lshl_add_u64 v[4:5], s[12:13], 0, v[4:5]
	v_cmp_le_i64_e32 vcc, s[24:25], v[4:5]
	buffer_store_dwordx4 v[0:3], v6, s[4:7], 0 offen
	s_or_b64 s[14:15], vcc, s[14:15]
	v_add_u32_e32 v6, s3, v6
	s_andn2_b64 exec, exec, s[14:15]
	s_cbranch_execnz .LBB483_3
.LBB483_4:
	s_or_b64 exec, exec, s[10:11]
	s_mov_b64 s[10:11], 0
.LBB483_5:
	s_andn2_b64 vcc, exec, s[10:11]
	s_cbranch_vccnz .LBB483_41
; %bb.6:
	v_cmp_gt_i32_e32 vcc, s24, v24
	s_and_saveexec_b64 s[10:11], vcc
	s_cbranch_execz .LBB483_41
; %bb.7:
	s_load_dwordx2 s[14:15], s[0:1], 0x8
	s_load_dwordx2 s[10:11], s[0:1], 0x18
	s_mul_i32 s3, s24, s9
	s_mul_hi_u32 s7, s24, s8
	s_add_i32 s3, s7, s3
	s_mul_i32 s7, s25, s8
	s_add_i32 s9, s3, s7
	s_mul_i32 s8, s24, s8
	s_lshl_b64 s[8:9], s[8:9], 3
	s_waitcnt lgkmcnt(0)
	s_add_u32 s8, s10, s8
	s_addc_u32 s3, s11, s9
	s_lshl_b64 s[10:11], s[24:25], 2
	s_add_u32 s12, s8, s10
	s_addc_u32 s13, s3, s11
	s_and_b32 s9, s3, 0xffff
	s_mul_i32 s3, s2, s25
	s_mul_hi_u32 s16, s2, s24
	s_add_i32 s3, s16, s3
	s_mul_i32 s2, s2, s24
	s_lshl_b32 s10, s24, 2
	s_and_b32 s13, s13, 0xffff
	s_lshl_b64 s[2:3], s[2:3], 2
	s_add_u32 s16, s14, s2
	s_addc_u32 s14, s15, s3
	s_lshl_b64 s[2:3], s[24:25], 1
	s_add_u32 s20, s16, s2
	s_addc_u32 s2, s14, s3
	s_and_b32 s17, s14, 0xffff
	s_and_b32 s21, s2, 0xffff
	s_mov_b32 s7, 0x20000
	s_add_u32 s0, s0, 48
	s_mov_b32 s11, s7
	s_mov_b64 s[22:23], s[6:7]
	v_mov_b32_e32 v25, 0
	s_addc_u32 s1, s1, 0
	s_mov_b64 s[2:3], 0
	s_mov_b32 s19, s7
	s_mov_b32 s18, s6
	;; [unrolled: 1-line block ×12, first 2 shown]
	v_mov_b32_e32 v26, 0x3ba10414
	s_brev_b32 s38, -2
	s_mov_b32 s39, 0x7060302
	v_mov_b32_e32 v27, 0xb9c68948
	v_mov_b32_e32 v28, 0x7f800000
                                        ; implicit-def: $vgpr0
                                        ; implicit-def: $vgpr0
	;; [unrolled: 1-line block ×4, first 2 shown]
	s_branch .LBB483_9
.LBB483_8:                              ;   in Loop: Header=BB483_9 Depth=1
	s_or_b64 exec, exec, s[14:15]
	v_bfi_b32 v8, s38, v9, v8
	v_mul_f32_e32 v2, 0.5, v2
	v_add_f32_e32 v8, 1.0, v8
	v_mul_f32_e32 v2, v2, v8
	v_and_b32_e32 v8, 0xffff0000, v3
	v_add_f32_e32 v7, v7, v8
	v_lshlrev_b32_e32 v3, 16, v3
	v_bfi_b32 v8, s38, v12, v11
	v_add_f32_e32 v6, v6, v3
	v_mul_f32_e32 v3, 0.5, v10
	v_add_f32_e32 v8, 1.0, v8
	v_mul_f32_e32 v3, v3, v8
	;;#ASMSTART
	v_pk_mul_f32 v[2:3], v[2:3], v[6:7]
	;;#ASMEND
	s_load_dword s14, s[0:1], 0xc
	v_perm_b32 v3, v3, v2, s39
	v_perm_b32 v2, v5, v4, s39
	;; [unrolled: 1-line block ×4, first 2 shown]
	s_waitcnt lgkmcnt(0)
	s_and_b32 s14, s14, 0xffff
	s_lshl_b32 s26, s14, 3
	v_lshl_add_u64 v[24:25], s[26:27], 0, v[24:25]
	v_cmp_le_i64_e32 vcc, s[24:25], v[24:25]
	s_or_b64 s[2:3], vcc, s[2:3]
	buffer_store_dwordx4 v[0:3], v29, s[4:7], 0 offen
	s_andn2_b64 exec, exec, s[2:3]
	s_cbranch_execz .LBB483_41
.LBB483_9:                              ; =>This Inner Loop Header: Depth=1
	v_lshlrev_b32_e32 v29, 1, v24
	buffer_load_dwordx4 v[8:11], v29, s[16:19], 0 offen
	buffer_load_dwordx4 v[0:3], v29, s[20:23], 0 offen
	v_lshlrev_b32_e32 v30, 2, v24
	buffer_load_dwordx4 v[20:23], v30, s[8:11], 0 offen
	buffer_load_dwordx4 v[12:15], v30, s[8:11], 16 offen
	s_mov_b32 s14, s10
	s_mov_b32 s15, s11
	buffer_load_dwordx4 v[16:19], v30, s[12:15], 0 offen
	buffer_load_dwordx4 v[4:7], v30, s[12:15], 16 offen
                                        ; implicit-def: $vgpr31
	s_waitcnt vmcnt(5)
	v_lshlrev_b32_e32 v30, 16, v8
	s_waitcnt vmcnt(3)
	v_add_f32_e32 v20, v20, v30
	v_mul_f32_e32 v30, 0x3f3504f3, v20
	v_cmp_nlt_f32_e64 s[14:15], |v30|, 1.0
	s_and_saveexec_b64 s[40:41], s[14:15]
	s_xor_b64 s[14:15], exec, s[40:41]
	s_cbranch_execz .LBB483_11
; %bb.10:                               ;   in Loop: Header=BB483_9 Depth=1
	v_fma_f32 v31, |v30|, s28, v27
	v_fma_f32 v31, |v30|, v31, s29
	;; [unrolled: 1-line block ×6, first 2 shown]
	v_fma_f32 v31, |v30|, v31, |v30|
	v_mul_f32_e32 v32, 0xbfb8aa3b, v31
	v_fma_f32 v33, v31, s35, -v32
	v_rndne_f32_e32 v34, v32
	v_fmac_f32_e32 v33, 0xb2a5705f, v31
	v_sub_f32_e32 v32, v32, v34
	v_add_f32_e32 v32, v32, v33
	v_cvt_i32_f32_e32 v33, v34
	v_exp_f32_e32 v32, v32
	v_cmp_nlt_f32_e32 vcc, s36, v31
	v_ldexp_f32 v32, v32, v33
	s_nop 0
	v_cndmask_b32_e32 v32, 0, v32, vcc
	v_cmp_ngt_f32_e32 vcc, s37, v31
	s_nop 1
	v_cndmask_b32_e32 v31, v28, v32, vcc
	v_sub_f32_e32 v31, 1.0, v31
.LBB483_11:                             ;   in Loop: Header=BB483_9 Depth=1
	s_andn2_saveexec_b64 s[14:15], s[14:15]
; %bb.12:                               ;   in Loop: Header=BB483_9 Depth=1
	v_mul_f32_e32 v31, v30, v30
	v_fmamk_f32 v32, v31, 0xba1345e1, v26
	v_fmaak_f32 v32, v31, v32, 0xbcdac9b8
	v_fmaak_f32 v32, v31, v32, 0x3de703be
	;; [unrolled: 1-line block ×4, first 2 shown]
	v_fma_f32 v31, |v30|, v31, |v30|
; %bb.13:                               ;   in Loop: Header=BB483_9 Depth=1
	s_or_b64 exec, exec, s[14:15]
	v_and_b32_e32 v8, 0xffff0000, v8
	v_add_f32_e32 v8, v21, v8
	v_mul_f32_e32 v21, 0x3f3504f3, v8
	v_cmp_nlt_f32_e64 s[14:15], |v21|, 1.0
                                        ; implicit-def: $vgpr32
	s_and_saveexec_b64 s[40:41], s[14:15]
	s_xor_b64 s[14:15], exec, s[40:41]
	s_cbranch_execz .LBB483_15
; %bb.14:                               ;   in Loop: Header=BB483_9 Depth=1
	v_fma_f32 v32, |v21|, s28, v27
	v_fma_f32 v32, |v21|, v32, s29
	v_fma_f32 v32, |v21|, v32, s30
	v_fma_f32 v32, |v21|, v32, s31
	v_fma_f32 v32, |v21|, v32, s33
	v_fma_f32 v32, |v21|, v32, s34
	v_fma_f32 v32, |v21|, v32, |v21|
	v_mul_f32_e32 v33, 0xbfb8aa3b, v32
	v_fma_f32 v34, v32, s35, -v33
	v_rndne_f32_e32 v35, v33
	v_fmac_f32_e32 v34, 0xb2a5705f, v32
	v_sub_f32_e32 v33, v33, v35
	v_add_f32_e32 v33, v33, v34
	v_cvt_i32_f32_e32 v34, v35
	v_exp_f32_e32 v33, v33
	v_cmp_nlt_f32_e32 vcc, s36, v32
	v_ldexp_f32 v33, v33, v34
	s_nop 0
	v_cndmask_b32_e32 v33, 0, v33, vcc
	v_cmp_ngt_f32_e32 vcc, s37, v32
	s_nop 1
	v_cndmask_b32_e32 v32, v28, v33, vcc
	v_sub_f32_e32 v32, 1.0, v32
.LBB483_15:                             ;   in Loop: Header=BB483_9 Depth=1
	s_andn2_saveexec_b64 s[14:15], s[14:15]
; %bb.16:                               ;   in Loop: Header=BB483_9 Depth=1
	v_mul_f32_e32 v32, v21, v21
	v_fmamk_f32 v33, v32, 0xba1345e1, v26
	v_fmaak_f32 v33, v32, v33, 0xbcdac9b8
	v_fmaak_f32 v33, v32, v33, 0x3de703be
	;; [unrolled: 1-line block ×4, first 2 shown]
	v_fma_f32 v32, |v21|, v32, |v21|
; %bb.17:                               ;   in Loop: Header=BB483_9 Depth=1
	s_or_b64 exec, exec, s[14:15]
	v_bfi_b32 v30, s38, v31, v30
	v_mul_f32_e32 v20, 0.5, v20
	v_add_f32_e32 v30, 1.0, v30
	v_mul_f32_e32 v20, v20, v30
	v_and_b32_e32 v30, 0xffff0000, v0
	v_lshlrev_b32_e32 v0, 16, v0
	s_waitcnt vmcnt(1)
	v_add_f32_e32 v16, v16, v0
	v_mul_f32_e32 v0, 0.5, v8
	v_bfi_b32 v8, s38, v32, v21
	v_add_f32_e32 v8, 1.0, v8
	v_mul_f32_e32 v21, v0, v8
	v_lshlrev_b32_e32 v0, 16, v9
	v_add_f32_e32 v0, v22, v0
	v_mul_f32_e32 v8, 0x3f3504f3, v0
	v_add_f32_e32 v17, v17, v30
	v_cmp_nlt_f32_e64 s[14:15], |v8|, 1.0
	;;#ASMSTART
	v_pk_mul_f32 v[16:17], v[20:21], v[16:17]
	;;#ASMEND
                                        ; implicit-def: $vgpr20
	s_and_saveexec_b64 s[40:41], s[14:15]
	s_xor_b64 s[14:15], exec, s[40:41]
	s_cbranch_execz .LBB483_19
; %bb.18:                               ;   in Loop: Header=BB483_9 Depth=1
	v_fma_f32 v20, |v8|, s28, v27
	v_fma_f32 v20, |v8|, v20, s29
	;; [unrolled: 1-line block ×6, first 2 shown]
	v_fma_f32 v20, |v8|, v20, |v8|
	v_mul_f32_e32 v21, 0xbfb8aa3b, v20
	v_fma_f32 v22, v20, s35, -v21
	v_rndne_f32_e32 v30, v21
	v_fmac_f32_e32 v22, 0xb2a5705f, v20
	v_sub_f32_e32 v21, v21, v30
	v_add_f32_e32 v21, v21, v22
	v_cvt_i32_f32_e32 v22, v30
	v_exp_f32_e32 v21, v21
	v_cmp_nlt_f32_e32 vcc, s36, v20
	v_ldexp_f32 v21, v21, v22
	s_nop 0
	v_cndmask_b32_e32 v21, 0, v21, vcc
	v_cmp_ngt_f32_e32 vcc, s37, v20
	s_nop 1
	v_cndmask_b32_e32 v20, v28, v21, vcc
	v_sub_f32_e32 v20, 1.0, v20
.LBB483_19:                             ;   in Loop: Header=BB483_9 Depth=1
	s_andn2_saveexec_b64 s[14:15], s[14:15]
; %bb.20:                               ;   in Loop: Header=BB483_9 Depth=1
	v_mul_f32_e32 v20, v8, v8
	v_fmamk_f32 v21, v20, 0xba1345e1, v26
	v_fmaak_f32 v21, v20, v21, 0xbcdac9b8
	v_fmaak_f32 v21, v20, v21, 0x3de703be
	;; [unrolled: 1-line block ×4, first 2 shown]
	v_fma_f32 v20, |v8|, v20, |v8|
; %bb.21:                               ;   in Loop: Header=BB483_9 Depth=1
	s_or_b64 exec, exec, s[14:15]
	v_and_b32_e32 v9, 0xffff0000, v9
	v_add_f32_e32 v9, v23, v9
	v_mul_f32_e32 v21, 0x3f3504f3, v9
	v_cmp_nlt_f32_e64 s[14:15], |v21|, 1.0
                                        ; implicit-def: $vgpr22
	s_and_saveexec_b64 s[40:41], s[14:15]
	s_xor_b64 s[14:15], exec, s[40:41]
	s_cbranch_execz .LBB483_23
; %bb.22:                               ;   in Loop: Header=BB483_9 Depth=1
	v_fma_f32 v22, |v21|, s28, v27
	v_fma_f32 v22, |v21|, v22, s29
	;; [unrolled: 1-line block ×6, first 2 shown]
	v_fma_f32 v22, |v21|, v22, |v21|
	v_mul_f32_e32 v23, 0xbfb8aa3b, v22
	v_fma_f32 v30, v22, s35, -v23
	v_rndne_f32_e32 v31, v23
	v_fmac_f32_e32 v30, 0xb2a5705f, v22
	v_sub_f32_e32 v23, v23, v31
	v_add_f32_e32 v23, v23, v30
	v_cvt_i32_f32_e32 v30, v31
	v_exp_f32_e32 v23, v23
	v_cmp_nlt_f32_e32 vcc, s36, v22
	v_ldexp_f32 v23, v23, v30
	s_nop 0
	v_cndmask_b32_e32 v23, 0, v23, vcc
	v_cmp_ngt_f32_e32 vcc, s37, v22
	s_nop 1
	v_cndmask_b32_e32 v22, v28, v23, vcc
	v_sub_f32_e32 v22, 1.0, v22
.LBB483_23:                             ;   in Loop: Header=BB483_9 Depth=1
	s_andn2_saveexec_b64 s[14:15], s[14:15]
; %bb.24:                               ;   in Loop: Header=BB483_9 Depth=1
	v_mul_f32_e32 v22, v21, v21
	v_fmamk_f32 v23, v22, 0xba1345e1, v26
	v_fmaak_f32 v23, v22, v23, 0xbcdac9b8
	v_fmaak_f32 v23, v22, v23, 0x3de703be
	;; [unrolled: 1-line block ×4, first 2 shown]
	v_fma_f32 v22, |v21|, v22, |v21|
; %bb.25:                               ;   in Loop: Header=BB483_9 Depth=1
	s_or_b64 exec, exec, s[14:15]
	v_bfi_b32 v8, s38, v20, v8
	v_mul_f32_e32 v0, 0.5, v0
	v_add_f32_e32 v8, 1.0, v8
	v_mul_f32_e32 v0, v0, v8
	v_and_b32_e32 v8, 0xffff0000, v1
	v_add_f32_e32 v19, v19, v8
	v_lshlrev_b32_e32 v1, 16, v1
	v_bfi_b32 v8, s38, v22, v21
	v_add_f32_e32 v18, v18, v1
	v_mul_f32_e32 v1, 0.5, v9
	v_add_f32_e32 v8, 1.0, v8
	v_mul_f32_e32 v1, v1, v8
	v_lshlrev_b32_e32 v8, 16, v10
	v_add_f32_e32 v8, v12, v8
	v_mul_f32_e32 v9, 0x3f3504f3, v8
	v_cmp_nlt_f32_e64 s[14:15], |v9|, 1.0
	;;#ASMSTART
	v_pk_mul_f32 v[0:1], v[0:1], v[18:19]
	;;#ASMEND
                                        ; implicit-def: $vgpr12
	s_and_saveexec_b64 s[40:41], s[14:15]
	s_xor_b64 s[14:15], exec, s[40:41]
	s_cbranch_execz .LBB483_27
; %bb.26:                               ;   in Loop: Header=BB483_9 Depth=1
	v_fma_f32 v12, |v9|, s28, v27
	v_fma_f32 v12, |v9|, v12, s29
	;; [unrolled: 1-line block ×6, first 2 shown]
	v_fma_f32 v12, |v9|, v12, |v9|
	v_mul_f32_e32 v18, 0xbfb8aa3b, v12
	v_fma_f32 v19, v12, s35, -v18
	v_rndne_f32_e32 v20, v18
	v_fmac_f32_e32 v19, 0xb2a5705f, v12
	v_sub_f32_e32 v18, v18, v20
	v_add_f32_e32 v18, v18, v19
	v_cvt_i32_f32_e32 v19, v20
	v_exp_f32_e32 v18, v18
	v_cmp_nlt_f32_e32 vcc, s36, v12
	v_ldexp_f32 v18, v18, v19
	s_nop 0
	v_cndmask_b32_e32 v18, 0, v18, vcc
	v_cmp_ngt_f32_e32 vcc, s37, v12
	s_nop 1
	v_cndmask_b32_e32 v12, v28, v18, vcc
	v_sub_f32_e32 v12, 1.0, v12
.LBB483_27:                             ;   in Loop: Header=BB483_9 Depth=1
	s_andn2_saveexec_b64 s[14:15], s[14:15]
; %bb.28:                               ;   in Loop: Header=BB483_9 Depth=1
	v_mul_f32_e32 v12, v9, v9
	v_fmamk_f32 v18, v12, 0xba1345e1, v26
	v_fmaak_f32 v18, v12, v18, 0xbcdac9b8
	v_fmaak_f32 v18, v12, v18, 0x3de703be
	;; [unrolled: 1-line block ×4, first 2 shown]
	v_fma_f32 v12, |v9|, v12, |v9|
; %bb.29:                               ;   in Loop: Header=BB483_9 Depth=1
	s_or_b64 exec, exec, s[14:15]
	v_and_b32_e32 v10, 0xffff0000, v10
	v_add_f32_e32 v10, v13, v10
	v_mul_f32_e32 v13, 0x3f3504f3, v10
	v_cmp_nlt_f32_e64 s[14:15], |v13|, 1.0
                                        ; implicit-def: $vgpr18
	s_and_saveexec_b64 s[40:41], s[14:15]
	s_xor_b64 s[14:15], exec, s[40:41]
	s_cbranch_execz .LBB483_31
; %bb.30:                               ;   in Loop: Header=BB483_9 Depth=1
	v_fma_f32 v18, |v13|, s28, v27
	v_fma_f32 v18, |v13|, v18, s29
	;; [unrolled: 1-line block ×6, first 2 shown]
	v_fma_f32 v18, |v13|, v18, |v13|
	v_mul_f32_e32 v19, 0xbfb8aa3b, v18
	v_fma_f32 v20, v18, s35, -v19
	v_rndne_f32_e32 v21, v19
	v_fmac_f32_e32 v20, 0xb2a5705f, v18
	v_sub_f32_e32 v19, v19, v21
	v_add_f32_e32 v19, v19, v20
	v_cvt_i32_f32_e32 v20, v21
	v_exp_f32_e32 v19, v19
	v_cmp_nlt_f32_e32 vcc, s36, v18
	v_ldexp_f32 v19, v19, v20
	s_nop 0
	v_cndmask_b32_e32 v19, 0, v19, vcc
	v_cmp_ngt_f32_e32 vcc, s37, v18
	s_nop 1
	v_cndmask_b32_e32 v18, v28, v19, vcc
	v_sub_f32_e32 v18, 1.0, v18
.LBB483_31:                             ;   in Loop: Header=BB483_9 Depth=1
	s_andn2_saveexec_b64 s[14:15], s[14:15]
; %bb.32:                               ;   in Loop: Header=BB483_9 Depth=1
	v_mul_f32_e32 v18, v13, v13
	v_fmamk_f32 v19, v18, 0xba1345e1, v26
	v_fmaak_f32 v19, v18, v19, 0xbcdac9b8
	v_fmaak_f32 v19, v18, v19, 0x3de703be
	v_fmaak_f32 v19, v18, v19, 0xbec09330
	v_fmaak_f32 v18, v18, v19, 0x3e0375d0
	v_fma_f32 v18, |v13|, v18, |v13|
; %bb.33:                               ;   in Loop: Header=BB483_9 Depth=1
	s_or_b64 exec, exec, s[14:15]
	v_bfi_b32 v9, s38, v12, v9
	v_mul_f32_e32 v8, 0.5, v8
	v_add_f32_e32 v9, 1.0, v9
	v_mul_f32_e32 v8, v8, v9
	v_and_b32_e32 v9, 0xffff0000, v2
	s_waitcnt vmcnt(0)
	v_add_f32_e32 v5, v5, v9
	v_lshlrev_b32_e32 v2, 16, v2
	v_bfi_b32 v9, s38, v18, v13
	v_add_f32_e32 v4, v4, v2
	v_mul_f32_e32 v2, 0.5, v10
	v_add_f32_e32 v9, 1.0, v9
	v_mul_f32_e32 v9, v2, v9
	v_lshlrev_b32_e32 v2, 16, v11
	v_add_f32_e32 v2, v14, v2
	;;#ASMSTART
	v_pk_mul_f32 v[4:5], v[8:9], v[4:5]
	;;#ASMEND
	v_mul_f32_e32 v8, 0x3f3504f3, v2
	v_cmp_nlt_f32_e64 s[14:15], |v8|, 1.0
                                        ; implicit-def: $vgpr9
	s_and_saveexec_b64 s[40:41], s[14:15]
	s_xor_b64 s[14:15], exec, s[40:41]
	s_cbranch_execz .LBB483_35
; %bb.34:                               ;   in Loop: Header=BB483_9 Depth=1
	v_fma_f32 v9, |v8|, s28, v27
	v_fma_f32 v9, |v8|, v9, s29
	;; [unrolled: 1-line block ×6, first 2 shown]
	v_fma_f32 v9, |v8|, v9, |v8|
	v_mul_f32_e32 v10, 0xbfb8aa3b, v9
	v_fma_f32 v12, v9, s35, -v10
	v_rndne_f32_e32 v13, v10
	v_fmac_f32_e32 v12, 0xb2a5705f, v9
	v_sub_f32_e32 v10, v10, v13
	v_add_f32_e32 v10, v10, v12
	v_cvt_i32_f32_e32 v12, v13
	v_exp_f32_e32 v10, v10
	v_cmp_nlt_f32_e32 vcc, s36, v9
	v_ldexp_f32 v10, v10, v12
	s_nop 0
	v_cndmask_b32_e32 v10, 0, v10, vcc
	v_cmp_ngt_f32_e32 vcc, s37, v9
	s_nop 1
	v_cndmask_b32_e32 v9, v28, v10, vcc
	v_sub_f32_e32 v9, 1.0, v9
.LBB483_35:                             ;   in Loop: Header=BB483_9 Depth=1
	s_andn2_saveexec_b64 s[14:15], s[14:15]
; %bb.36:                               ;   in Loop: Header=BB483_9 Depth=1
	v_mul_f32_e32 v9, v8, v8
	v_fmamk_f32 v10, v9, 0xba1345e1, v26
	v_fmaak_f32 v10, v9, v10, 0xbcdac9b8
	v_fmaak_f32 v10, v9, v10, 0x3de703be
	;; [unrolled: 1-line block ×4, first 2 shown]
	v_fma_f32 v9, |v8|, v9, |v8|
; %bb.37:                               ;   in Loop: Header=BB483_9 Depth=1
	s_or_b64 exec, exec, s[14:15]
	v_and_b32_e32 v10, 0xffff0000, v11
	v_add_f32_e32 v10, v15, v10
	v_mul_f32_e32 v11, 0x3f3504f3, v10
	v_cmp_nlt_f32_e64 s[14:15], |v11|, 1.0
                                        ; implicit-def: $vgpr12
	s_and_saveexec_b64 s[40:41], s[14:15]
	s_xor_b64 s[14:15], exec, s[40:41]
	s_cbranch_execz .LBB483_39
; %bb.38:                               ;   in Loop: Header=BB483_9 Depth=1
	v_fma_f32 v12, |v11|, s28, v27
	v_fma_f32 v12, |v11|, v12, s29
	;; [unrolled: 1-line block ×6, first 2 shown]
	v_fma_f32 v12, |v11|, v12, |v11|
	v_mul_f32_e32 v13, 0xbfb8aa3b, v12
	v_fma_f32 v14, v12, s35, -v13
	v_rndne_f32_e32 v15, v13
	v_fmac_f32_e32 v14, 0xb2a5705f, v12
	v_sub_f32_e32 v13, v13, v15
	v_add_f32_e32 v13, v13, v14
	v_cvt_i32_f32_e32 v14, v15
	v_exp_f32_e32 v13, v13
	v_cmp_nlt_f32_e32 vcc, s36, v12
	v_ldexp_f32 v13, v13, v14
	s_nop 0
	v_cndmask_b32_e32 v13, 0, v13, vcc
	v_cmp_ngt_f32_e32 vcc, s37, v12
	s_nop 1
	v_cndmask_b32_e32 v12, v28, v13, vcc
	v_sub_f32_e32 v12, 1.0, v12
.LBB483_39:                             ;   in Loop: Header=BB483_9 Depth=1
	s_andn2_saveexec_b64 s[14:15], s[14:15]
	s_cbranch_execz .LBB483_8
; %bb.40:                               ;   in Loop: Header=BB483_9 Depth=1
	v_mul_f32_e32 v12, v11, v11
	v_fmamk_f32 v13, v12, 0xba1345e1, v26
	v_fmaak_f32 v13, v12, v13, 0xbcdac9b8
	v_fmaak_f32 v13, v12, v13, 0x3de703be
	v_fmaak_f32 v13, v12, v13, 0xbec09330
	v_fmaak_f32 v12, v12, v13, 0x3e0375d0
	v_fma_f32 v12, |v11|, v12, |v11|
	s_branch .LBB483_8
.LBB483_41:
	s_endpgm
	.section	.rodata,"a",@progbits
	.p2align	6, 0x0
	.amdhsa_kernel _ZN5aiter23act_and_mul_bias_kernelIttlfTnPFfRKT2_EXadL_ZNS_11gelu_kernelIfEEfRKT_EELi8EEEvPT0_PS8_PKT1_PS2_il
		.amdhsa_group_segment_fixed_size 0
		.amdhsa_private_segment_fixed_size 0
		.amdhsa_kernarg_size 304
		.amdhsa_user_sgpr_count 2
		.amdhsa_user_sgpr_dispatch_ptr 0
		.amdhsa_user_sgpr_queue_ptr 0
		.amdhsa_user_sgpr_kernarg_segment_ptr 1
		.amdhsa_user_sgpr_dispatch_id 0
		.amdhsa_user_sgpr_kernarg_preload_length 0
		.amdhsa_user_sgpr_kernarg_preload_offset 0
		.amdhsa_user_sgpr_private_segment_size 0
		.amdhsa_uses_dynamic_stack 0
		.amdhsa_enable_private_segment 0
		.amdhsa_system_sgpr_workgroup_id_x 1
		.amdhsa_system_sgpr_workgroup_id_y 0
		.amdhsa_system_sgpr_workgroup_id_z 0
		.amdhsa_system_sgpr_workgroup_info 0
		.amdhsa_system_vgpr_workitem_id 0
		.amdhsa_next_free_vgpr 36
		.amdhsa_next_free_sgpr 42
		.amdhsa_accum_offset 36
		.amdhsa_reserve_vcc 1
		.amdhsa_float_round_mode_32 0
		.amdhsa_float_round_mode_16_64 0
		.amdhsa_float_denorm_mode_32 3
		.amdhsa_float_denorm_mode_16_64 3
		.amdhsa_dx10_clamp 1
		.amdhsa_ieee_mode 1
		.amdhsa_fp16_overflow 0
		.amdhsa_tg_split 0
		.amdhsa_exception_fp_ieee_invalid_op 0
		.amdhsa_exception_fp_denorm_src 0
		.amdhsa_exception_fp_ieee_div_zero 0
		.amdhsa_exception_fp_ieee_overflow 0
		.amdhsa_exception_fp_ieee_underflow 0
		.amdhsa_exception_fp_ieee_inexact 0
		.amdhsa_exception_int_div_zero 0
	.end_amdhsa_kernel
	.section	.text._ZN5aiter23act_and_mul_bias_kernelIttlfTnPFfRKT2_EXadL_ZNS_11gelu_kernelIfEEfRKT_EELi8EEEvPT0_PS8_PKT1_PS2_il,"axG",@progbits,_ZN5aiter23act_and_mul_bias_kernelIttlfTnPFfRKT2_EXadL_ZNS_11gelu_kernelIfEEfRKT_EELi8EEEvPT0_PS8_PKT1_PS2_il,comdat
.Lfunc_end483:
	.size	_ZN5aiter23act_and_mul_bias_kernelIttlfTnPFfRKT2_EXadL_ZNS_11gelu_kernelIfEEfRKT_EELi8EEEvPT0_PS8_PKT1_PS2_il, .Lfunc_end483-_ZN5aiter23act_and_mul_bias_kernelIttlfTnPFfRKT2_EXadL_ZNS_11gelu_kernelIfEEfRKT_EELi8EEEvPT0_PS8_PKT1_PS2_il
                                        ; -- End function
	.section	.AMDGPU.csdata,"",@progbits
; Kernel info:
; codeLenInByte = 2932
; NumSgprs: 48
; NumVgprs: 36
; NumAgprs: 0
; TotalNumVgprs: 36
; ScratchSize: 0
; MemoryBound: 0
; FloatMode: 240
; IeeeMode: 1
; LDSByteSize: 0 bytes/workgroup (compile time only)
; SGPRBlocks: 5
; VGPRBlocks: 4
; NumSGPRsForWavesPerEU: 48
; NumVGPRsForWavesPerEU: 36
; AccumOffset: 36
; Occupancy: 8
; WaveLimiterHint : 0
; COMPUTE_PGM_RSRC2:SCRATCH_EN: 0
; COMPUTE_PGM_RSRC2:USER_SGPR: 2
; COMPUTE_PGM_RSRC2:TRAP_HANDLER: 0
; COMPUTE_PGM_RSRC2:TGID_X_EN: 1
; COMPUTE_PGM_RSRC2:TGID_Y_EN: 0
; COMPUTE_PGM_RSRC2:TGID_Z_EN: 0
; COMPUTE_PGM_RSRC2:TIDIG_COMP_CNT: 0
; COMPUTE_PGM_RSRC3_GFX90A:ACCUM_OFFSET: 8
; COMPUTE_PGM_RSRC3_GFX90A:TG_SPLIT: 0
	.section	.text._ZN5aiter23act_and_mul_bias_kernelIttlfTnPFfRKT2_EXadL_ZNS_11gelu_kernelIfEEfRKT_EELi4EEEvPT0_PS8_PKT1_PS2_il,"axG",@progbits,_ZN5aiter23act_and_mul_bias_kernelIttlfTnPFfRKT2_EXadL_ZNS_11gelu_kernelIfEEfRKT_EELi4EEEvPT0_PS8_PKT1_PS2_il,comdat
	.protected	_ZN5aiter23act_and_mul_bias_kernelIttlfTnPFfRKT2_EXadL_ZNS_11gelu_kernelIfEEfRKT_EELi4EEEvPT0_PS8_PKT1_PS2_il ; -- Begin function _ZN5aiter23act_and_mul_bias_kernelIttlfTnPFfRKT2_EXadL_ZNS_11gelu_kernelIfEEfRKT_EELi4EEEvPT0_PS8_PKT1_PS2_il
	.globl	_ZN5aiter23act_and_mul_bias_kernelIttlfTnPFfRKT2_EXadL_ZNS_11gelu_kernelIfEEfRKT_EELi4EEEvPT0_PS8_PKT1_PS2_il
	.p2align	8
	.type	_ZN5aiter23act_and_mul_bias_kernelIttlfTnPFfRKT2_EXadL_ZNS_11gelu_kernelIfEEfRKT_EELi4EEEvPT0_PS8_PKT1_PS2_il,@function
_ZN5aiter23act_and_mul_bias_kernelIttlfTnPFfRKT2_EXadL_ZNS_11gelu_kernelIfEEfRKT_EELi4EEEvPT0_PS8_PKT1_PS2_il: ; @_ZN5aiter23act_and_mul_bias_kernelIttlfTnPFfRKT2_EXadL_ZNS_11gelu_kernelIfEEfRKT_EELi4EEEvPT0_PS8_PKT1_PS2_il
; %bb.0:
	s_load_dword s24, s[0:1], 0x20
	s_load_dwordx2 s[4:5], s[0:1], 0x0
	s_load_dwordx2 s[6:7], s[0:1], 0x10
	;; [unrolled: 1-line block ×3, first 2 shown]
	s_mov_b32 s3, 0
	s_waitcnt lgkmcnt(0)
	s_ashr_i32 s25, s24, 31
	s_lshl_b64 s[8:9], s[2:3], 3
	s_add_u32 s6, s6, s8
	s_addc_u32 s7, s7, s9
	s_add_i32 s3, s24, 1
	s_load_dwordx2 s[8:9], s[6:7], 0x0
	s_lshr_b32 s6, s3, 31
	s_add_i32 s3, s3, s6
	s_lshl_b32 s3, s3, 1
	s_and_b32 s6, s3, -4
	s_mul_hi_u32 s3, s24, s2
	s_mul_i32 s7, s25, s2
	s_add_i32 s11, s3, s7
	s_mul_i32 s10, s24, s2
	s_lshl_b64 s[10:11], s[10:11], 1
	v_mov_b64_e32 v[2:3], s[12:13]
	s_add_u32 s4, s4, s10
	s_waitcnt lgkmcnt(0)
	v_cmp_gt_i64_e64 s[14:15], s[8:9], -1
	v_cmp_lt_i64_e32 vcc, s[8:9], v[2:3]
	s_addc_u32 s3, s5, s11
	s_and_b64 s[12:13], s[14:15], vcc
	s_and_b32 s5, s3, 0xffff
	s_mov_b64 s[10:11], -1
	s_and_b64 vcc, exec, s[12:13]
	v_lshlrev_b32_e32 v8, 2, v0
	s_cbranch_vccnz .LBB484_5
; %bb.1:
	v_cmp_gt_i32_e32 vcc, s24, v8
	s_and_saveexec_b64 s[10:11], vcc
	s_cbranch_execz .LBB484_4
; %bb.2:
	s_load_dword s3, s[0:1], 0x3c
	v_mov_b32_e32 v9, 0
	s_mov_b32 s13, 0
	v_lshlrev_b32_e32 v4, 3, v0
	s_mov_b64 s[14:15], 0
	s_waitcnt lgkmcnt(0)
	s_and_b32 s3, s3, 0xffff
	s_lshl_b32 s12, s3, 2
	s_lshl_b32 s3, s3, 3
	s_mov_b32 s7, 0x20000
	v_mov_b32_e32 v0, v9
	v_mov_b32_e32 v1, v9
	v_mov_b64_e32 v[2:3], v[8:9]
.LBB484_3:                              ; =>This Inner Loop Header: Depth=1
	v_lshl_add_u64 v[2:3], s[12:13], 0, v[2:3]
	v_cmp_le_i64_e32 vcc, s[24:25], v[2:3]
	buffer_store_dwordx2 v[0:1], v4, s[4:7], 0 offen
	s_or_b64 s[14:15], vcc, s[14:15]
	v_add_u32_e32 v4, s3, v4
	s_andn2_b64 exec, exec, s[14:15]
	s_cbranch_execnz .LBB484_3
.LBB484_4:
	s_or_b64 exec, exec, s[10:11]
	s_mov_b64 s[10:11], 0
.LBB484_5:
	s_andn2_b64 vcc, exec, s[10:11]
	s_cbranch_vccnz .LBB484_25
; %bb.6:
	v_cmp_gt_i32_e32 vcc, s24, v8
	s_and_saveexec_b64 s[10:11], vcc
	s_cbranch_execz .LBB484_25
; %bb.7:
	s_load_dwordx2 s[14:15], s[0:1], 0x8
	s_load_dwordx2 s[10:11], s[0:1], 0x18
	s_mul_i32 s3, s24, s9
	s_mul_hi_u32 s7, s24, s8
	s_add_i32 s3, s7, s3
	s_mul_i32 s7, s25, s8
	s_add_i32 s9, s3, s7
	s_mul_i32 s8, s24, s8
	s_lshl_b64 s[8:9], s[8:9], 3
	s_waitcnt lgkmcnt(0)
	s_add_u32 s8, s10, s8
	s_addc_u32 s3, s11, s9
	s_lshl_b64 s[10:11], s[24:25], 2
	s_add_u32 s12, s8, s10
	s_addc_u32 s13, s3, s11
	s_and_b32 s9, s3, 0xffff
	s_mul_i32 s3, s2, s25
	s_mul_hi_u32 s16, s2, s24
	s_add_i32 s3, s16, s3
	s_mul_i32 s2, s2, s24
	s_lshl_b32 s10, s24, 2
	s_and_b32 s13, s13, 0xffff
	s_lshl_b64 s[2:3], s[2:3], 2
	s_add_u32 s16, s14, s2
	s_addc_u32 s14, s15, s3
	s_lshl_b64 s[2:3], s[24:25], 1
	s_add_u32 s20, s16, s2
	s_addc_u32 s2, s14, s3
	s_and_b32 s17, s14, 0xffff
	s_and_b32 s21, s2, 0xffff
	s_mov_b32 s7, 0x20000
	s_add_u32 s0, s0, 48
	s_mov_b32 s11, s7
	s_mov_b64 s[22:23], s[6:7]
	v_mov_b32_e32 v9, 0
	s_addc_u32 s1, s1, 0
	s_mov_b64 s[2:3], 0
	s_mov_b32 s19, s7
	s_mov_b32 s18, s6
	;; [unrolled: 1-line block ×12, first 2 shown]
	v_mov_b32_e32 v14, 0x3ba10414
	s_brev_b32 s38, -2
	s_mov_b32 s39, 0x7060302
	v_mov_b32_e32 v15, 0xb9c68948
	v_mov_b32_e32 v16, 0x7f800000
                                        ; implicit-def: $vgpr0
                                        ; implicit-def: $vgpr0
	;; [unrolled: 1-line block ×4, first 2 shown]
	s_branch .LBB484_9
.LBB484_8:                              ;   in Loop: Header=BB484_9 Depth=1
	s_or_b64 exec, exec, s[14:15]
	v_bfi_b32 v5, s38, v6, v5
	v_mul_f32_e32 v4, 0.5, v4
	v_add_f32_e32 v5, 1.0, v5
	v_mul_f32_e32 v4, v4, v5
	v_and_b32_e32 v5, 0xffff0000, v11
	v_add_f32_e32 v3, v3, v5
	v_lshlrev_b32_e32 v5, 16, v11
	v_bfi_b32 v6, s38, v12, v10
	v_add_f32_e32 v2, v2, v5
	v_mul_f32_e32 v5, 0.5, v7
	v_add_f32_e32 v6, 1.0, v6
	v_mul_f32_e32 v5, v5, v6
	;;#ASMSTART
	v_pk_mul_f32 v[2:3], v[4:5], v[2:3]
	;;#ASMEND
	s_load_dword s14, s[0:1], 0xc
	v_perm_b32 v3, v3, v2, s39
	v_perm_b32 v2, v1, v0, s39
	buffer_store_dwordx2 v[2:3], v17, s[4:7], 0 offen
	s_waitcnt lgkmcnt(0)
	s_and_b32 s14, s14, 0xffff
	s_lshl_b32 s26, s14, 2
	v_lshl_add_u64 v[8:9], s[26:27], 0, v[8:9]
	v_cmp_le_i64_e32 vcc, s[24:25], v[8:9]
	s_or_b64 s[2:3], vcc, s[2:3]
	s_andn2_b64 exec, exec, s[2:3]
	s_cbranch_execz .LBB484_25
.LBB484_9:                              ; =>This Inner Loop Header: Depth=1
	v_lshlrev_b32_e32 v17, 1, v8
	v_lshlrev_b32_e32 v0, 2, v8
	buffer_load_dwordx2 v[12:13], v17, s[16:19], 0 offen
	buffer_load_dwordx2 v[10:11], v17, s[20:23], 0 offen
	buffer_load_dwordx4 v[4:7], v0, s[8:11], 0 offen
	s_mov_b32 s14, s10
	s_mov_b32 s15, s11
	buffer_load_dwordx4 v[0:3], v0, s[12:15], 0 offen
                                        ; implicit-def: $vgpr19
	s_waitcnt vmcnt(3)
	v_lshlrev_b32_e32 v18, 16, v12
	s_waitcnt vmcnt(1)
	v_add_f32_e32 v4, v4, v18
	v_mul_f32_e32 v18, 0x3f3504f3, v4
	v_cmp_nlt_f32_e64 s[14:15], |v18|, 1.0
	s_and_saveexec_b64 s[40:41], s[14:15]
	s_xor_b64 s[14:15], exec, s[40:41]
	s_cbranch_execz .LBB484_11
; %bb.10:                               ;   in Loop: Header=BB484_9 Depth=1
	v_fma_f32 v19, |v18|, s28, v15
	v_fma_f32 v19, |v18|, v19, s29
	;; [unrolled: 1-line block ×6, first 2 shown]
	v_fma_f32 v19, |v18|, v19, |v18|
	v_mul_f32_e32 v20, 0xbfb8aa3b, v19
	v_fma_f32 v21, v19, s35, -v20
	v_rndne_f32_e32 v22, v20
	v_fmac_f32_e32 v21, 0xb2a5705f, v19
	v_sub_f32_e32 v20, v20, v22
	v_add_f32_e32 v20, v20, v21
	v_cvt_i32_f32_e32 v21, v22
	v_exp_f32_e32 v20, v20
	v_cmp_nlt_f32_e32 vcc, s36, v19
	v_ldexp_f32 v20, v20, v21
	s_nop 0
	v_cndmask_b32_e32 v20, 0, v20, vcc
	v_cmp_ngt_f32_e32 vcc, s37, v19
	s_nop 1
	v_cndmask_b32_e32 v19, v16, v20, vcc
	v_sub_f32_e32 v19, 1.0, v19
.LBB484_11:                             ;   in Loop: Header=BB484_9 Depth=1
	s_andn2_saveexec_b64 s[14:15], s[14:15]
; %bb.12:                               ;   in Loop: Header=BB484_9 Depth=1
	v_mul_f32_e32 v19, v18, v18
	v_fmamk_f32 v20, v19, 0xba1345e1, v14
	v_fmaak_f32 v20, v19, v20, 0xbcdac9b8
	v_fmaak_f32 v20, v19, v20, 0x3de703be
	;; [unrolled: 1-line block ×4, first 2 shown]
	v_fma_f32 v19, |v18|, v19, |v18|
; %bb.13:                               ;   in Loop: Header=BB484_9 Depth=1
	s_or_b64 exec, exec, s[14:15]
	v_and_b32_e32 v12, 0xffff0000, v12
	v_add_f32_e32 v5, v5, v12
	v_mul_f32_e32 v12, 0x3f3504f3, v5
	v_cmp_nlt_f32_e64 s[14:15], |v12|, 1.0
                                        ; implicit-def: $vgpr20
	s_and_saveexec_b64 s[40:41], s[14:15]
	s_xor_b64 s[14:15], exec, s[40:41]
	s_cbranch_execz .LBB484_15
; %bb.14:                               ;   in Loop: Header=BB484_9 Depth=1
	v_fma_f32 v20, |v12|, s28, v15
	v_fma_f32 v20, |v12|, v20, s29
	;; [unrolled: 1-line block ×6, first 2 shown]
	v_fma_f32 v20, |v12|, v20, |v12|
	v_mul_f32_e32 v21, 0xbfb8aa3b, v20
	v_fma_f32 v22, v20, s35, -v21
	v_rndne_f32_e32 v23, v21
	v_fmac_f32_e32 v22, 0xb2a5705f, v20
	v_sub_f32_e32 v21, v21, v23
	v_add_f32_e32 v21, v21, v22
	v_cvt_i32_f32_e32 v22, v23
	v_exp_f32_e32 v21, v21
	v_cmp_nlt_f32_e32 vcc, s36, v20
	v_ldexp_f32 v21, v21, v22
	s_nop 0
	v_cndmask_b32_e32 v21, 0, v21, vcc
	v_cmp_ngt_f32_e32 vcc, s37, v20
	s_nop 1
	v_cndmask_b32_e32 v20, v16, v21, vcc
	v_sub_f32_e32 v20, 1.0, v20
.LBB484_15:                             ;   in Loop: Header=BB484_9 Depth=1
	s_andn2_saveexec_b64 s[14:15], s[14:15]
; %bb.16:                               ;   in Loop: Header=BB484_9 Depth=1
	v_mul_f32_e32 v20, v12, v12
	v_fmamk_f32 v21, v20, 0xba1345e1, v14
	v_fmaak_f32 v21, v20, v21, 0xbcdac9b8
	v_fmaak_f32 v21, v20, v21, 0x3de703be
	;; [unrolled: 1-line block ×4, first 2 shown]
	v_fma_f32 v20, |v12|, v20, |v12|
; %bb.17:                               ;   in Loop: Header=BB484_9 Depth=1
	s_or_b64 exec, exec, s[14:15]
	v_bfi_b32 v18, s38, v19, v18
	v_mul_f32_e32 v4, 0.5, v4
	v_add_f32_e32 v18, 1.0, v18
	v_mul_f32_e32 v4, v4, v18
	v_and_b32_e32 v18, 0xffff0000, v10
	v_lshlrev_b32_e32 v10, 16, v10
	s_waitcnt vmcnt(0)
	v_add_f32_e32 v0, v0, v10
	v_bfi_b32 v10, s38, v20, v12
	v_add_f32_e32 v1, v1, v18
	v_mul_f32_e32 v5, 0.5, v5
	v_add_f32_e32 v10, 1.0, v10
	v_mul_f32_e32 v5, v5, v10
	;;#ASMSTART
	v_pk_mul_f32 v[0:1], v[4:5], v[0:1]
	;;#ASMEND
	v_lshlrev_b32_e32 v4, 16, v13
	v_add_f32_e32 v4, v6, v4
	v_mul_f32_e32 v5, 0x3f3504f3, v4
	v_cmp_nlt_f32_e64 s[14:15], |v5|, 1.0
                                        ; implicit-def: $vgpr6
	s_and_saveexec_b64 s[40:41], s[14:15]
	s_xor_b64 s[14:15], exec, s[40:41]
	s_cbranch_execz .LBB484_19
; %bb.18:                               ;   in Loop: Header=BB484_9 Depth=1
	v_fma_f32 v6, |v5|, s28, v15
	v_fma_f32 v6, |v5|, v6, s29
	v_fma_f32 v6, |v5|, v6, s30
	v_fma_f32 v6, |v5|, v6, s31
	v_fma_f32 v6, |v5|, v6, s33
	v_fma_f32 v6, |v5|, v6, s34
	v_fma_f32 v6, |v5|, v6, |v5|
	v_mul_f32_e32 v10, 0xbfb8aa3b, v6
	v_fma_f32 v12, v6, s35, -v10
	v_rndne_f32_e32 v18, v10
	v_fmac_f32_e32 v12, 0xb2a5705f, v6
	v_sub_f32_e32 v10, v10, v18
	v_add_f32_e32 v10, v10, v12
	v_cvt_i32_f32_e32 v12, v18
	v_exp_f32_e32 v10, v10
	v_cmp_nlt_f32_e32 vcc, s36, v6
	v_ldexp_f32 v10, v10, v12
	s_nop 0
	v_cndmask_b32_e32 v10, 0, v10, vcc
	v_cmp_ngt_f32_e32 vcc, s37, v6
	s_nop 1
	v_cndmask_b32_e32 v6, v16, v10, vcc
	v_sub_f32_e32 v6, 1.0, v6
.LBB484_19:                             ;   in Loop: Header=BB484_9 Depth=1
	s_andn2_saveexec_b64 s[14:15], s[14:15]
; %bb.20:                               ;   in Loop: Header=BB484_9 Depth=1
	v_mul_f32_e32 v6, v5, v5
	v_fmamk_f32 v10, v6, 0xba1345e1, v14
	v_fmaak_f32 v10, v6, v10, 0xbcdac9b8
	v_fmaak_f32 v10, v6, v10, 0x3de703be
	;; [unrolled: 1-line block ×4, first 2 shown]
	v_fma_f32 v6, |v5|, v6, |v5|
; %bb.21:                               ;   in Loop: Header=BB484_9 Depth=1
	s_or_b64 exec, exec, s[14:15]
	v_and_b32_e32 v10, 0xffff0000, v13
	v_add_f32_e32 v7, v7, v10
	v_mul_f32_e32 v10, 0x3f3504f3, v7
	v_cmp_nlt_f32_e64 s[14:15], |v10|, 1.0
                                        ; implicit-def: $vgpr12
	s_and_saveexec_b64 s[40:41], s[14:15]
	s_xor_b64 s[14:15], exec, s[40:41]
	s_cbranch_execz .LBB484_23
; %bb.22:                               ;   in Loop: Header=BB484_9 Depth=1
	v_fma_f32 v12, |v10|, s28, v15
	v_fma_f32 v12, |v10|, v12, s29
	;; [unrolled: 1-line block ×6, first 2 shown]
	v_fma_f32 v12, |v10|, v12, |v10|
	v_mul_f32_e32 v13, 0xbfb8aa3b, v12
	v_fma_f32 v18, v12, s35, -v13
	v_rndne_f32_e32 v19, v13
	v_fmac_f32_e32 v18, 0xb2a5705f, v12
	v_sub_f32_e32 v13, v13, v19
	v_add_f32_e32 v13, v13, v18
	v_cvt_i32_f32_e32 v18, v19
	v_exp_f32_e32 v13, v13
	v_cmp_nlt_f32_e32 vcc, s36, v12
	v_ldexp_f32 v13, v13, v18
	s_nop 0
	v_cndmask_b32_e32 v13, 0, v13, vcc
	v_cmp_ngt_f32_e32 vcc, s37, v12
	s_nop 1
	v_cndmask_b32_e32 v12, v16, v13, vcc
	v_sub_f32_e32 v12, 1.0, v12
.LBB484_23:                             ;   in Loop: Header=BB484_9 Depth=1
	s_andn2_saveexec_b64 s[14:15], s[14:15]
	s_cbranch_execz .LBB484_8
; %bb.24:                               ;   in Loop: Header=BB484_9 Depth=1
	v_mul_f32_e32 v12, v10, v10
	v_fmamk_f32 v13, v12, 0xba1345e1, v14
	v_fmaak_f32 v13, v12, v13, 0xbcdac9b8
	v_fmaak_f32 v13, v12, v13, 0x3de703be
	;; [unrolled: 1-line block ×4, first 2 shown]
	v_fma_f32 v12, |v10|, v12, |v10|
	s_branch .LBB484_8
.LBB484_25:
	s_endpgm
	.section	.rodata,"a",@progbits
	.p2align	6, 0x0
	.amdhsa_kernel _ZN5aiter23act_and_mul_bias_kernelIttlfTnPFfRKT2_EXadL_ZNS_11gelu_kernelIfEEfRKT_EELi4EEEvPT0_PS8_PKT1_PS2_il
		.amdhsa_group_segment_fixed_size 0
		.amdhsa_private_segment_fixed_size 0
		.amdhsa_kernarg_size 304
		.amdhsa_user_sgpr_count 2
		.amdhsa_user_sgpr_dispatch_ptr 0
		.amdhsa_user_sgpr_queue_ptr 0
		.amdhsa_user_sgpr_kernarg_segment_ptr 1
		.amdhsa_user_sgpr_dispatch_id 0
		.amdhsa_user_sgpr_kernarg_preload_length 0
		.amdhsa_user_sgpr_kernarg_preload_offset 0
		.amdhsa_user_sgpr_private_segment_size 0
		.amdhsa_uses_dynamic_stack 0
		.amdhsa_enable_private_segment 0
		.amdhsa_system_sgpr_workgroup_id_x 1
		.amdhsa_system_sgpr_workgroup_id_y 0
		.amdhsa_system_sgpr_workgroup_id_z 0
		.amdhsa_system_sgpr_workgroup_info 0
		.amdhsa_system_vgpr_workitem_id 0
		.amdhsa_next_free_vgpr 24
		.amdhsa_next_free_sgpr 42
		.amdhsa_accum_offset 24
		.amdhsa_reserve_vcc 1
		.amdhsa_float_round_mode_32 0
		.amdhsa_float_round_mode_16_64 0
		.amdhsa_float_denorm_mode_32 3
		.amdhsa_float_denorm_mode_16_64 3
		.amdhsa_dx10_clamp 1
		.amdhsa_ieee_mode 1
		.amdhsa_fp16_overflow 0
		.amdhsa_tg_split 0
		.amdhsa_exception_fp_ieee_invalid_op 0
		.amdhsa_exception_fp_denorm_src 0
		.amdhsa_exception_fp_ieee_div_zero 0
		.amdhsa_exception_fp_ieee_overflow 0
		.amdhsa_exception_fp_ieee_underflow 0
		.amdhsa_exception_fp_ieee_inexact 0
		.amdhsa_exception_int_div_zero 0
	.end_amdhsa_kernel
	.section	.text._ZN5aiter23act_and_mul_bias_kernelIttlfTnPFfRKT2_EXadL_ZNS_11gelu_kernelIfEEfRKT_EELi4EEEvPT0_PS8_PKT1_PS2_il,"axG",@progbits,_ZN5aiter23act_and_mul_bias_kernelIttlfTnPFfRKT2_EXadL_ZNS_11gelu_kernelIfEEfRKT_EELi4EEEvPT0_PS8_PKT1_PS2_il,comdat
.Lfunc_end484:
	.size	_ZN5aiter23act_and_mul_bias_kernelIttlfTnPFfRKT2_EXadL_ZNS_11gelu_kernelIfEEfRKT_EELi4EEEvPT0_PS8_PKT1_PS2_il, .Lfunc_end484-_ZN5aiter23act_and_mul_bias_kernelIttlfTnPFfRKT2_EXadL_ZNS_11gelu_kernelIfEEfRKT_EELi4EEEvPT0_PS8_PKT1_PS2_il
                                        ; -- End function
	.section	.AMDGPU.csdata,"",@progbits
; Kernel info:
; codeLenInByte = 1816
; NumSgprs: 48
; NumVgprs: 24
; NumAgprs: 0
; TotalNumVgprs: 24
; ScratchSize: 0
; MemoryBound: 0
; FloatMode: 240
; IeeeMode: 1
; LDSByteSize: 0 bytes/workgroup (compile time only)
; SGPRBlocks: 5
; VGPRBlocks: 2
; NumSGPRsForWavesPerEU: 48
; NumVGPRsForWavesPerEU: 24
; AccumOffset: 24
; Occupancy: 8
; WaveLimiterHint : 0
; COMPUTE_PGM_RSRC2:SCRATCH_EN: 0
; COMPUTE_PGM_RSRC2:USER_SGPR: 2
; COMPUTE_PGM_RSRC2:TRAP_HANDLER: 0
; COMPUTE_PGM_RSRC2:TGID_X_EN: 1
; COMPUTE_PGM_RSRC2:TGID_Y_EN: 0
; COMPUTE_PGM_RSRC2:TGID_Z_EN: 0
; COMPUTE_PGM_RSRC2:TIDIG_COMP_CNT: 0
; COMPUTE_PGM_RSRC3_GFX90A:ACCUM_OFFSET: 5
; COMPUTE_PGM_RSRC3_GFX90A:TG_SPLIT: 0
	.section	.text._ZN5aiter23act_and_mul_bias_kernelIttlfTnPFfRKT2_EXadL_ZNS_11gelu_kernelIfEEfRKT_EELi2EEEvPT0_PS8_PKT1_PS2_il,"axG",@progbits,_ZN5aiter23act_and_mul_bias_kernelIttlfTnPFfRKT2_EXadL_ZNS_11gelu_kernelIfEEfRKT_EELi2EEEvPT0_PS8_PKT1_PS2_il,comdat
	.protected	_ZN5aiter23act_and_mul_bias_kernelIttlfTnPFfRKT2_EXadL_ZNS_11gelu_kernelIfEEfRKT_EELi2EEEvPT0_PS8_PKT1_PS2_il ; -- Begin function _ZN5aiter23act_and_mul_bias_kernelIttlfTnPFfRKT2_EXadL_ZNS_11gelu_kernelIfEEfRKT_EELi2EEEvPT0_PS8_PKT1_PS2_il
	.globl	_ZN5aiter23act_and_mul_bias_kernelIttlfTnPFfRKT2_EXadL_ZNS_11gelu_kernelIfEEfRKT_EELi2EEEvPT0_PS8_PKT1_PS2_il
	.p2align	8
	.type	_ZN5aiter23act_and_mul_bias_kernelIttlfTnPFfRKT2_EXadL_ZNS_11gelu_kernelIfEEfRKT_EELi2EEEvPT0_PS8_PKT1_PS2_il,@function
_ZN5aiter23act_and_mul_bias_kernelIttlfTnPFfRKT2_EXadL_ZNS_11gelu_kernelIfEEfRKT_EELi2EEEvPT0_PS8_PKT1_PS2_il: ; @_ZN5aiter23act_and_mul_bias_kernelIttlfTnPFfRKT2_EXadL_ZNS_11gelu_kernelIfEEfRKT_EELi2EEEvPT0_PS8_PKT1_PS2_il
; %bb.0:
	s_load_dword s24, s[0:1], 0x20
	s_load_dwordx2 s[4:5], s[0:1], 0x0
	s_load_dwordx2 s[6:7], s[0:1], 0x10
	;; [unrolled: 1-line block ×3, first 2 shown]
	s_mov_b32 s3, 0
	s_waitcnt lgkmcnt(0)
	s_ashr_i32 s25, s24, 31
	s_lshl_b64 s[8:9], s[2:3], 3
	s_add_u32 s6, s6, s8
	s_addc_u32 s7, s7, s9
	s_add_i32 s3, s24, 1
	s_load_dwordx2 s[8:9], s[6:7], 0x0
	s_lshr_b32 s6, s3, 31
	s_add_i32 s3, s3, s6
	s_lshl_b32 s3, s3, 1
	s_and_b32 s6, s3, -4
	s_mul_hi_u32 s3, s24, s2
	s_mul_i32 s7, s25, s2
	s_add_i32 s11, s3, s7
	s_mul_i32 s10, s24, s2
	s_lshl_b64 s[10:11], s[10:11], 1
	v_mov_b64_e32 v[2:3], s[12:13]
	s_add_u32 s4, s4, s10
	s_waitcnt lgkmcnt(0)
	v_cmp_gt_i64_e64 s[14:15], s[8:9], -1
	v_cmp_lt_i64_e32 vcc, s[8:9], v[2:3]
	s_addc_u32 s3, s5, s11
	s_and_b64 s[12:13], s[14:15], vcc
	s_and_b32 s5, s3, 0xffff
	s_mov_b64 s[10:11], -1
	s_and_b64 vcc, exec, s[12:13]
	v_lshlrev_b32_e32 v2, 1, v0
	s_cbranch_vccnz .LBB485_5
; %bb.1:
	v_cmp_gt_i32_e32 vcc, s24, v2
	s_and_saveexec_b64 s[10:11], vcc
	s_cbranch_execz .LBB485_4
; %bb.2:
	s_load_dword s3, s[0:1], 0x3c
	v_mov_b32_e32 v3, 0
	s_mov_b32 s13, 0
	v_lshlrev_b32_e32 v4, 2, v0
	s_mov_b64 s[14:15], 0
	s_waitcnt lgkmcnt(0)
	s_and_b32 s3, s3, 0xffff
	s_lshl_b32 s12, s3, 1
	s_lshl_b32 s3, s3, 2
	s_mov_b32 s7, 0x20000
	v_mov_b64_e32 v[0:1], v[2:3]
.LBB485_3:                              ; =>This Inner Loop Header: Depth=1
	v_lshl_add_u64 v[0:1], s[12:13], 0, v[0:1]
	v_cmp_le_i64_e32 vcc, s[24:25], v[0:1]
	buffer_store_dword v3, v4, s[4:7], 0 offen
	s_or_b64 s[14:15], vcc, s[14:15]
	v_add_u32_e32 v4, s3, v4
	s_andn2_b64 exec, exec, s[14:15]
	s_cbranch_execnz .LBB485_3
.LBB485_4:
	s_or_b64 exec, exec, s[10:11]
	s_mov_b64 s[10:11], 0
.LBB485_5:
	s_andn2_b64 vcc, exec, s[10:11]
	s_cbranch_vccnz .LBB485_13
; %bb.6:
	v_cmp_gt_i32_e32 vcc, s24, v2
	s_and_saveexec_b64 s[10:11], vcc
	s_cbranch_execz .LBB485_13
; %bb.7:
	s_load_dwordx2 s[14:15], s[0:1], 0x8
	s_load_dwordx2 s[10:11], s[0:1], 0x18
	s_mul_i32 s3, s24, s9
	s_mul_hi_u32 s7, s24, s8
	s_add_i32 s3, s7, s3
	s_mul_i32 s7, s25, s8
	s_add_i32 s9, s3, s7
	s_mul_i32 s8, s24, s8
	s_lshl_b64 s[8:9], s[8:9], 3
	s_waitcnt lgkmcnt(0)
	s_add_u32 s8, s10, s8
	s_addc_u32 s3, s11, s9
	s_lshl_b64 s[10:11], s[24:25], 2
	s_add_u32 s12, s8, s10
	s_addc_u32 s13, s3, s11
	s_and_b32 s9, s3, 0xffff
	s_mul_i32 s3, s2, s25
	s_mul_hi_u32 s16, s2, s24
	s_add_i32 s3, s16, s3
	s_mul_i32 s2, s2, s24
	s_lshl_b32 s10, s24, 2
	s_and_b32 s13, s13, 0xffff
	s_lshl_b64 s[2:3], s[2:3], 2
	s_add_u32 s16, s14, s2
	s_addc_u32 s14, s15, s3
	s_lshl_b64 s[2:3], s[24:25], 1
	s_add_u32 s20, s16, s2
	s_addc_u32 s2, s14, s3
	s_and_b32 s17, s14, 0xffff
	s_and_b32 s21, s2, 0xffff
	s_mov_b32 s7, 0x20000
	s_add_u32 s0, s0, 48
	s_mov_b32 s11, s7
	s_mov_b64 s[22:23], s[6:7]
	v_mov_b32_e32 v3, 0
	s_addc_u32 s1, s1, 0
	s_mov_b64 s[2:3], 0
	s_mov_b32 s19, s7
	s_mov_b32 s18, s6
	;; [unrolled: 1-line block ×13, first 2 shown]
	v_mov_b32_e32 v10, 0x3ba10414
	v_mov_b32_e32 v11, 0xb9c68948
	;; [unrolled: 1-line block ×3, first 2 shown]
	s_brev_b32 s39, -2
	s_mov_b32 s40, 0x7060302
                                        ; implicit-def: $vgpr0
                                        ; implicit-def: $vgpr0
	;; [unrolled: 1-line block ×4, first 2 shown]
	s_branch .LBB485_9
.LBB485_8:                              ;   in Loop: Header=BB485_9 Depth=1
	s_or_b64 exec, exec, s[14:15]
	v_fma_f32 v8, |v1|, s29, v11
	v_fma_f32 v8, |v1|, v8, s30
	v_fma_f32 v8, |v1|, v8, s31
	v_fma_f32 v8, |v1|, v8, s33
	v_fma_f32 v8, |v1|, v8, s34
	v_fma_f32 v8, |v1|, v8, s35
	v_fma_f32 v8, |v1|, v8, |v1|
	v_mul_f32_e32 v16, 0xbfb8aa3b, v8
	v_fma_f32 v17, v8, s36, -v16
	v_rndne_f32_e32 v18, v16
	v_fmac_f32_e32 v17, 0xb2a5705f, v8
	v_sub_f32_e32 v16, v16, v18
	v_add_f32_e32 v16, v16, v17
	v_exp_f32_e32 v19, v16
	v_cvt_i32_f32_e32 v18, v18
	v_and_b32_e32 v17, 0xffff0000, v14
	v_lshlrev_b32_e32 v16, 16, v14
	v_cmp_nlt_f32_e32 vcc, s37, v8
	v_ldexp_f32 v14, v19, v18
	v_bfi_b32 v0, s39, v15, v0
	v_cndmask_b32_e32 v14, 0, v14, vcc
	v_cmp_ngt_f32_e32 vcc, s38, v8
	v_mul_f32_e32 v5, 0.5, v5
	v_mul_f32_e32 v4, 0.5, v4
	v_cndmask_b32_e32 v8, v12, v14, vcc
	v_fmamk_f32 v14, v9, 0xba1345e1, v10
	v_fmaak_f32 v14, v9, v14, 0xbcdac9b8
	v_fmaak_f32 v14, v9, v14, 0x3de703be
	;; [unrolled: 1-line block ×4, first 2 shown]
	v_sub_f32_e32 v8, 1.0, v8
	v_fma_f32 v9, |v1|, v9, |v1|
	v_cmp_lt_f32_e64 vcc, |v1|, 1.0
	s_waitcnt vmcnt(0)
	v_pk_add_f32 v[6:7], v[6:7], v[16:17]
	v_cndmask_b32_e32 v8, v8, v9, vcc
	v_bfi_b32 v1, s39, v8, v1
	v_pk_add_f32 v[0:1], v[0:1], 1.0 op_sel_hi:[1,0]
	s_nop 0
	v_pk_mul_f32 v[0:1], v[4:5], v[0:1]
	s_nop 0
	;;#ASMSTART
	v_pk_mul_f32 v[0:1], v[0:1], v[6:7]
	;;#ASMEND
	s_load_dword s14, s[0:1], 0xc
	v_perm_b32 v0, v1, v0, s40
	buffer_store_dword v0, v13, s[4:7], 0 offen
	s_waitcnt lgkmcnt(0)
	s_and_b32 s14, s14, 0xffff
	s_lshl_b32 s26, s14, 1
	v_lshl_add_u64 v[2:3], s[26:27], 0, v[2:3]
	v_cmp_le_i64_e32 vcc, s[24:25], v[2:3]
	s_or_b64 s[2:3], vcc, s[2:3]
	s_andn2_b64 exec, exec, s[2:3]
	s_cbranch_execz .LBB485_13
.LBB485_9:                              ; =>This Inner Loop Header: Depth=1
	v_lshlrev_b32_e32 v13, 1, v2
	v_lshlrev_b32_e32 v5, 2, v2
	buffer_load_dword v4, v13, s[16:19], 0 offen
	buffer_load_dword v14, v13, s[20:23], 0 offen
	buffer_load_dwordx2 v[0:1], v5, s[8:11], 0 offen
	s_mov_b32 s14, s10
	s_mov_b32 s15, s11
	buffer_load_dwordx2 v[6:7], v5, s[12:15], 0 offen
                                        ; implicit-def: $vgpr15
	s_waitcnt vmcnt(3)
	v_and_b32_e32 v5, 0xffff0000, v4
	v_lshlrev_b32_e32 v4, 16, v4
	s_waitcnt vmcnt(1)
	v_pk_add_f32 v[4:5], v[0:1], v[4:5]
	s_nop 0
	v_pk_mul_f32 v[0:1], v[4:5], s[28:29] op_sel_hi:[1,0]
	s_nop 0
	v_cmp_nlt_f32_e64 s[14:15], |v0|, 1.0
	s_and_saveexec_b64 s[42:43], s[14:15]
	s_xor_b64 s[14:15], exec, s[42:43]
	s_cbranch_execz .LBB485_11
; %bb.10:                               ;   in Loop: Header=BB485_9 Depth=1
	v_fma_f32 v8, |v0|, s29, v11
	v_fma_f32 v8, |v0|, v8, s30
	;; [unrolled: 1-line block ×6, first 2 shown]
	v_fma_f32 v8, |v0|, v8, |v0|
	v_mul_f32_e32 v9, 0xbfb8aa3b, v8
	v_fma_f32 v15, v8, s36, -v9
	v_rndne_f32_e32 v16, v9
	v_fmac_f32_e32 v15, 0xb2a5705f, v8
	v_sub_f32_e32 v9, v9, v16
	v_add_f32_e32 v9, v9, v15
	v_cvt_i32_f32_e32 v15, v16
	v_exp_f32_e32 v9, v9
	v_cmp_nlt_f32_e32 vcc, s37, v8
	v_ldexp_f32 v9, v9, v15
	s_nop 0
	v_cndmask_b32_e32 v9, 0, v9, vcc
	v_cmp_ngt_f32_e32 vcc, s38, v8
	s_nop 1
	v_cndmask_b32_e32 v8, v12, v9, vcc
	v_sub_f32_e32 v15, 1.0, v8
.LBB485_11:                             ;   in Loop: Header=BB485_9 Depth=1
	s_or_saveexec_b64 s[14:15], s[14:15]
	v_pk_mul_f32 v[8:9], v[0:1], v[0:1]
	s_xor_b64 exec, exec, s[14:15]
	s_cbranch_execz .LBB485_8
; %bb.12:                               ;   in Loop: Header=BB485_9 Depth=1
	v_fmamk_f32 v15, v8, 0xba1345e1, v10
	v_fmaak_f32 v15, v8, v15, 0xbcdac9b8
	v_fmaak_f32 v15, v8, v15, 0x3de703be
	;; [unrolled: 1-line block ×4, first 2 shown]
	v_fma_f32 v15, |v0|, v8, |v0|
	s_branch .LBB485_8
.LBB485_13:
	s_endpgm
	.section	.rodata,"a",@progbits
	.p2align	6, 0x0
	.amdhsa_kernel _ZN5aiter23act_and_mul_bias_kernelIttlfTnPFfRKT2_EXadL_ZNS_11gelu_kernelIfEEfRKT_EELi2EEEvPT0_PS8_PKT1_PS2_il
		.amdhsa_group_segment_fixed_size 0
		.amdhsa_private_segment_fixed_size 0
		.amdhsa_kernarg_size 304
		.amdhsa_user_sgpr_count 2
		.amdhsa_user_sgpr_dispatch_ptr 0
		.amdhsa_user_sgpr_queue_ptr 0
		.amdhsa_user_sgpr_kernarg_segment_ptr 1
		.amdhsa_user_sgpr_dispatch_id 0
		.amdhsa_user_sgpr_kernarg_preload_length 0
		.amdhsa_user_sgpr_kernarg_preload_offset 0
		.amdhsa_user_sgpr_private_segment_size 0
		.amdhsa_uses_dynamic_stack 0
		.amdhsa_enable_private_segment 0
		.amdhsa_system_sgpr_workgroup_id_x 1
		.amdhsa_system_sgpr_workgroup_id_y 0
		.amdhsa_system_sgpr_workgroup_id_z 0
		.amdhsa_system_sgpr_workgroup_info 0
		.amdhsa_system_vgpr_workitem_id 0
		.amdhsa_next_free_vgpr 20
		.amdhsa_next_free_sgpr 44
		.amdhsa_accum_offset 20
		.amdhsa_reserve_vcc 1
		.amdhsa_float_round_mode_32 0
		.amdhsa_float_round_mode_16_64 0
		.amdhsa_float_denorm_mode_32 3
		.amdhsa_float_denorm_mode_16_64 3
		.amdhsa_dx10_clamp 1
		.amdhsa_ieee_mode 1
		.amdhsa_fp16_overflow 0
		.amdhsa_tg_split 0
		.amdhsa_exception_fp_ieee_invalid_op 0
		.amdhsa_exception_fp_denorm_src 0
		.amdhsa_exception_fp_ieee_div_zero 0
		.amdhsa_exception_fp_ieee_overflow 0
		.amdhsa_exception_fp_ieee_underflow 0
		.amdhsa_exception_fp_ieee_inexact 0
		.amdhsa_exception_int_div_zero 0
	.end_amdhsa_kernel
	.section	.text._ZN5aiter23act_and_mul_bias_kernelIttlfTnPFfRKT2_EXadL_ZNS_11gelu_kernelIfEEfRKT_EELi2EEEvPT0_PS8_PKT1_PS2_il,"axG",@progbits,_ZN5aiter23act_and_mul_bias_kernelIttlfTnPFfRKT2_EXadL_ZNS_11gelu_kernelIfEEfRKT_EELi2EEEvPT0_PS8_PKT1_PS2_il,comdat
.Lfunc_end485:
	.size	_ZN5aiter23act_and_mul_bias_kernelIttlfTnPFfRKT2_EXadL_ZNS_11gelu_kernelIfEEfRKT_EELi2EEEvPT0_PS8_PKT1_PS2_il, .Lfunc_end485-_ZN5aiter23act_and_mul_bias_kernelIttlfTnPFfRKT2_EXadL_ZNS_11gelu_kernelIfEEfRKT_EELi2EEEvPT0_PS8_PKT1_PS2_il
                                        ; -- End function
	.section	.AMDGPU.csdata,"",@progbits
; Kernel info:
; codeLenInByte = 1260
; NumSgprs: 50
; NumVgprs: 20
; NumAgprs: 0
; TotalNumVgprs: 20
; ScratchSize: 0
; MemoryBound: 0
; FloatMode: 240
; IeeeMode: 1
; LDSByteSize: 0 bytes/workgroup (compile time only)
; SGPRBlocks: 6
; VGPRBlocks: 2
; NumSGPRsForWavesPerEU: 50
; NumVGPRsForWavesPerEU: 20
; AccumOffset: 20
; Occupancy: 8
; WaveLimiterHint : 0
; COMPUTE_PGM_RSRC2:SCRATCH_EN: 0
; COMPUTE_PGM_RSRC2:USER_SGPR: 2
; COMPUTE_PGM_RSRC2:TRAP_HANDLER: 0
; COMPUTE_PGM_RSRC2:TGID_X_EN: 1
; COMPUTE_PGM_RSRC2:TGID_Y_EN: 0
; COMPUTE_PGM_RSRC2:TGID_Z_EN: 0
; COMPUTE_PGM_RSRC2:TIDIG_COMP_CNT: 0
; COMPUTE_PGM_RSRC3_GFX90A:ACCUM_OFFSET: 4
; COMPUTE_PGM_RSRC3_GFX90A:TG_SPLIT: 0
	.section	.text._ZN5aiter23act_and_mul_bias_kernelIttlfTnPFfRKT2_EXadL_ZNS_11gelu_kernelIfEEfRKT_EELi1EEEvPT0_PS8_PKT1_PS2_il,"axG",@progbits,_ZN5aiter23act_and_mul_bias_kernelIttlfTnPFfRKT2_EXadL_ZNS_11gelu_kernelIfEEfRKT_EELi1EEEvPT0_PS8_PKT1_PS2_il,comdat
	.protected	_ZN5aiter23act_and_mul_bias_kernelIttlfTnPFfRKT2_EXadL_ZNS_11gelu_kernelIfEEfRKT_EELi1EEEvPT0_PS8_PKT1_PS2_il ; -- Begin function _ZN5aiter23act_and_mul_bias_kernelIttlfTnPFfRKT2_EXadL_ZNS_11gelu_kernelIfEEfRKT_EELi1EEEvPT0_PS8_PKT1_PS2_il
	.globl	_ZN5aiter23act_and_mul_bias_kernelIttlfTnPFfRKT2_EXadL_ZNS_11gelu_kernelIfEEfRKT_EELi1EEEvPT0_PS8_PKT1_PS2_il
	.p2align	8
	.type	_ZN5aiter23act_and_mul_bias_kernelIttlfTnPFfRKT2_EXadL_ZNS_11gelu_kernelIfEEfRKT_EELi1EEEvPT0_PS8_PKT1_PS2_il,@function
_ZN5aiter23act_and_mul_bias_kernelIttlfTnPFfRKT2_EXadL_ZNS_11gelu_kernelIfEEfRKT_EELi1EEEvPT0_PS8_PKT1_PS2_il: ; @_ZN5aiter23act_and_mul_bias_kernelIttlfTnPFfRKT2_EXadL_ZNS_11gelu_kernelIfEEfRKT_EELi1EEEvPT0_PS8_PKT1_PS2_il
; %bb.0:
	s_load_dword s20, s[0:1], 0x20
	s_load_dwordx2 s[4:5], s[0:1], 0x0
	s_load_dwordx2 s[6:7], s[0:1], 0x10
	;; [unrolled: 1-line block ×3, first 2 shown]
	s_mov_b32 s3, 0
	s_waitcnt lgkmcnt(0)
	s_ashr_i32 s21, s20, 31
	s_lshl_b64 s[8:9], s[2:3], 3
	s_add_u32 s6, s6, s8
	s_addc_u32 s7, s7, s9
	s_add_i32 s3, s20, 1
	s_lshr_b32 s8, s3, 31
	s_add_i32 s3, s3, s8
	s_load_dwordx2 s[6:7], s[6:7], 0x0
	s_lshl_b32 s3, s3, 1
	s_and_b32 s10, s3, -4
	s_mul_hi_u32 s3, s20, s2
	s_mul_i32 s8, s21, s2
	s_add_i32 s9, s3, s8
	s_mul_i32 s8, s20, s2
	s_lshl_b64 s[8:9], s[8:9], 1
	s_add_u32 s8, s4, s8
	v_mov_b64_e32 v[2:3], s[14:15]
	s_addc_u32 s3, s5, s9
	s_waitcnt lgkmcnt(0)
	v_cmp_gt_i64_e64 s[4:5], s[6:7], -1
	v_cmp_lt_i64_e32 vcc, s[6:7], v[2:3]
	s_and_b64 s[4:5], s[4:5], vcc
	s_and_b32 s9, s3, 0xffff
	s_mov_b64 s[12:13], -1
	s_and_b64 vcc, exec, s[4:5]
	v_cmp_gt_i32_e64 s[4:5], s20, v0
	s_cbranch_vccnz .LBB486_5
; %bb.1:
	s_and_saveexec_b64 s[12:13], s[4:5]
	s_cbranch_execz .LBB486_4
; %bb.2:
	s_load_dword s3, s[0:1], 0x3c
	v_mov_b32_e32 v1, 0
	s_mov_b32 s5, 0
	v_lshlrev_b32_e32 v4, 1, v0
	s_mov_b64 s[14:15], 0
	s_waitcnt lgkmcnt(0)
	s_and_b32 s4, s3, 0xffff
	s_lshl_b32 s3, s4, 1
	s_mov_b32 s11, 0x20000
	v_mov_b64_e32 v[2:3], v[0:1]
.LBB486_3:                              ; =>This Inner Loop Header: Depth=1
	v_lshl_add_u64 v[2:3], v[2:3], 0, s[4:5]
	v_cmp_le_i64_e32 vcc, s[20:21], v[2:3]
	buffer_store_short v1, v4, s[8:11], 0 offen
	s_or_b64 s[14:15], vcc, s[14:15]
	v_add_u32_e32 v4, s3, v4
	s_andn2_b64 exec, exec, s[14:15]
	s_cbranch_execnz .LBB486_3
.LBB486_4:
	s_or_b64 exec, exec, s[12:13]
	s_mov_b64 s[12:13], 0
.LBB486_5:
	s_andn2_b64 vcc, exec, s[12:13]
	s_cbranch_vccnz .LBB486_13
; %bb.6:
	v_cmp_gt_i32_e32 vcc, s20, v0
	s_and_saveexec_b64 s[4:5], vcc
	s_cbranch_execz .LBB486_13
; %bb.7:
	s_mul_i32 s3, s20, s7
	s_mul_hi_u32 s4, s20, s6
	s_add_i32 s3, s4, s3
	s_load_dwordx2 s[12:13], s[0:1], 0x8
	s_load_dwordx2 s[4:5], s[0:1], 0x18
	s_mul_i32 s7, s21, s6
	s_add_i32 s7, s3, s7
	s_mul_i32 s6, s20, s6
	s_lshl_b64 s[6:7], s[6:7], 3
	s_waitcnt lgkmcnt(0)
	s_add_u32 s4, s4, s6
	s_load_dword s14, s[0:1], 0x3c
	s_addc_u32 s3, s5, s7
	s_lshl_b64 s[0:1], s[20:21], 2
	s_add_u32 s0, s4, s0
	s_addc_u32 s1, s3, s1
	s_and_b32 s5, s3, 0xffff
	s_mul_i32 s3, s2, s21
	s_mul_hi_u32 s15, s2, s20
	s_add_i32 s3, s15, s3
	s_mul_i32 s2, s2, s20
	s_lshl_b32 s6, s20, 2
	s_and_b32 s1, s1, 0xffff
	s_lshl_b64 s[2:3], s[2:3], 2
	s_add_u32 s12, s12, s2
	s_addc_u32 s13, s13, s3
	s_lshl_b64 s[2:3], s[20:21], 1
	s_add_u32 s16, s12, s2
	s_mov_b32 s11, 0x20000
	s_addc_u32 s2, s13, s3
	s_waitcnt lgkmcnt(0)
	s_and_b32 s22, s14, 0xffff
                                        ; implicit-def: $vgpr5
                                        ; implicit-def: $vgpr5
	;; [unrolled: 1-line block ×4, first 2 shown]
	s_mov_b32 s7, s11
	s_and_b32 s13, s13, 0xffff
	s_mov_b64 s[18:19], s[10:11]
	s_and_b32 s17, s2, 0xffff
	s_mov_b32 s23, 0
	v_mov_b32_e32 v1, 0
	v_lshlrev_b32_e32 v2, 2, v0
	s_lshl_b32 s26, s22, 2
	v_lshlrev_b32_e32 v3, 1, v0
	s_lshl_b32 s27, s22, 1
	s_mov_b64 s[24:25], 0
	s_mov_b32 s15, s11
	s_mov_b32 s14, s10
	;; [unrolled: 1-line block ×11, first 2 shown]
	v_mov_b32_e32 v4, 0x3ba10414
	s_brev_b32 s38, -2
	v_mov_b32_e32 v5, 0xb9c68948
	v_mov_b32_e32 v6, 0x7f800000
	s_branch .LBB486_9
.LBB486_8:                              ;   in Loop: Header=BB486_9 Depth=1
	s_or_b64 exec, exec, s[2:3]
	v_lshlrev_b32_e32 v7, 16, v7
	s_waitcnt vmcnt(0)
	v_add_f32_e32 v7, v7, v8
	v_mul_f32_e32 v8, 0.5, v9
	v_bfi_b32 v9, s38, v11, v10
	v_add_f32_e32 v9, 1.0, v9
	v_mul_f32_e32 v8, v8, v9
	v_mul_f32_e32 v7, v7, v8
	v_lshl_add_u64 v[0:1], v[0:1], 0, s[22:23]
	v_lshrrev_b32_e32 v7, 16, v7
	v_cmp_le_i64_e32 vcc, s[20:21], v[0:1]
	buffer_store_short v7, v3, s[8:11], 0 offen
	v_add_u32_e32 v2, s26, v2
	s_or_b64 s[24:25], vcc, s[24:25]
	v_add_u32_e32 v3, s27, v3
	s_andn2_b64 exec, exec, s[24:25]
	s_cbranch_execz .LBB486_13
.LBB486_9:                              ; =>This Inner Loop Header: Depth=1
	buffer_load_ushort v9, v3, s[12:15], 0 offen
	buffer_load_ushort v7, v3, s[16:19], 0 offen
	buffer_load_dword v10, v2, s[4:7], 0 offen
	s_mov_b32 s2, s6
	s_mov_b32 s3, s7
	buffer_load_dword v8, v2, s[0:3], 0 offen
                                        ; implicit-def: $vgpr11
	s_waitcnt vmcnt(3)
	v_lshlrev_b32_e32 v9, 16, v9
	s_waitcnt vmcnt(1)
	v_add_f32_e32 v9, v9, v10
	v_mul_f32_e32 v10, 0x3f3504f3, v9
	v_cmp_nlt_f32_e64 s[2:3], |v10|, 1.0
	s_and_saveexec_b64 s[40:41], s[2:3]
	s_xor_b64 s[2:3], exec, s[40:41]
	s_cbranch_execz .LBB486_11
; %bb.10:                               ;   in Loop: Header=BB486_9 Depth=1
	v_fma_f32 v11, |v10|, s28, v5
	v_fma_f32 v11, |v10|, v11, s29
	v_fma_f32 v11, |v10|, v11, s30
	v_fma_f32 v11, |v10|, v11, s31
	v_fma_f32 v11, |v10|, v11, s33
	v_fma_f32 v11, |v10|, v11, s34
	v_fma_f32 v11, |v10|, v11, |v10|
	v_mul_f32_e32 v12, 0xbfb8aa3b, v11
	v_fma_f32 v13, v11, s35, -v12
	v_rndne_f32_e32 v14, v12
	v_fmac_f32_e32 v13, 0xb2a5705f, v11
	v_sub_f32_e32 v12, v12, v14
	v_add_f32_e32 v12, v12, v13
	v_cvt_i32_f32_e32 v13, v14
	v_exp_f32_e32 v12, v12
	v_cmp_nlt_f32_e32 vcc, s36, v11
	v_ldexp_f32 v12, v12, v13
	s_nop 0
	v_cndmask_b32_e32 v12, 0, v12, vcc
	v_cmp_ngt_f32_e32 vcc, s37, v11
	s_nop 1
	v_cndmask_b32_e32 v11, v6, v12, vcc
	v_sub_f32_e32 v11, 1.0, v11
.LBB486_11:                             ;   in Loop: Header=BB486_9 Depth=1
	s_andn2_saveexec_b64 s[2:3], s[2:3]
	s_cbranch_execz .LBB486_8
; %bb.12:                               ;   in Loop: Header=BB486_9 Depth=1
	v_mul_f32_e32 v11, v10, v10
	v_fmamk_f32 v12, v11, 0xba1345e1, v4
	v_fmaak_f32 v12, v11, v12, 0xbcdac9b8
	v_fmaak_f32 v12, v11, v12, 0x3de703be
	;; [unrolled: 1-line block ×4, first 2 shown]
	v_fma_f32 v11, |v10|, v11, |v10|
	s_branch .LBB486_8
.LBB486_13:
	s_endpgm
	.section	.rodata,"a",@progbits
	.p2align	6, 0x0
	.amdhsa_kernel _ZN5aiter23act_and_mul_bias_kernelIttlfTnPFfRKT2_EXadL_ZNS_11gelu_kernelIfEEfRKT_EELi1EEEvPT0_PS8_PKT1_PS2_il
		.amdhsa_group_segment_fixed_size 0
		.amdhsa_private_segment_fixed_size 0
		.amdhsa_kernarg_size 304
		.amdhsa_user_sgpr_count 2
		.amdhsa_user_sgpr_dispatch_ptr 0
		.amdhsa_user_sgpr_queue_ptr 0
		.amdhsa_user_sgpr_kernarg_segment_ptr 1
		.amdhsa_user_sgpr_dispatch_id 0
		.amdhsa_user_sgpr_kernarg_preload_length 0
		.amdhsa_user_sgpr_kernarg_preload_offset 0
		.amdhsa_user_sgpr_private_segment_size 0
		.amdhsa_uses_dynamic_stack 0
		.amdhsa_enable_private_segment 0
		.amdhsa_system_sgpr_workgroup_id_x 1
		.amdhsa_system_sgpr_workgroup_id_y 0
		.amdhsa_system_sgpr_workgroup_id_z 0
		.amdhsa_system_sgpr_workgroup_info 0
		.amdhsa_system_vgpr_workitem_id 0
		.amdhsa_next_free_vgpr 15
		.amdhsa_next_free_sgpr 42
		.amdhsa_accum_offset 16
		.amdhsa_reserve_vcc 1
		.amdhsa_float_round_mode_32 0
		.amdhsa_float_round_mode_16_64 0
		.amdhsa_float_denorm_mode_32 3
		.amdhsa_float_denorm_mode_16_64 3
		.amdhsa_dx10_clamp 1
		.amdhsa_ieee_mode 1
		.amdhsa_fp16_overflow 0
		.amdhsa_tg_split 0
		.amdhsa_exception_fp_ieee_invalid_op 0
		.amdhsa_exception_fp_denorm_src 0
		.amdhsa_exception_fp_ieee_div_zero 0
		.amdhsa_exception_fp_ieee_overflow 0
		.amdhsa_exception_fp_ieee_underflow 0
		.amdhsa_exception_fp_ieee_inexact 0
		.amdhsa_exception_int_div_zero 0
	.end_amdhsa_kernel
	.section	.text._ZN5aiter23act_and_mul_bias_kernelIttlfTnPFfRKT2_EXadL_ZNS_11gelu_kernelIfEEfRKT_EELi1EEEvPT0_PS8_PKT1_PS2_il,"axG",@progbits,_ZN5aiter23act_and_mul_bias_kernelIttlfTnPFfRKT2_EXadL_ZNS_11gelu_kernelIfEEfRKT_EELi1EEEvPT0_PS8_PKT1_PS2_il,comdat
.Lfunc_end486:
	.size	_ZN5aiter23act_and_mul_bias_kernelIttlfTnPFfRKT2_EXadL_ZNS_11gelu_kernelIfEEfRKT_EELi1EEEvPT0_PS8_PKT1_PS2_il, .Lfunc_end486-_ZN5aiter23act_and_mul_bias_kernelIttlfTnPFfRKT2_EXadL_ZNS_11gelu_kernelIfEEfRKT_EELi1EEEvPT0_PS8_PKT1_PS2_il
                                        ; -- End function
	.section	.AMDGPU.csdata,"",@progbits
; Kernel info:
; codeLenInByte = 980
; NumSgprs: 48
; NumVgprs: 15
; NumAgprs: 0
; TotalNumVgprs: 15
; ScratchSize: 0
; MemoryBound: 0
; FloatMode: 240
; IeeeMode: 1
; LDSByteSize: 0 bytes/workgroup (compile time only)
; SGPRBlocks: 5
; VGPRBlocks: 1
; NumSGPRsForWavesPerEU: 48
; NumVGPRsForWavesPerEU: 15
; AccumOffset: 16
; Occupancy: 8
; WaveLimiterHint : 0
; COMPUTE_PGM_RSRC2:SCRATCH_EN: 0
; COMPUTE_PGM_RSRC2:USER_SGPR: 2
; COMPUTE_PGM_RSRC2:TRAP_HANDLER: 0
; COMPUTE_PGM_RSRC2:TGID_X_EN: 1
; COMPUTE_PGM_RSRC2:TGID_Y_EN: 0
; COMPUTE_PGM_RSRC2:TGID_Z_EN: 0
; COMPUTE_PGM_RSRC2:TIDIG_COMP_CNT: 0
; COMPUTE_PGM_RSRC3_GFX90A:ACCUM_OFFSET: 3
; COMPUTE_PGM_RSRC3_GFX90A:TG_SPLIT: 0
	.section	.text._ZN5aiter25scaled_act_and_mul_kernelIfDB8_TnPFfRKT_EXadL_ZNS_11silu_kernelIfEEfS4_EELi16EEEvPT0_PS3_if,"axG",@progbits,_ZN5aiter25scaled_act_and_mul_kernelIfDB8_TnPFfRKT_EXadL_ZNS_11silu_kernelIfEEfS4_EELi16EEEvPT0_PS3_if,comdat
	.protected	_ZN5aiter25scaled_act_and_mul_kernelIfDB8_TnPFfRKT_EXadL_ZNS_11silu_kernelIfEEfS4_EELi16EEEvPT0_PS3_if ; -- Begin function _ZN5aiter25scaled_act_and_mul_kernelIfDB8_TnPFfRKT_EXadL_ZNS_11silu_kernelIfEEfS4_EELi16EEEvPT0_PS3_if
	.globl	_ZN5aiter25scaled_act_and_mul_kernelIfDB8_TnPFfRKT_EXadL_ZNS_11silu_kernelIfEEfS4_EELi16EEEvPT0_PS3_if
	.p2align	8
	.type	_ZN5aiter25scaled_act_and_mul_kernelIfDB8_TnPFfRKT_EXadL_ZNS_11silu_kernelIfEEfS4_EELi16EEEvPT0_PS3_if,@function
_ZN5aiter25scaled_act_and_mul_kernelIfDB8_TnPFfRKT_EXadL_ZNS_11silu_kernelIfEEfS4_EELi16EEEvPT0_PS3_if: ; @_ZN5aiter25scaled_act_and_mul_kernelIfDB8_TnPFfRKT_EXadL_ZNS_11silu_kernelIfEEfS4_EELi16EEEvPT0_PS3_if
; %bb.0:
	s_load_dwordx2 s[4:5], s[0:1], 0x10
	v_lshlrev_b32_e32 v32, 4, v0
	s_waitcnt lgkmcnt(0)
	v_cmp_gt_i32_e32 vcc, s4, v32
	s_and_saveexec_b64 s[6:7], vcc
	s_cbranch_execz .LBB487_3
; %bb.1:
	s_load_dwordx4 s[8:11], s[0:1], 0x0
	s_ashr_i32 s31, s4, 31
	s_mul_hi_u32 s3, s4, s2
	s_mul_i32 s6, s31, s2
	s_add_i32 s3, s3, s6
	s_mul_i32 s2, s4, s2
	s_lshl_b64 s[6:7], s[2:3], 3
	s_mov_b32 s30, s4
	s_waitcnt lgkmcnt(0)
	s_add_u32 s36, s10, s6
	s_addc_u32 s10, s11, s7
	s_lshl_b64 s[6:7], s[30:31], 2
	s_add_u32 s40, s36, s6
	s_addc_u32 s6, s10, s7
	s_lshl_b32 s38, s4, 2
	s_and_b32 s37, s10, 0xffff
	s_and_b32 s41, s6, 0xffff
	s_add_u32 s44, s8, s2
	s_addc_u32 s2, s9, s3
	s_add_i32 s3, s4, 3
	s_ashr_i32 s4, s3, 31
	s_lshr_b32 s4, s4, 30
	s_add_i32 s3, s3, s4
	s_and_b32 s46, s3, -4
	s_and_b32 s45, s2, 0xffff
	s_mov_b32 s39, 0x20000
	s_mov_b32 s4, s5
	s_add_u32 s34, s0, 24
	s_mov_b32 s47, s39
	v_mov_b32_e32 v33, 0
	s_addc_u32 s35, s1, 0
	s_mov_b64 s[48:49], 0
	s_mov_b32 s51, 0
	s_mov_b32 s33, 0xbfb8aa3b
	;; [unrolled: 1-line block ×4, first 2 shown]
	v_mov_b32_e32 v36, 0x7f800000
	v_mov_b64_e32 v[34:35], s[4:5]
	s_mov_b32 s42, s38
	s_mov_b32 s43, s39
.LBB487_2:                              ; =>This Inner Loop Header: Depth=1
	v_lshlrev_b32_e32 v28, 2, v32
	buffer_load_dwordx4 v[4:7], v28, s[36:39], 0 offen sc0 nt
	buffer_load_dwordx4 v[12:15], v28, s[36:39], 16 offen sc0 nt
	;; [unrolled: 1-line block ×5, first 2 shown]
	s_waitcnt vmcnt(4)
	v_mul_f32_e32 v20, 0xbfb8aa3b, v4
	v_mul_f32_e32 v21, 0xbfb8aa3b, v5
	;; [unrolled: 1-line block ×4, first 2 shown]
	v_fma_f32 v42, v4, s33, -v20
	v_rndne_f32_e32 v43, v20
	v_fma_f32 v44, v5, s33, -v21
	v_rndne_f32_e32 v45, v21
	s_waitcnt vmcnt(3)
	v_mul_f32_e32 v24, 0xbfb8aa3b, v12
	s_waitcnt vmcnt(2)
	v_mul_f32_e32 v30, 0xbfb8aa3b, v17
	v_fma_f32 v46, v6, s33, -v22
	v_rndne_f32_e32 v47, v22
	v_fma_f32 v48, v7, s33, -v23
	v_rndne_f32_e32 v49, v23
	v_fmac_f32_e32 v42, 0xb2a5705f, v4
	v_sub_f32_e32 v20, v20, v43
	v_fmac_f32_e32 v44, 0xb2a5705f, v5
	v_sub_f32_e32 v21, v21, v45
	v_mul_f32_e32 v25, 0xbfb8aa3b, v13
	v_mul_f32_e32 v26, 0xbfb8aa3b, v14
	;; [unrolled: 1-line block ×4, first 2 shown]
	v_fma_f32 v50, v12, s33, -v24
	v_rndne_f32_e32 v51, v24
	v_add_f32_e32 v20, v20, v42
	v_fma_f32 v42, v17, s33, -v30
	v_add_f32_e32 v21, v21, v44
	v_rndne_f32_e32 v44, v30
	v_fmac_f32_e32 v46, 0xb2a5705f, v6
	v_sub_f32_e32 v22, v22, v47
	v_fmac_f32_e32 v48, 0xb2a5705f, v7
	v_sub_f32_e32 v23, v23, v49
	v_mul_f32_e32 v37, 0xbfb8aa3b, v19
	v_fma_f32 v52, v13, s33, -v25
	v_rndne_f32_e32 v53, v25
	v_fma_f32 v54, v14, s33, -v26
	v_rndne_f32_e32 v55, v26
	;; [unrolled: 2-line block ×3, first 2 shown]
	v_add_f32_e32 v46, v22, v46
	v_fma_f32 v22, v18, s33, -v31
	v_add_f32_e32 v48, v23, v48
	v_rndne_f32_e32 v60, v31
	v_fmac_f32_e32 v50, 0xb2a5705f, v12
	v_sub_f32_e32 v23, v24, v51
	v_fmac_f32_e32 v42, 0xb2a5705f, v17
	v_sub_f32_e32 v30, v30, v44
	v_mul_f32_e32 v29, 0xbfb8aa3b, v16
	s_waitcnt vmcnt(1)
	v_mul_f32_e32 v38, 0xbfb8aa3b, v0
	v_add_f32_e32 v24, v23, v50
	v_fma_f32 v23, v19, s33, -v37
	v_fmac_f32_e32 v52, 0xb2a5705f, v13
	v_sub_f32_e32 v25, v25, v53
	v_rndne_f32_e32 v50, v37
	v_fmac_f32_e32 v54, 0xb2a5705f, v14
	v_sub_f32_e32 v26, v26, v55
	v_fmac_f32_e32 v56, 0xb2a5705f, v15
	v_sub_f32_e32 v27, v27, v57
	v_add_f32_e32 v42, v30, v42
	v_fmac_f32_e32 v22, 0xb2a5705f, v18
	v_sub_f32_e32 v30, v31, v60
	v_fma_f32 v58, v16, s33, -v29
	v_rndne_f32_e32 v59, v29
	v_add_f32_e32 v25, v25, v52
	v_add_f32_e32 v52, v26, v54
	v_fma_f32 v26, v0, s33, -v38
	v_add_f32_e32 v54, v27, v56
	v_rndne_f32_e32 v56, v38
	v_add_f32_e32 v61, v30, v22
	v_fmac_f32_e32 v23, 0xb2a5705f, v19
	v_sub_f32_e32 v30, v37, v50
	v_mul_f32_e32 v39, 0xbfb8aa3b, v1
	v_mul_f32_e32 v40, 0xbfb8aa3b, v2
	v_mul_f32_e32 v41, 0xbfb8aa3b, v3
	v_fmac_f32_e32 v58, 0xb2a5705f, v16
	v_sub_f32_e32 v27, v29, v59
	v_add_f32_e32 v37, v30, v23
	v_fmac_f32_e32 v26, 0xb2a5705f, v0
	v_sub_f32_e32 v23, v38, v56
	v_add_f32_e32 v29, v27, v58
	v_fma_f32 v27, v1, s33, -v39
	v_rndne_f32_e32 v58, v39
	v_fma_f32 v22, v2, s33, -v40
	v_rndne_f32_e32 v62, v40
	v_add_f32_e32 v38, v23, v26
	v_fma_f32 v23, v3, s33, -v41
	v_rndne_f32_e32 v63, v41
	v_fmac_f32_e32 v27, 0xb2a5705f, v1
	v_sub_f32_e32 v26, v39, v58
	v_fmac_f32_e32 v22, 0xb2a5705f, v2
	v_sub_f32_e32 v30, v40, v62
	;; [unrolled: 2-line block ×3, first 2 shown]
	v_add_f32_e32 v39, v26, v27
	v_cvt_i32_f32_e32 v26, v43
	v_cvt_i32_f32_e32 v27, v45
	v_add_f32_e32 v40, v30, v22
	v_add_f32_e32 v41, v31, v23
	v_exp_f32_e32 v20, v20
	v_exp_f32_e32 v21, v21
	v_cvt_i32_f32_e32 v30, v51
	v_cvt_i32_f32_e32 v31, v53
	v_exp_f32_e32 v24, v24
	v_exp_f32_e32 v25, v25
	v_ldexp_f32 v43, v20, v26
	v_ldexp_f32 v45, v21, v27
	v_cvt_i32_f32_e32 v26, v47
	v_cvt_i32_f32_e32 v27, v49
	v_exp_f32_e32 v46, v46
	v_exp_f32_e32 v47, v48
	v_ldexp_f32 v48, v24, v30
	v_ldexp_f32 v49, v25, v31
	v_cvt_i32_f32_e32 v30, v55
	v_cvt_i32_f32_e32 v31, v57
	;; [unrolled: 1-line block ×3, first 2 shown]
	v_exp_f32_e32 v52, v52
	v_exp_f32_e32 v53, v54
	;; [unrolled: 1-line block ×3, first 2 shown]
	v_cvt_i32_f32_e32 v44, v44
	v_cvt_i32_f32_e32 v55, v56
	;; [unrolled: 1-line block ×5, first 2 shown]
	v_exp_f32_e32 v42, v42
	v_exp_f32_e32 v38, v38
	;; [unrolled: 1-line block ×5, first 2 shown]
	v_cvt_i32_f32_e32 v54, v60
	v_cvt_i32_f32_e32 v50, v50
	v_exp_f32_e32 v59, v61
	v_exp_f32_e32 v37, v37
	v_ldexp_f32 v46, v46, v26
	v_ldexp_f32 v47, v47, v27
	;; [unrolled: 1-line block ×5, first 2 shown]
	v_cmp_nlt_f32_e32 vcc, s52, v5
	v_cmp_nlt_f32_e64 s[0:1], s52, v6
	v_cmp_nlt_f32_e64 s[2:3], s52, v7
	;; [unrolled: 1-line block ×7, first 2 shown]
	v_ldexp_f32 v42, v42, v44
	v_cmp_nlt_f32_e64 s[14:15], s52, v17
	v_ldexp_f32 v38, v38, v55
	v_cmp_nlt_f32_e64 s[20:21], s52, v0
	;; [unrolled: 2-line block ×5, first 2 shown]
	v_cmp_nlt_f32_e64 s[28:29], s52, v4
	v_ldexp_f32 v44, v59, v54
	v_cmp_nlt_f32_e64 s[16:17], s52, v18
	v_ldexp_f32 v37, v37, v50
	v_cmp_nlt_f32_e64 s[18:19], s52, v19
	v_cndmask_b32_e64 v43, 0, v43, s[28:29]
	v_cndmask_b32_e32 v45, 0, v45, vcc
	v_cmp_ngt_f32_e32 vcc, s53, v5
	v_cndmask_b32_e64 v46, 0, v46, s[0:1]
	v_cmp_ngt_f32_e64 s[0:1], s53, v6
	v_cndmask_b32_e64 v47, 0, v47, s[2:3]
	v_cmp_ngt_f32_e64 s[2:3], s53, v7
	;; [unrolled: 2-line block ×12, first 2 shown]
	v_cmp_ngt_f32_e64 s[28:29], s53, v4
	v_cndmask_b32_e64 v44, 0, v44, s[16:17]
	v_cmp_ngt_f32_e64 s[16:17], s53, v18
	v_cndmask_b32_e64 v37, 0, v37, s[18:19]
	;; [unrolled: 2-line block ×3, first 2 shown]
	v_cndmask_b32_e32 v45, v36, v45, vcc
	v_cndmask_b32_e64 v46, v36, v46, s[0:1]
	v_cndmask_b32_e64 v47, v36, v47, s[2:3]
	;; [unrolled: 1-line block ×14, first 2 shown]
	v_add_f32_e32 v43, 1.0, v43
	v_add_f32_e32 v45, 1.0, v45
	v_add_f32_e32 v46, 1.0, v46
	v_add_f32_e32 v47, 1.0, v47
	v_add_f32_e32 v48, 1.0, v48
	v_add_f32_e32 v49, 1.0, v49
	v_add_f32_e32 v50, 1.0, v50
	v_add_f32_e32 v52, 1.0, v52
	v_add_f32_e32 v51, 1.0, v51
	v_add_f32_e32 v53, 1.0, v42
	v_add_f32_e32 v55, 1.0, v38
	v_add_f32_e32 v56, 1.0, v39
	v_add_f32_e32 v57, 1.0, v40
	v_add_f32_e32 v58, 1.0, v41
	v_add_f32_e32 v54, 1.0, v44
	v_add_f32_e32 v37, 1.0, v37
	v_rcp_f32_e32 v38, v43
	v_rcp_f32_e32 v39, v45
	;; [unrolled: 1-line block ×16, first 2 shown]
	v_pk_mul_f32 v[4:5], v[4:5], v[38:39]
	v_pk_mul_f32 v[6:7], v[6:7], v[40:41]
	;; [unrolled: 1-line block ×6, first 2 shown]
	buffer_load_dwordx4 v[20:23], v28, s[40:43], 16 offen sc0 nt
	buffer_load_dwordx4 v[24:27], v28, s[40:43], 32 offen sc0 nt
	v_pk_mul_f32 v[16:17], v[16:17], v[46:47]
	buffer_load_dwordx4 v[28:31], v28, s[40:43], 48 offen sc0 nt
	v_pk_mul_f32 v[18:19], v[18:19], v[48:49]
	s_waitcnt vmcnt(3)
	;;#ASMSTART
	v_pk_mul_f32 v[4:5], v[4:5], v[8:9]
	v_pk_mul_f32 v[4:5], v[4:5], v[34:35]
	;;#ASMEND
	;;#ASMSTART
	v_pk_mul_f32 v[6:7], v[6:7], v[10:11]
	v_pk_mul_f32 v[6:7], v[6:7], v[34:35]
	;;#ASMEND
	s_waitcnt vmcnt(2)
	;;#ASMSTART
	v_pk_mul_f32 v[8:9], v[12:13], v[20:21]
	v_pk_mul_f32 v[8:9], v[8:9], v[34:35]
	;;#ASMEND
	;;#ASMSTART
	v_pk_mul_f32 v[10:11], v[14:15], v[22:23]
	v_pk_mul_f32 v[10:11], v[10:11], v[34:35]
	;;#ASMEND
	;; [unrolled: 9-line block ×4, first 2 shown]
	s_load_dword s0, s[34:35], 0xc
	v_cvt_pk_fp8_f32 v5, v5, 0
	v_cvt_pk_fp8_f32 v7, v7, 0
	;; [unrolled: 1-line block ×16, first 2 shown]
	v_lshlrev_b16_e32 v5, 8, v5
	v_lshlrev_b16_e32 v7, 8, v7
	;; [unrolled: 1-line block ×8, first 2 shown]
	s_waitcnt lgkmcnt(0)
	s_and_b32 s0, s0, 0xffff
	v_or_b32_sdwa v4, v4, v5 dst_sel:DWORD dst_unused:UNUSED_PAD src0_sel:BYTE_0 src1_sel:DWORD
	v_or_b32_sdwa v5, v6, v7 dst_sel:WORD_1 dst_unused:UNUSED_PAD src0_sel:BYTE_0 src1_sel:DWORD
	v_or_b32_sdwa v6, v8, v9 dst_sel:DWORD dst_unused:UNUSED_PAD src0_sel:BYTE_0 src1_sel:DWORD
	v_or_b32_sdwa v7, v10, v11 dst_sel:WORD_1 dst_unused:UNUSED_PAD src0_sel:BYTE_0 src1_sel:DWORD
	;; [unrolled: 2-line block ×4, first 2 shown]
	s_lshl_b32 s50, s0, 4
	v_or_b32_sdwa v0, v4, v5 dst_sel:DWORD dst_unused:UNUSED_PAD src0_sel:WORD_0 src1_sel:DWORD
	v_or_b32_sdwa v1, v6, v7 dst_sel:DWORD dst_unused:UNUSED_PAD src0_sel:WORD_0 src1_sel:DWORD
	v_or_b32_sdwa v2, v8, v9 dst_sel:DWORD dst_unused:UNUSED_PAD src0_sel:WORD_0 src1_sel:DWORD
	v_or_b32_sdwa v3, v10, v3 dst_sel:DWORD dst_unused:UNUSED_PAD src0_sel:WORD_0 src1_sel:DWORD
	buffer_store_dwordx4 v[0:3], v32, s[44:47], 0 offen
	v_lshl_add_u64 v[32:33], s[50:51], 0, v[32:33]
	v_cmp_le_i64_e32 vcc, s[30:31], v[32:33]
	s_or_b64 s[48:49], vcc, s[48:49]
	s_andn2_b64 exec, exec, s[48:49]
	s_cbranch_execnz .LBB487_2
.LBB487_3:
	s_endpgm
	.section	.rodata,"a",@progbits
	.p2align	6, 0x0
	.amdhsa_kernel _ZN5aiter25scaled_act_and_mul_kernelIfDB8_TnPFfRKT_EXadL_ZNS_11silu_kernelIfEEfS4_EELi16EEEvPT0_PS3_if
		.amdhsa_group_segment_fixed_size 0
		.amdhsa_private_segment_fixed_size 0
		.amdhsa_kernarg_size 280
		.amdhsa_user_sgpr_count 2
		.amdhsa_user_sgpr_dispatch_ptr 0
		.amdhsa_user_sgpr_queue_ptr 0
		.amdhsa_user_sgpr_kernarg_segment_ptr 1
		.amdhsa_user_sgpr_dispatch_id 0
		.amdhsa_user_sgpr_kernarg_preload_length 0
		.amdhsa_user_sgpr_kernarg_preload_offset 0
		.amdhsa_user_sgpr_private_segment_size 0
		.amdhsa_uses_dynamic_stack 0
		.amdhsa_enable_private_segment 0
		.amdhsa_system_sgpr_workgroup_id_x 1
		.amdhsa_system_sgpr_workgroup_id_y 0
		.amdhsa_system_sgpr_workgroup_id_z 0
		.amdhsa_system_sgpr_workgroup_info 0
		.amdhsa_system_vgpr_workitem_id 0
		.amdhsa_next_free_vgpr 64
		.amdhsa_next_free_sgpr 54
		.amdhsa_accum_offset 64
		.amdhsa_reserve_vcc 1
		.amdhsa_float_round_mode_32 0
		.amdhsa_float_round_mode_16_64 0
		.amdhsa_float_denorm_mode_32 3
		.amdhsa_float_denorm_mode_16_64 3
		.amdhsa_dx10_clamp 1
		.amdhsa_ieee_mode 1
		.amdhsa_fp16_overflow 0
		.amdhsa_tg_split 0
		.amdhsa_exception_fp_ieee_invalid_op 0
		.amdhsa_exception_fp_denorm_src 0
		.amdhsa_exception_fp_ieee_div_zero 0
		.amdhsa_exception_fp_ieee_overflow 0
		.amdhsa_exception_fp_ieee_underflow 0
		.amdhsa_exception_fp_ieee_inexact 0
		.amdhsa_exception_int_div_zero 0
	.end_amdhsa_kernel
	.section	.text._ZN5aiter25scaled_act_and_mul_kernelIfDB8_TnPFfRKT_EXadL_ZNS_11silu_kernelIfEEfS4_EELi16EEEvPT0_PS3_if,"axG",@progbits,_ZN5aiter25scaled_act_and_mul_kernelIfDB8_TnPFfRKT_EXadL_ZNS_11silu_kernelIfEEfS4_EELi16EEEvPT0_PS3_if,comdat
.Lfunc_end487:
	.size	_ZN5aiter25scaled_act_and_mul_kernelIfDB8_TnPFfRKT_EXadL_ZNS_11silu_kernelIfEEfS4_EELi16EEEvPT0_PS3_if, .Lfunc_end487-_ZN5aiter25scaled_act_and_mul_kernelIfDB8_TnPFfRKT_EXadL_ZNS_11silu_kernelIfEEfS4_EELi16EEEvPT0_PS3_if
                                        ; -- End function
	.section	.AMDGPU.csdata,"",@progbits
; Kernel info:
; codeLenInByte = 2288
; NumSgprs: 60
; NumVgprs: 64
; NumAgprs: 0
; TotalNumVgprs: 64
; ScratchSize: 0
; MemoryBound: 0
; FloatMode: 240
; IeeeMode: 1
; LDSByteSize: 0 bytes/workgroup (compile time only)
; SGPRBlocks: 7
; VGPRBlocks: 7
; NumSGPRsForWavesPerEU: 60
; NumVGPRsForWavesPerEU: 64
; AccumOffset: 64
; Occupancy: 8
; WaveLimiterHint : 0
; COMPUTE_PGM_RSRC2:SCRATCH_EN: 0
; COMPUTE_PGM_RSRC2:USER_SGPR: 2
; COMPUTE_PGM_RSRC2:TRAP_HANDLER: 0
; COMPUTE_PGM_RSRC2:TGID_X_EN: 1
; COMPUTE_PGM_RSRC2:TGID_Y_EN: 0
; COMPUTE_PGM_RSRC2:TGID_Z_EN: 0
; COMPUTE_PGM_RSRC2:TIDIG_COMP_CNT: 0
; COMPUTE_PGM_RSRC3_GFX90A:ACCUM_OFFSET: 15
; COMPUTE_PGM_RSRC3_GFX90A:TG_SPLIT: 0
	.section	.text._ZN5aiter25scaled_act_and_mul_kernelIfDB8_TnPFfRKT_EXadL_ZNS_11silu_kernelIfEEfS4_EELi8EEEvPT0_PS3_if,"axG",@progbits,_ZN5aiter25scaled_act_and_mul_kernelIfDB8_TnPFfRKT_EXadL_ZNS_11silu_kernelIfEEfS4_EELi8EEEvPT0_PS3_if,comdat
	.protected	_ZN5aiter25scaled_act_and_mul_kernelIfDB8_TnPFfRKT_EXadL_ZNS_11silu_kernelIfEEfS4_EELi8EEEvPT0_PS3_if ; -- Begin function _ZN5aiter25scaled_act_and_mul_kernelIfDB8_TnPFfRKT_EXadL_ZNS_11silu_kernelIfEEfS4_EELi8EEEvPT0_PS3_if
	.globl	_ZN5aiter25scaled_act_and_mul_kernelIfDB8_TnPFfRKT_EXadL_ZNS_11silu_kernelIfEEfS4_EELi8EEEvPT0_PS3_if
	.p2align	8
	.type	_ZN5aiter25scaled_act_and_mul_kernelIfDB8_TnPFfRKT_EXadL_ZNS_11silu_kernelIfEEfS4_EELi8EEEvPT0_PS3_if,@function
_ZN5aiter25scaled_act_and_mul_kernelIfDB8_TnPFfRKT_EXadL_ZNS_11silu_kernelIfEEfS4_EELi8EEEvPT0_PS3_if: ; @_ZN5aiter25scaled_act_and_mul_kernelIfDB8_TnPFfRKT_EXadL_ZNS_11silu_kernelIfEEfS4_EELi8EEEvPT0_PS3_if
; %bb.0:
	s_load_dwordx2 s[4:5], s[0:1], 0x10
	v_lshlrev_b32_e32 v16, 3, v0
	s_waitcnt lgkmcnt(0)
	v_cmp_gt_i32_e32 vcc, s4, v16
	s_and_saveexec_b64 s[6:7], vcc
	s_cbranch_execz .LBB488_3
; %bb.1:
	s_load_dwordx4 s[8:11], s[0:1], 0x0
	s_ashr_i32 s15, s4, 31
	s_mul_hi_u32 s3, s4, s2
	s_mul_i32 s6, s15, s2
	s_add_i32 s3, s3, s6
	s_mul_i32 s2, s4, s2
	s_lshl_b64 s[6:7], s[2:3], 3
	s_mov_b32 s14, s4
	s_waitcnt lgkmcnt(0)
	s_add_u32 s16, s10, s6
	s_addc_u32 s10, s11, s7
	s_lshl_b64 s[6:7], s[14:15], 2
	s_add_u32 s20, s16, s6
	s_addc_u32 s6, s10, s7
	s_lshl_b32 s18, s4, 2
	s_and_b32 s17, s10, 0xffff
	s_and_b32 s21, s6, 0xffff
	s_add_u32 s24, s8, s2
	s_addc_u32 s2, s9, s3
	s_add_i32 s3, s4, 3
	s_ashr_i32 s4, s3, 31
	s_lshr_b32 s4, s4, 30
	s_add_i32 s3, s3, s4
	s_and_b32 s26, s3, -4
	s_and_b32 s25, s2, 0xffff
	s_mov_b32 s19, 0x20000
	s_mov_b32 s4, s5
	s_add_u32 s28, s0, 24
	s_mov_b32 s27, s19
	v_mov_b32_e32 v17, 0
	s_addc_u32 s29, s1, 0
	s_mov_b64 s[30:31], 0
	s_mov_b32 s35, 0
	s_mov_b32 s33, 0xbfb8aa3b
	;; [unrolled: 1-line block ×4, first 2 shown]
	v_mov_b32_e32 v20, 0x7f800000
	v_mov_b64_e32 v[18:19], s[4:5]
	s_mov_b32 s22, s18
	s_mov_b32 s23, s19
.LBB488_2:                              ; =>This Inner Loop Header: Depth=1
	v_lshlrev_b32_e32 v21, 2, v16
	buffer_load_dwordx4 v[12:15], v21, s[16:19], 0 offen sc0 nt
	buffer_load_dwordx4 v[4:7], v21, s[16:19], 16 offen sc0 nt
	;; [unrolled: 1-line block ×4, first 2 shown]
	s_waitcnt vmcnt(3)
	v_mul_f32_e32 v21, 0xbfb8aa3b, v12
	v_mul_f32_e32 v22, 0xbfb8aa3b, v13
	;; [unrolled: 1-line block ×4, first 2 shown]
	s_waitcnt vmcnt(2)
	v_mul_f32_e32 v25, 0xbfb8aa3b, v4
	v_mul_f32_e32 v26, 0xbfb8aa3b, v5
	;; [unrolled: 1-line block ×4, first 2 shown]
	v_fma_f32 v29, v12, s33, -v21
	v_rndne_f32_e32 v30, v21
	v_fma_f32 v31, v13, s33, -v22
	v_rndne_f32_e32 v32, v22
	;; [unrolled: 2-line block ×8, first 2 shown]
	v_fmac_f32_e32 v29, 0xb2a5705f, v12
	v_sub_f32_e32 v21, v21, v30
	v_fmac_f32_e32 v31, 0xb2a5705f, v13
	v_sub_f32_e32 v22, v22, v32
	v_fmac_f32_e32 v33, 0xb2a5705f, v14
	v_sub_f32_e32 v23, v23, v34
	v_fmac_f32_e32 v35, 0xb2a5705f, v15
	v_sub_f32_e32 v24, v24, v36
	v_fmac_f32_e32 v37, 0xb2a5705f, v4
	v_sub_f32_e32 v25, v25, v38
	v_fmac_f32_e32 v39, 0xb2a5705f, v5
	v_sub_f32_e32 v26, v26, v40
	v_fmac_f32_e32 v41, 0xb2a5705f, v6
	v_sub_f32_e32 v27, v27, v42
	v_fmac_f32_e32 v43, 0xb2a5705f, v7
	v_sub_f32_e32 v28, v28, v44
	v_add_f32_e32 v21, v21, v29
	v_add_f32_e32 v22, v22, v31
	;; [unrolled: 1-line block ×8, first 2 shown]
	v_cvt_i32_f32_e32 v30, v30
	v_cvt_i32_f32_e32 v32, v32
	;; [unrolled: 1-line block ×8, first 2 shown]
	v_exp_f32_e32 v21, v21
	v_exp_f32_e32 v22, v22
	v_exp_f32_e32 v23, v23
	v_exp_f32_e32 v24, v24
	v_exp_f32_e32 v25, v25
	v_exp_f32_e32 v26, v26
	v_exp_f32_e32 v27, v27
	v_exp_f32_e32 v28, v28
	v_ldexp_f32 v21, v21, v30
	v_ldexp_f32 v22, v22, v32
	v_cmp_nlt_f32_e32 vcc, s36, v13
	v_ldexp_f32 v23, v23, v34
	v_cmp_nlt_f32_e64 s[0:1], s36, v14
	v_ldexp_f32 v24, v24, v36
	v_cmp_nlt_f32_e64 s[2:3], s36, v15
	;; [unrolled: 2-line block ×6, first 2 shown]
	v_cmp_nlt_f32_e64 s[12:13], s36, v12
	v_cndmask_b32_e32 v22, 0, v22, vcc
	v_cmp_ngt_f32_e32 vcc, s37, v13
	v_cndmask_b32_e64 v21, 0, v21, s[12:13]
	v_cndmask_b32_e64 v23, 0, v23, s[0:1]
	v_cmp_ngt_f32_e64 s[0:1], s37, v14
	v_cndmask_b32_e64 v24, 0, v24, s[2:3]
	v_cmp_ngt_f32_e64 s[2:3], s37, v15
	;; [unrolled: 2-line block ×6, first 2 shown]
	v_cmp_ngt_f32_e64 s[12:13], s37, v12
	v_cndmask_b32_e32 v22, v20, v22, vcc
	v_cndmask_b32_e64 v23, v20, v23, s[0:1]
	v_cndmask_b32_e64 v21, v20, v21, s[12:13]
	;; [unrolled: 1-line block ×7, first 2 shown]
	v_add_f32_e32 v21, 1.0, v21
	v_add_f32_e32 v29, 1.0, v22
	v_add_f32_e32 v30, 1.0, v23
	v_add_f32_e32 v31, 1.0, v24
	v_add_f32_e32 v32, 1.0, v25
	v_add_f32_e32 v33, 1.0, v26
	v_add_f32_e32 v34, 1.0, v27
	v_add_f32_e32 v35, 1.0, v28
	v_rcp_f32_e32 v22, v21
	v_rcp_f32_e32 v23, v29
	;; [unrolled: 1-line block ×8, first 2 shown]
	v_pk_mul_f32 v[12:13], v[12:13], v[22:23]
	v_pk_mul_f32 v[14:15], v[14:15], v[24:25]
	;; [unrolled: 1-line block ×4, first 2 shown]
	s_waitcnt vmcnt(1)
	;;#ASMSTART
	v_pk_mul_f32 v[8:9], v[12:13], v[8:9]
	v_pk_mul_f32 v[8:9], v[8:9], v[18:19]
	;;#ASMEND
	;;#ASMSTART
	v_pk_mul_f32 v[10:11], v[14:15], v[10:11]
	v_pk_mul_f32 v[10:11], v[10:11], v[18:19]
	;;#ASMEND
	s_waitcnt vmcnt(0)
	;;#ASMSTART
	v_pk_mul_f32 v[0:1], v[4:5], v[0:1]
	v_pk_mul_f32 v[0:1], v[0:1], v[18:19]
	;;#ASMEND
	;;#ASMSTART
	v_pk_mul_f32 v[2:3], v[6:7], v[2:3]
	v_pk_mul_f32 v[2:3], v[2:3], v[18:19]
	;;#ASMEND
	s_load_dword s0, s[28:29], 0xc
	v_cvt_pk_fp8_f32 v5, v9, 0
	v_cvt_pk_fp8_f32 v7, v11, 0
	;; [unrolled: 1-line block ×8, first 2 shown]
	v_lshlrev_b16_e32 v5, 8, v5
	v_lshlrev_b16_e32 v7, 8, v7
	;; [unrolled: 1-line block ×4, first 2 shown]
	s_waitcnt lgkmcnt(0)
	s_and_b32 s0, s0, 0xffff
	v_or_b32_sdwa v4, v4, v5 dst_sel:DWORD dst_unused:UNUSED_PAD src0_sel:BYTE_0 src1_sel:DWORD
	v_or_b32_sdwa v5, v6, v7 dst_sel:WORD_1 dst_unused:UNUSED_PAD src0_sel:BYTE_0 src1_sel:DWORD
	v_or_b32_sdwa v1, v0, v1 dst_sel:DWORD dst_unused:UNUSED_PAD src0_sel:BYTE_0 src1_sel:DWORD
	v_or_b32_sdwa v2, v2, v3 dst_sel:WORD_1 dst_unused:UNUSED_PAD src0_sel:BYTE_0 src1_sel:DWORD
	s_lshl_b32 s34, s0, 3
	v_or_b32_sdwa v0, v4, v5 dst_sel:DWORD dst_unused:UNUSED_PAD src0_sel:WORD_0 src1_sel:DWORD
	v_or_b32_sdwa v1, v1, v2 dst_sel:DWORD dst_unused:UNUSED_PAD src0_sel:WORD_0 src1_sel:DWORD
	buffer_store_dwordx2 v[0:1], v16, s[24:27], 0 offen
	v_lshl_add_u64 v[16:17], s[34:35], 0, v[16:17]
	v_cmp_le_i64_e32 vcc, s[14:15], v[16:17]
	s_or_b64 s[30:31], vcc, s[30:31]
	s_andn2_b64 exec, exec, s[30:31]
	s_cbranch_execnz .LBB488_2
.LBB488_3:
	s_endpgm
	.section	.rodata,"a",@progbits
	.p2align	6, 0x0
	.amdhsa_kernel _ZN5aiter25scaled_act_and_mul_kernelIfDB8_TnPFfRKT_EXadL_ZNS_11silu_kernelIfEEfS4_EELi8EEEvPT0_PS3_if
		.amdhsa_group_segment_fixed_size 0
		.amdhsa_private_segment_fixed_size 0
		.amdhsa_kernarg_size 280
		.amdhsa_user_sgpr_count 2
		.amdhsa_user_sgpr_dispatch_ptr 0
		.amdhsa_user_sgpr_queue_ptr 0
		.amdhsa_user_sgpr_kernarg_segment_ptr 1
		.amdhsa_user_sgpr_dispatch_id 0
		.amdhsa_user_sgpr_kernarg_preload_length 0
		.amdhsa_user_sgpr_kernarg_preload_offset 0
		.amdhsa_user_sgpr_private_segment_size 0
		.amdhsa_uses_dynamic_stack 0
		.amdhsa_enable_private_segment 0
		.amdhsa_system_sgpr_workgroup_id_x 1
		.amdhsa_system_sgpr_workgroup_id_y 0
		.amdhsa_system_sgpr_workgroup_id_z 0
		.amdhsa_system_sgpr_workgroup_info 0
		.amdhsa_system_vgpr_workitem_id 0
		.amdhsa_next_free_vgpr 45
		.amdhsa_next_free_sgpr 38
		.amdhsa_accum_offset 48
		.amdhsa_reserve_vcc 1
		.amdhsa_float_round_mode_32 0
		.amdhsa_float_round_mode_16_64 0
		.amdhsa_float_denorm_mode_32 3
		.amdhsa_float_denorm_mode_16_64 3
		.amdhsa_dx10_clamp 1
		.amdhsa_ieee_mode 1
		.amdhsa_fp16_overflow 0
		.amdhsa_tg_split 0
		.amdhsa_exception_fp_ieee_invalid_op 0
		.amdhsa_exception_fp_denorm_src 0
		.amdhsa_exception_fp_ieee_div_zero 0
		.amdhsa_exception_fp_ieee_overflow 0
		.amdhsa_exception_fp_ieee_underflow 0
		.amdhsa_exception_fp_ieee_inexact 0
		.amdhsa_exception_int_div_zero 0
	.end_amdhsa_kernel
	.section	.text._ZN5aiter25scaled_act_and_mul_kernelIfDB8_TnPFfRKT_EXadL_ZNS_11silu_kernelIfEEfS4_EELi8EEEvPT0_PS3_if,"axG",@progbits,_ZN5aiter25scaled_act_and_mul_kernelIfDB8_TnPFfRKT_EXadL_ZNS_11silu_kernelIfEEfS4_EELi8EEEvPT0_PS3_if,comdat
.Lfunc_end488:
	.size	_ZN5aiter25scaled_act_and_mul_kernelIfDB8_TnPFfRKT_EXadL_ZNS_11silu_kernelIfEEfS4_EELi8EEEvPT0_PS3_if, .Lfunc_end488-_ZN5aiter25scaled_act_and_mul_kernelIfDB8_TnPFfRKT_EXadL_ZNS_11silu_kernelIfEEfS4_EELi8EEEvPT0_PS3_if
                                        ; -- End function
	.section	.AMDGPU.csdata,"",@progbits
; Kernel info:
; codeLenInByte = 1280
; NumSgprs: 44
; NumVgprs: 45
; NumAgprs: 0
; TotalNumVgprs: 45
; ScratchSize: 0
; MemoryBound: 0
; FloatMode: 240
; IeeeMode: 1
; LDSByteSize: 0 bytes/workgroup (compile time only)
; SGPRBlocks: 5
; VGPRBlocks: 5
; NumSGPRsForWavesPerEU: 44
; NumVGPRsForWavesPerEU: 45
; AccumOffset: 48
; Occupancy: 8
; WaveLimiterHint : 0
; COMPUTE_PGM_RSRC2:SCRATCH_EN: 0
; COMPUTE_PGM_RSRC2:USER_SGPR: 2
; COMPUTE_PGM_RSRC2:TRAP_HANDLER: 0
; COMPUTE_PGM_RSRC2:TGID_X_EN: 1
; COMPUTE_PGM_RSRC2:TGID_Y_EN: 0
; COMPUTE_PGM_RSRC2:TGID_Z_EN: 0
; COMPUTE_PGM_RSRC2:TIDIG_COMP_CNT: 0
; COMPUTE_PGM_RSRC3_GFX90A:ACCUM_OFFSET: 11
; COMPUTE_PGM_RSRC3_GFX90A:TG_SPLIT: 0
	.section	.text._ZN5aiter25scaled_act_and_mul_kernelIfDB8_TnPFfRKT_EXadL_ZNS_11silu_kernelIfEEfS4_EELi4EEEvPT0_PS3_if,"axG",@progbits,_ZN5aiter25scaled_act_and_mul_kernelIfDB8_TnPFfRKT_EXadL_ZNS_11silu_kernelIfEEfS4_EELi4EEEvPT0_PS3_if,comdat
	.protected	_ZN5aiter25scaled_act_and_mul_kernelIfDB8_TnPFfRKT_EXadL_ZNS_11silu_kernelIfEEfS4_EELi4EEEvPT0_PS3_if ; -- Begin function _ZN5aiter25scaled_act_and_mul_kernelIfDB8_TnPFfRKT_EXadL_ZNS_11silu_kernelIfEEfS4_EELi4EEEvPT0_PS3_if
	.globl	_ZN5aiter25scaled_act_and_mul_kernelIfDB8_TnPFfRKT_EXadL_ZNS_11silu_kernelIfEEfS4_EELi4EEEvPT0_PS3_if
	.p2align	8
	.type	_ZN5aiter25scaled_act_and_mul_kernelIfDB8_TnPFfRKT_EXadL_ZNS_11silu_kernelIfEEfS4_EELi4EEEvPT0_PS3_if,@function
_ZN5aiter25scaled_act_and_mul_kernelIfDB8_TnPFfRKT_EXadL_ZNS_11silu_kernelIfEEfS4_EELi4EEEvPT0_PS3_if: ; @_ZN5aiter25scaled_act_and_mul_kernelIfDB8_TnPFfRKT_EXadL_ZNS_11silu_kernelIfEEfS4_EELi4EEEvPT0_PS3_if
; %bb.0:
	s_load_dwordx2 s[4:5], s[0:1], 0x10
	v_lshlrev_b32_e32 v8, 2, v0
	s_waitcnt lgkmcnt(0)
	v_cmp_gt_i32_e32 vcc, s4, v8
	s_and_saveexec_b64 s[6:7], vcc
	s_cbranch_execz .LBB489_3
; %bb.1:
	s_load_dwordx4 s[16:19], s[0:1], 0x0
	s_ashr_i32 s7, s4, 31
	s_mul_hi_u32 s3, s4, s2
	s_mul_i32 s8, s7, s2
	s_add_i32 s3, s3, s8
	s_mul_i32 s2, s4, s2
	s_lshl_b64 s[8:9], s[2:3], 3
	s_mov_b32 s6, s4
	s_waitcnt lgkmcnt(0)
	s_add_u32 s8, s18, s8
	s_addc_u32 s9, s19, s9
	s_lshl_b64 s[10:11], s[6:7], 2
	s_add_u32 s12, s8, s10
	s_addc_u32 s13, s9, s11
	s_lshl_b32 s10, s4, 2
	s_and_b32 s9, s9, 0xffff
	s_and_b32 s13, s13, 0xffff
	s_add_u32 s16, s16, s2
	s_addc_u32 s2, s17, s3
	s_add_i32 s3, s4, 3
	s_ashr_i32 s4, s3, 31
	s_lshr_b32 s4, s4, 30
	s_add_i32 s3, s3, s4
	s_and_b32 s18, s3, -4
	s_and_b32 s17, s2, 0xffff
	s_mov_b32 s11, 0x20000
	s_mov_b32 s4, s5
	s_add_u32 s20, s0, 24
	s_mov_b32 s19, s11
	v_mov_b32_e32 v9, 0
	s_addc_u32 s21, s1, 0
	s_mov_b64 s[22:23], 0
	s_mov_b32 s25, 0
	s_mov_b32 s26, 0xbfb8aa3b
	;; [unrolled: 1-line block ×4, first 2 shown]
	v_mov_b32_e32 v12, 0x7f800000
	v_mov_b64_e32 v[10:11], s[4:5]
	s_mov_b32 s14, s10
	s_mov_b32 s15, s11
.LBB489_2:                              ; =>This Inner Loop Header: Depth=1
	v_lshlrev_b32_e32 v13, 2, v8
	buffer_load_dwordx4 v[4:7], v13, s[8:11], 0 offen sc0 nt
	buffer_load_dwordx4 v[0:3], v13, s[12:15], 0 offen sc0 nt
	s_waitcnt vmcnt(1)
	v_mul_f32_e32 v13, 0xbfb8aa3b, v4
	v_mul_f32_e32 v14, 0xbfb8aa3b, v5
	;; [unrolled: 1-line block ×4, first 2 shown]
	v_fma_f32 v17, v4, s26, -v13
	v_rndne_f32_e32 v18, v13
	v_fma_f32 v19, v5, s26, -v14
	v_rndne_f32_e32 v20, v14
	;; [unrolled: 2-line block ×4, first 2 shown]
	v_fmac_f32_e32 v17, 0xb2a5705f, v4
	v_sub_f32_e32 v13, v13, v18
	v_fmac_f32_e32 v19, 0xb2a5705f, v5
	v_sub_f32_e32 v14, v14, v20
	;; [unrolled: 2-line block ×4, first 2 shown]
	v_add_f32_e32 v13, v13, v17
	v_add_f32_e32 v14, v14, v19
	v_add_f32_e32 v15, v15, v21
	v_add_f32_e32 v16, v16, v23
	v_cvt_i32_f32_e32 v18, v18
	v_cvt_i32_f32_e32 v20, v20
	v_cvt_i32_f32_e32 v22, v22
	v_cvt_i32_f32_e32 v24, v24
	v_exp_f32_e32 v13, v13
	v_exp_f32_e32 v14, v14
	;; [unrolled: 1-line block ×4, first 2 shown]
	v_ldexp_f32 v13, v13, v18
	v_ldexp_f32 v14, v14, v20
	v_cmp_nlt_f32_e32 vcc, s27, v5
	v_ldexp_f32 v15, v15, v22
	v_cmp_nlt_f32_e64 s[0:1], s27, v6
	v_ldexp_f32 v16, v16, v24
	v_cmp_nlt_f32_e64 s[2:3], s27, v7
	v_cmp_nlt_f32_e64 s[4:5], s27, v4
	v_cndmask_b32_e32 v14, 0, v14, vcc
	v_cmp_ngt_f32_e32 vcc, s28, v5
	v_cndmask_b32_e64 v13, 0, v13, s[4:5]
	v_cndmask_b32_e64 v15, 0, v15, s[0:1]
	v_cmp_ngt_f32_e64 s[0:1], s28, v6
	v_cndmask_b32_e64 v16, 0, v16, s[2:3]
	v_cmp_ngt_f32_e64 s[2:3], s28, v7
	v_cmp_ngt_f32_e64 s[4:5], s28, v4
	v_cndmask_b32_e32 v14, v12, v14, vcc
	v_cndmask_b32_e64 v15, v12, v15, s[0:1]
	v_cndmask_b32_e64 v13, v12, v13, s[4:5]
	;; [unrolled: 1-line block ×3, first 2 shown]
	v_add_f32_e32 v13, 1.0, v13
	v_add_f32_e32 v17, 1.0, v14
	;; [unrolled: 1-line block ×4, first 2 shown]
	v_rcp_f32_e32 v14, v13
	v_rcp_f32_e32 v15, v17
	;; [unrolled: 1-line block ×4, first 2 shown]
	v_pk_mul_f32 v[4:5], v[4:5], v[14:15]
	s_waitcnt vmcnt(0)
	;;#ASMSTART
	v_pk_mul_f32 v[0:1], v[4:5], v[0:1]
	v_pk_mul_f32 v[0:1], v[0:1], v[10:11]
	;;#ASMEND
	v_pk_mul_f32 v[6:7], v[6:7], v[16:17]
	v_cvt_pk_fp8_f32 v1, v1, 0
	;;#ASMSTART
	v_pk_mul_f32 v[2:3], v[6:7], v[2:3]
	v_pk_mul_f32 v[2:3], v[2:3], v[10:11]
	;;#ASMEND
	s_load_dword s0, s[20:21], 0xc
	v_cvt_pk_fp8_f32 v3, v3, 0
	v_cvt_pk_fp8_f32 v0, v0, 0
	;; [unrolled: 1-line block ×3, first 2 shown]
	v_lshlrev_b16_e32 v1, 8, v1
	v_lshlrev_b16_e32 v3, 8, v3
	s_waitcnt lgkmcnt(0)
	s_and_b32 s0, s0, 0xffff
	v_or_b32_sdwa v0, v0, v1 dst_sel:DWORD dst_unused:UNUSED_PAD src0_sel:BYTE_0 src1_sel:DWORD
	v_or_b32_sdwa v1, v2, v3 dst_sel:WORD_1 dst_unused:UNUSED_PAD src0_sel:BYTE_0 src1_sel:DWORD
	s_lshl_b32 s24, s0, 2
	v_or_b32_sdwa v0, v0, v1 dst_sel:DWORD dst_unused:UNUSED_PAD src0_sel:WORD_0 src1_sel:DWORD
	buffer_store_dword v0, v8, s[16:19], 0 offen
	v_lshl_add_u64 v[8:9], s[24:25], 0, v[8:9]
	v_cmp_le_i64_e32 vcc, s[6:7], v[8:9]
	s_or_b64 s[22:23], vcc, s[22:23]
	s_andn2_b64 exec, exec, s[22:23]
	s_cbranch_execnz .LBB489_2
.LBB489_3:
	s_endpgm
	.section	.rodata,"a",@progbits
	.p2align	6, 0x0
	.amdhsa_kernel _ZN5aiter25scaled_act_and_mul_kernelIfDB8_TnPFfRKT_EXadL_ZNS_11silu_kernelIfEEfS4_EELi4EEEvPT0_PS3_if
		.amdhsa_group_segment_fixed_size 0
		.amdhsa_private_segment_fixed_size 0
		.amdhsa_kernarg_size 280
		.amdhsa_user_sgpr_count 2
		.amdhsa_user_sgpr_dispatch_ptr 0
		.amdhsa_user_sgpr_queue_ptr 0
		.amdhsa_user_sgpr_kernarg_segment_ptr 1
		.amdhsa_user_sgpr_dispatch_id 0
		.amdhsa_user_sgpr_kernarg_preload_length 0
		.amdhsa_user_sgpr_kernarg_preload_offset 0
		.amdhsa_user_sgpr_private_segment_size 0
		.amdhsa_uses_dynamic_stack 0
		.amdhsa_enable_private_segment 0
		.amdhsa_system_sgpr_workgroup_id_x 1
		.amdhsa_system_sgpr_workgroup_id_y 0
		.amdhsa_system_sgpr_workgroup_id_z 0
		.amdhsa_system_sgpr_workgroup_info 0
		.amdhsa_system_vgpr_workitem_id 0
		.amdhsa_next_free_vgpr 25
		.amdhsa_next_free_sgpr 29
		.amdhsa_accum_offset 28
		.amdhsa_reserve_vcc 1
		.amdhsa_float_round_mode_32 0
		.amdhsa_float_round_mode_16_64 0
		.amdhsa_float_denorm_mode_32 3
		.amdhsa_float_denorm_mode_16_64 3
		.amdhsa_dx10_clamp 1
		.amdhsa_ieee_mode 1
		.amdhsa_fp16_overflow 0
		.amdhsa_tg_split 0
		.amdhsa_exception_fp_ieee_invalid_op 0
		.amdhsa_exception_fp_denorm_src 0
		.amdhsa_exception_fp_ieee_div_zero 0
		.amdhsa_exception_fp_ieee_overflow 0
		.amdhsa_exception_fp_ieee_underflow 0
		.amdhsa_exception_fp_ieee_inexact 0
		.amdhsa_exception_int_div_zero 0
	.end_amdhsa_kernel
	.section	.text._ZN5aiter25scaled_act_and_mul_kernelIfDB8_TnPFfRKT_EXadL_ZNS_11silu_kernelIfEEfS4_EELi4EEEvPT0_PS3_if,"axG",@progbits,_ZN5aiter25scaled_act_and_mul_kernelIfDB8_TnPFfRKT_EXadL_ZNS_11silu_kernelIfEEfS4_EELi4EEEvPT0_PS3_if,comdat
.Lfunc_end489:
	.size	_ZN5aiter25scaled_act_and_mul_kernelIfDB8_TnPFfRKT_EXadL_ZNS_11silu_kernelIfEEfS4_EELi4EEEvPT0_PS3_if, .Lfunc_end489-_ZN5aiter25scaled_act_and_mul_kernelIfDB8_TnPFfRKT_EXadL_ZNS_11silu_kernelIfEEfS4_EELi4EEEvPT0_PS3_if
                                        ; -- End function
	.section	.AMDGPU.csdata,"",@progbits
; Kernel info:
; codeLenInByte = 776
; NumSgprs: 35
; NumVgprs: 25
; NumAgprs: 0
; TotalNumVgprs: 25
; ScratchSize: 0
; MemoryBound: 0
; FloatMode: 240
; IeeeMode: 1
; LDSByteSize: 0 bytes/workgroup (compile time only)
; SGPRBlocks: 4
; VGPRBlocks: 3
; NumSGPRsForWavesPerEU: 35
; NumVGPRsForWavesPerEU: 25
; AccumOffset: 28
; Occupancy: 8
; WaveLimiterHint : 0
; COMPUTE_PGM_RSRC2:SCRATCH_EN: 0
; COMPUTE_PGM_RSRC2:USER_SGPR: 2
; COMPUTE_PGM_RSRC2:TRAP_HANDLER: 0
; COMPUTE_PGM_RSRC2:TGID_X_EN: 1
; COMPUTE_PGM_RSRC2:TGID_Y_EN: 0
; COMPUTE_PGM_RSRC2:TGID_Z_EN: 0
; COMPUTE_PGM_RSRC2:TIDIG_COMP_CNT: 0
; COMPUTE_PGM_RSRC3_GFX90A:ACCUM_OFFSET: 6
; COMPUTE_PGM_RSRC3_GFX90A:TG_SPLIT: 0
	.section	.text._ZN5aiter25scaled_act_and_mul_kernelIfDB8_TnPFfRKT_EXadL_ZNS_11silu_kernelIfEEfS4_EELi2EEEvPT0_PS3_if,"axG",@progbits,_ZN5aiter25scaled_act_and_mul_kernelIfDB8_TnPFfRKT_EXadL_ZNS_11silu_kernelIfEEfS4_EELi2EEEvPT0_PS3_if,comdat
	.protected	_ZN5aiter25scaled_act_and_mul_kernelIfDB8_TnPFfRKT_EXadL_ZNS_11silu_kernelIfEEfS4_EELi2EEEvPT0_PS3_if ; -- Begin function _ZN5aiter25scaled_act_and_mul_kernelIfDB8_TnPFfRKT_EXadL_ZNS_11silu_kernelIfEEfS4_EELi2EEEvPT0_PS3_if
	.globl	_ZN5aiter25scaled_act_and_mul_kernelIfDB8_TnPFfRKT_EXadL_ZNS_11silu_kernelIfEEfS4_EELi2EEEvPT0_PS3_if
	.p2align	8
	.type	_ZN5aiter25scaled_act_and_mul_kernelIfDB8_TnPFfRKT_EXadL_ZNS_11silu_kernelIfEEfS4_EELi2EEEvPT0_PS3_if,@function
_ZN5aiter25scaled_act_and_mul_kernelIfDB8_TnPFfRKT_EXadL_ZNS_11silu_kernelIfEEfS4_EELi2EEEvPT0_PS3_if: ; @_ZN5aiter25scaled_act_and_mul_kernelIfDB8_TnPFfRKT_EXadL_ZNS_11silu_kernelIfEEfS4_EELi2EEEvPT0_PS3_if
; %bb.0:
	s_load_dwordx2 s[10:11], s[0:1], 0x10
	v_lshlrev_b32_e32 v0, 1, v0
	s_waitcnt lgkmcnt(0)
	v_cmp_gt_i32_e32 vcc, s10, v0
	s_and_saveexec_b64 s[4:5], vcc
	s_cbranch_execz .LBB490_3
; %bb.1:
	s_load_dwordx4 s[12:15], s[0:1], 0x0
	s_ashr_i32 s17, s10, 31
	s_mul_hi_u32 s3, s10, s2
	s_mul_i32 s4, s17, s2
	s_add_i32 s3, s3, s4
	s_mul_i32 s2, s10, s2
	s_lshl_b64 s[4:5], s[2:3], 3
	s_mov_b32 s16, s10
	s_waitcnt lgkmcnt(0)
	s_add_u32 s4, s14, s4
	s_addc_u32 s5, s15, s5
	s_lshl_b64 s[6:7], s[16:17], 2
	s_add_u32 s8, s4, s6
	s_addc_u32 s9, s5, s7
	s_lshl_b32 s6, s10, 2
	s_and_b32 s5, s5, 0xffff
	s_and_b32 s9, s9, 0xffff
	s_add_u32 s12, s12, s2
	s_addc_u32 s2, s13, s3
	s_add_i32 s3, s10, 3
	s_ashr_i32 s10, s3, 31
	s_lshr_b32 s10, s10, 30
	s_add_i32 s3, s3, s10
	s_and_b32 s14, s3, -4
	s_and_b32 s13, s2, 0xffff
	s_mov_b32 s7, 0x20000
	s_mov_b32 s10, s11
	s_add_u32 s2, s0, 24
	s_mov_b32 s15, s7
	v_mov_b32_e32 v1, 0
	s_addc_u32 s3, s1, 0
	s_mov_b64 s[18:19], 0
	s_mov_b32 s21, 0
	s_mov_b32 s22, 0xbfb8aa3b
	;; [unrolled: 1-line block ×4, first 2 shown]
	v_mov_b32_e32 v4, 0x7f800000
	v_mov_b64_e32 v[2:3], s[10:11]
	s_mov_b32 s10, s6
	s_mov_b32 s11, s7
.LBB490_2:                              ; =>This Inner Loop Header: Depth=1
	v_lshlrev_b32_e32 v5, 2, v0
	buffer_load_dwordx2 v[6:7], v5, s[4:7], 0 offen sc0 nt
	buffer_load_dwordx2 v[8:9], v5, s[8:11], 0 offen sc0 nt
	s_waitcnt vmcnt(1)
	v_mul_f32_e32 v5, 0xbfb8aa3b, v7
	v_mul_f32_e32 v10, 0xbfb8aa3b, v6
	v_fma_f32 v11, v7, s22, -v5
	v_rndne_f32_e32 v12, v5
	v_fma_f32 v13, v6, s22, -v10
	v_rndne_f32_e32 v14, v10
	v_fmac_f32_e32 v11, 0xb2a5705f, v7
	v_sub_f32_e32 v5, v5, v12
	v_fmac_f32_e32 v13, 0xb2a5705f, v6
	v_sub_f32_e32 v10, v10, v14
	v_add_f32_e32 v5, v5, v11
	v_add_f32_e32 v10, v10, v13
	v_cvt_i32_f32_e32 v12, v12
	v_cvt_i32_f32_e32 v14, v14
	v_exp_f32_e32 v5, v5
	v_exp_f32_e32 v10, v10
	v_cmp_nlt_f32_e32 vcc, s23, v6
	v_cmp_nlt_f32_e64 s[0:1], s23, v7
	v_ldexp_f32 v5, v5, v12
	v_ldexp_f32 v10, v10, v14
	v_cndmask_b32_e64 v5, 0, v5, s[0:1]
	v_cndmask_b32_e32 v10, 0, v10, vcc
	v_cmp_ngt_f32_e32 vcc, s24, v6
	v_cmp_ngt_f32_e64 s[0:1], s24, v7
	s_nop 0
	v_cndmask_b32_e32 v10, v4, v10, vcc
	v_cndmask_b32_e64 v5, v4, v5, s[0:1]
	v_add_f32_e32 v5, 1.0, v5
	v_add_f32_e32 v10, 1.0, v10
	v_rcp_f32_e32 v11, v5
	v_rcp_f32_e32 v10, v10
	s_nop 0
	v_pk_mul_f32 v[6:7], v[10:11], v[6:7]
	s_waitcnt vmcnt(0)
	;;#ASMSTART
	v_pk_mul_f32 v[6:7], v[6:7], v[8:9]
	v_pk_mul_f32 v[6:7], v[6:7], v[2:3]
	;;#ASMEND
	s_load_dword s0, s[2:3], 0xc
	v_cvt_pk_fp8_f32 v5, v7, 0
	v_cvt_pk_fp8_f32 v6, v6, 0
	v_lshlrev_b16_e32 v5, 8, v5
	s_waitcnt lgkmcnt(0)
	s_and_b32 s0, s0, 0xffff
	v_or_b32_sdwa v5, v6, v5 dst_sel:DWORD dst_unused:UNUSED_PAD src0_sel:BYTE_0 src1_sel:DWORD
	s_lshl_b32 s20, s0, 1
	buffer_store_short v5, v0, s[12:15], 0 offen
	v_lshl_add_u64 v[0:1], s[20:21], 0, v[0:1]
	v_cmp_le_i64_e32 vcc, s[16:17], v[0:1]
	s_or_b64 s[18:19], vcc, s[18:19]
	s_andn2_b64 exec, exec, s[18:19]
	s_cbranch_execnz .LBB490_2
.LBB490_3:
	s_endpgm
	.section	.rodata,"a",@progbits
	.p2align	6, 0x0
	.amdhsa_kernel _ZN5aiter25scaled_act_and_mul_kernelIfDB8_TnPFfRKT_EXadL_ZNS_11silu_kernelIfEEfS4_EELi2EEEvPT0_PS3_if
		.amdhsa_group_segment_fixed_size 0
		.amdhsa_private_segment_fixed_size 0
		.amdhsa_kernarg_size 280
		.amdhsa_user_sgpr_count 2
		.amdhsa_user_sgpr_dispatch_ptr 0
		.amdhsa_user_sgpr_queue_ptr 0
		.amdhsa_user_sgpr_kernarg_segment_ptr 1
		.amdhsa_user_sgpr_dispatch_id 0
		.amdhsa_user_sgpr_kernarg_preload_length 0
		.amdhsa_user_sgpr_kernarg_preload_offset 0
		.amdhsa_user_sgpr_private_segment_size 0
		.amdhsa_uses_dynamic_stack 0
		.amdhsa_enable_private_segment 0
		.amdhsa_system_sgpr_workgroup_id_x 1
		.amdhsa_system_sgpr_workgroup_id_y 0
		.amdhsa_system_sgpr_workgroup_id_z 0
		.amdhsa_system_sgpr_workgroup_info 0
		.amdhsa_system_vgpr_workitem_id 0
		.amdhsa_next_free_vgpr 15
		.amdhsa_next_free_sgpr 25
		.amdhsa_accum_offset 16
		.amdhsa_reserve_vcc 1
		.amdhsa_float_round_mode_32 0
		.amdhsa_float_round_mode_16_64 0
		.amdhsa_float_denorm_mode_32 3
		.amdhsa_float_denorm_mode_16_64 3
		.amdhsa_dx10_clamp 1
		.amdhsa_ieee_mode 1
		.amdhsa_fp16_overflow 0
		.amdhsa_tg_split 0
		.amdhsa_exception_fp_ieee_invalid_op 0
		.amdhsa_exception_fp_denorm_src 0
		.amdhsa_exception_fp_ieee_div_zero 0
		.amdhsa_exception_fp_ieee_overflow 0
		.amdhsa_exception_fp_ieee_underflow 0
		.amdhsa_exception_fp_ieee_inexact 0
		.amdhsa_exception_int_div_zero 0
	.end_amdhsa_kernel
	.section	.text._ZN5aiter25scaled_act_and_mul_kernelIfDB8_TnPFfRKT_EXadL_ZNS_11silu_kernelIfEEfS4_EELi2EEEvPT0_PS3_if,"axG",@progbits,_ZN5aiter25scaled_act_and_mul_kernelIfDB8_TnPFfRKT_EXadL_ZNS_11silu_kernelIfEEfS4_EELi2EEEvPT0_PS3_if,comdat
.Lfunc_end490:
	.size	_ZN5aiter25scaled_act_and_mul_kernelIfDB8_TnPFfRKT_EXadL_ZNS_11silu_kernelIfEEfS4_EELi2EEEvPT0_PS3_if, .Lfunc_end490-_ZN5aiter25scaled_act_and_mul_kernelIfDB8_TnPFfRKT_EXadL_ZNS_11silu_kernelIfEEfS4_EELi2EEEvPT0_PS3_if
                                        ; -- End function
	.section	.AMDGPU.csdata,"",@progbits
; Kernel info:
; codeLenInByte = 540
; NumSgprs: 31
; NumVgprs: 15
; NumAgprs: 0
; TotalNumVgprs: 15
; ScratchSize: 0
; MemoryBound: 0
; FloatMode: 240
; IeeeMode: 1
; LDSByteSize: 0 bytes/workgroup (compile time only)
; SGPRBlocks: 3
; VGPRBlocks: 1
; NumSGPRsForWavesPerEU: 31
; NumVGPRsForWavesPerEU: 15
; AccumOffset: 16
; Occupancy: 8
; WaveLimiterHint : 0
; COMPUTE_PGM_RSRC2:SCRATCH_EN: 0
; COMPUTE_PGM_RSRC2:USER_SGPR: 2
; COMPUTE_PGM_RSRC2:TRAP_HANDLER: 0
; COMPUTE_PGM_RSRC2:TGID_X_EN: 1
; COMPUTE_PGM_RSRC2:TGID_Y_EN: 0
; COMPUTE_PGM_RSRC2:TGID_Z_EN: 0
; COMPUTE_PGM_RSRC2:TIDIG_COMP_CNT: 0
; COMPUTE_PGM_RSRC3_GFX90A:ACCUM_OFFSET: 3
; COMPUTE_PGM_RSRC3_GFX90A:TG_SPLIT: 0
	.section	.text._ZN5aiter25scaled_act_and_mul_kernelIfDB8_TnPFfRKT_EXadL_ZNS_11silu_kernelIfEEfS4_EELi1EEEvPT0_PS3_if,"axG",@progbits,_ZN5aiter25scaled_act_and_mul_kernelIfDB8_TnPFfRKT_EXadL_ZNS_11silu_kernelIfEEfS4_EELi1EEEvPT0_PS3_if,comdat
	.protected	_ZN5aiter25scaled_act_and_mul_kernelIfDB8_TnPFfRKT_EXadL_ZNS_11silu_kernelIfEEfS4_EELi1EEEvPT0_PS3_if ; -- Begin function _ZN5aiter25scaled_act_and_mul_kernelIfDB8_TnPFfRKT_EXadL_ZNS_11silu_kernelIfEEfS4_EELi1EEEvPT0_PS3_if
	.globl	_ZN5aiter25scaled_act_and_mul_kernelIfDB8_TnPFfRKT_EXadL_ZNS_11silu_kernelIfEEfS4_EELi1EEEvPT0_PS3_if
	.p2align	8
	.type	_ZN5aiter25scaled_act_and_mul_kernelIfDB8_TnPFfRKT_EXadL_ZNS_11silu_kernelIfEEfS4_EELi1EEEvPT0_PS3_if,@function
_ZN5aiter25scaled_act_and_mul_kernelIfDB8_TnPFfRKT_EXadL_ZNS_11silu_kernelIfEEfS4_EELi1EEEvPT0_PS3_if: ; @_ZN5aiter25scaled_act_and_mul_kernelIfDB8_TnPFfRKT_EXadL_ZNS_11silu_kernelIfEEfS4_EELi1EEEvPT0_PS3_if
; %bb.0:
	s_load_dwordx2 s[12:13], s[0:1], 0x10
	s_waitcnt lgkmcnt(0)
	v_cmp_gt_i32_e32 vcc, s12, v0
	s_and_saveexec_b64 s[4:5], vcc
	s_cbranch_execz .LBB491_3
; %bb.1:
	s_load_dwordx4 s[8:11], s[0:1], 0x0
	s_load_dword s16, s[0:1], 0x24
	s_ashr_i32 s15, s12, 31
	s_mul_hi_u32 s3, s12, s2
	s_mul_i32 s4, s15, s2
	s_add_i32 s7, s3, s4
	s_mul_i32 s6, s12, s2
	s_lshl_b64 s[2:3], s[6:7], 3
	s_mov_b32 s14, s12
	s_waitcnt lgkmcnt(0)
	s_add_u32 s0, s10, s2
	s_addc_u32 s1, s11, s3
	s_lshl_b64 s[2:3], s[14:15], 2
	s_add_u32 s4, s0, s2
	s_addc_u32 s5, s1, s3
	s_lshl_b32 s2, s12, 2
	s_and_b32 s1, s1, 0xffff
	s_and_b32 s5, s5, 0xffff
	s_add_u32 s8, s8, s6
	s_addc_u32 s6, s9, s7
	s_add_i32 s7, s12, 3
	s_ashr_i32 s9, s7, 31
	s_lshr_b32 s9, s9, 30
	s_mov_b32 s3, 0x20000
	s_add_i32 s7, s7, s9
	s_and_b32 s16, s16, 0xffff
	s_and_b32 s10, s7, -4
	s_and_b32 s9, s6, 0xffff
	s_mov_b32 s11, s3
	s_mov_b32 s17, 0
	v_mov_b32_e32 v1, 0
	v_lshlrev_b32_e32 v2, 2, v0
	s_lshl_b32 s12, s16, 2
	s_mov_b64 s[18:19], 0
	s_mov_b32 s6, s2
	s_mov_b32 s7, s3
	;; [unrolled: 1-line block ×5, first 2 shown]
	v_mov_b32_e32 v3, 0x7f800000
.LBB491_2:                              ; =>This Inner Loop Header: Depth=1
	buffer_load_dword v4, v2, s[0:3], 0 offen sc0 nt
	buffer_load_dword v5, v2, s[4:7], 0 offen sc0 nt
	v_add_u32_e32 v2, s12, v2
	s_waitcnt vmcnt(1)
	v_mul_f32_e32 v6, 0xbfb8aa3b, v4
	v_fma_f32 v7, v4, s20, -v6
	v_rndne_f32_e32 v8, v6
	v_fmac_f32_e32 v7, 0xb2a5705f, v4
	v_sub_f32_e32 v6, v6, v8
	v_add_f32_e32 v6, v6, v7
	v_cvt_i32_f32_e32 v8, v8
	v_exp_f32_e32 v6, v6
	v_cmp_nlt_f32_e32 vcc, s21, v4
	v_ldexp_f32 v6, v6, v8
	s_nop 0
	v_cndmask_b32_e32 v6, 0, v6, vcc
	v_cmp_ngt_f32_e32 vcc, s22, v4
	s_nop 1
	v_cndmask_b32_e32 v6, v3, v6, vcc
	v_add_f32_e32 v6, 1.0, v6
	v_rcp_f32_e32 v6, v6
	s_nop 0
	v_mul_f32_e32 v4, v6, v4
	s_waitcnt vmcnt(0)
	v_mul_f32_e32 v4, v4, v5
	v_mul_f32_e32 v4, s13, v4
	v_cvt_pk_fp8_f32 v4, v4, 0
	buffer_store_byte v4, v0, s[8:11], 0 offen
	v_lshl_add_u64 v[0:1], v[0:1], 0, s[16:17]
	v_cmp_le_i64_e32 vcc, s[14:15], v[0:1]
	s_or_b64 s[18:19], vcc, s[18:19]
	s_andn2_b64 exec, exec, s[18:19]
	s_cbranch_execnz .LBB491_2
.LBB491_3:
	s_endpgm
	.section	.rodata,"a",@progbits
	.p2align	6, 0x0
	.amdhsa_kernel _ZN5aiter25scaled_act_and_mul_kernelIfDB8_TnPFfRKT_EXadL_ZNS_11silu_kernelIfEEfS4_EELi1EEEvPT0_PS3_if
		.amdhsa_group_segment_fixed_size 0
		.amdhsa_private_segment_fixed_size 0
		.amdhsa_kernarg_size 280
		.amdhsa_user_sgpr_count 2
		.amdhsa_user_sgpr_dispatch_ptr 0
		.amdhsa_user_sgpr_queue_ptr 0
		.amdhsa_user_sgpr_kernarg_segment_ptr 1
		.amdhsa_user_sgpr_dispatch_id 0
		.amdhsa_user_sgpr_kernarg_preload_length 0
		.amdhsa_user_sgpr_kernarg_preload_offset 0
		.amdhsa_user_sgpr_private_segment_size 0
		.amdhsa_uses_dynamic_stack 0
		.amdhsa_enable_private_segment 0
		.amdhsa_system_sgpr_workgroup_id_x 1
		.amdhsa_system_sgpr_workgroup_id_y 0
		.amdhsa_system_sgpr_workgroup_id_z 0
		.amdhsa_system_sgpr_workgroup_info 0
		.amdhsa_system_vgpr_workitem_id 0
		.amdhsa_next_free_vgpr 9
		.amdhsa_next_free_sgpr 23
		.amdhsa_accum_offset 12
		.amdhsa_reserve_vcc 1
		.amdhsa_float_round_mode_32 0
		.amdhsa_float_round_mode_16_64 0
		.amdhsa_float_denorm_mode_32 3
		.amdhsa_float_denorm_mode_16_64 3
		.amdhsa_dx10_clamp 1
		.amdhsa_ieee_mode 1
		.amdhsa_fp16_overflow 0
		.amdhsa_tg_split 0
		.amdhsa_exception_fp_ieee_invalid_op 0
		.amdhsa_exception_fp_denorm_src 0
		.amdhsa_exception_fp_ieee_div_zero 0
		.amdhsa_exception_fp_ieee_overflow 0
		.amdhsa_exception_fp_ieee_underflow 0
		.amdhsa_exception_fp_ieee_inexact 0
		.amdhsa_exception_int_div_zero 0
	.end_amdhsa_kernel
	.section	.text._ZN5aiter25scaled_act_and_mul_kernelIfDB8_TnPFfRKT_EXadL_ZNS_11silu_kernelIfEEfS4_EELi1EEEvPT0_PS3_if,"axG",@progbits,_ZN5aiter25scaled_act_and_mul_kernelIfDB8_TnPFfRKT_EXadL_ZNS_11silu_kernelIfEEfS4_EELi1EEEvPT0_PS3_if,comdat
.Lfunc_end491:
	.size	_ZN5aiter25scaled_act_and_mul_kernelIfDB8_TnPFfRKT_EXadL_ZNS_11silu_kernelIfEEfS4_EELi1EEEvPT0_PS3_if, .Lfunc_end491-_ZN5aiter25scaled_act_and_mul_kernelIfDB8_TnPFfRKT_EXadL_ZNS_11silu_kernelIfEEfS4_EELi1EEEvPT0_PS3_if
                                        ; -- End function
	.section	.AMDGPU.csdata,"",@progbits
; Kernel info:
; codeLenInByte = 400
; NumSgprs: 29
; NumVgprs: 9
; NumAgprs: 0
; TotalNumVgprs: 9
; ScratchSize: 0
; MemoryBound: 0
; FloatMode: 240
; IeeeMode: 1
; LDSByteSize: 0 bytes/workgroup (compile time only)
; SGPRBlocks: 3
; VGPRBlocks: 1
; NumSGPRsForWavesPerEU: 29
; NumVGPRsForWavesPerEU: 9
; AccumOffset: 12
; Occupancy: 8
; WaveLimiterHint : 0
; COMPUTE_PGM_RSRC2:SCRATCH_EN: 0
; COMPUTE_PGM_RSRC2:USER_SGPR: 2
; COMPUTE_PGM_RSRC2:TRAP_HANDLER: 0
; COMPUTE_PGM_RSRC2:TGID_X_EN: 1
; COMPUTE_PGM_RSRC2:TGID_Y_EN: 0
; COMPUTE_PGM_RSRC2:TGID_Z_EN: 0
; COMPUTE_PGM_RSRC2:TIDIG_COMP_CNT: 0
; COMPUTE_PGM_RSRC3_GFX90A:ACCUM_OFFSET: 2
; COMPUTE_PGM_RSRC3_GFX90A:TG_SPLIT: 0
	.section	.text._ZN5aiter25scaled_act_and_mul_kernelIfaTnPFfRKT_EXadL_ZNS_11silu_kernelIfEEfS3_EELi16EEEvPT0_PS2_if,"axG",@progbits,_ZN5aiter25scaled_act_and_mul_kernelIfaTnPFfRKT_EXadL_ZNS_11silu_kernelIfEEfS3_EELi16EEEvPT0_PS2_if,comdat
	.protected	_ZN5aiter25scaled_act_and_mul_kernelIfaTnPFfRKT_EXadL_ZNS_11silu_kernelIfEEfS3_EELi16EEEvPT0_PS2_if ; -- Begin function _ZN5aiter25scaled_act_and_mul_kernelIfaTnPFfRKT_EXadL_ZNS_11silu_kernelIfEEfS3_EELi16EEEvPT0_PS2_if
	.globl	_ZN5aiter25scaled_act_and_mul_kernelIfaTnPFfRKT_EXadL_ZNS_11silu_kernelIfEEfS3_EELi16EEEvPT0_PS2_if
	.p2align	8
	.type	_ZN5aiter25scaled_act_and_mul_kernelIfaTnPFfRKT_EXadL_ZNS_11silu_kernelIfEEfS3_EELi16EEEvPT0_PS2_if,@function
_ZN5aiter25scaled_act_and_mul_kernelIfaTnPFfRKT_EXadL_ZNS_11silu_kernelIfEEfS3_EELi16EEEvPT0_PS2_if: ; @_ZN5aiter25scaled_act_and_mul_kernelIfaTnPFfRKT_EXadL_ZNS_11silu_kernelIfEEfS3_EELi16EEEvPT0_PS2_if
; %bb.0:
	s_load_dwordx2 s[4:5], s[0:1], 0x10
	v_lshlrev_b32_e32 v32, 4, v0
	s_waitcnt lgkmcnt(0)
	v_cmp_gt_i32_e32 vcc, s4, v32
	s_and_saveexec_b64 s[6:7], vcc
	s_cbranch_execz .LBB492_3
; %bb.1:
	s_load_dwordx4 s[8:11], s[0:1], 0x0
	s_ashr_i32 s31, s4, 31
	s_mul_hi_u32 s3, s4, s2
	s_mul_i32 s6, s31, s2
	s_add_i32 s3, s3, s6
	s_mul_i32 s2, s4, s2
	s_lshl_b64 s[6:7], s[2:3], 3
	s_mov_b32 s30, s4
	s_waitcnt lgkmcnt(0)
	s_add_u32 s36, s10, s6
	s_addc_u32 s10, s11, s7
	s_lshl_b64 s[6:7], s[30:31], 2
	s_add_u32 s40, s36, s6
	s_addc_u32 s6, s10, s7
	s_lshl_b32 s38, s4, 2
	s_and_b32 s37, s10, 0xffff
	s_and_b32 s41, s6, 0xffff
	s_add_u32 s44, s8, s2
	s_addc_u32 s2, s9, s3
	s_add_i32 s3, s4, 3
	s_ashr_i32 s4, s3, 31
	s_lshr_b32 s4, s4, 30
	s_add_i32 s3, s3, s4
	s_and_b32 s46, s3, -4
	s_and_b32 s45, s2, 0xffff
	s_mov_b32 s39, 0x20000
	s_mov_b32 s4, s5
	s_add_u32 s34, s0, 24
	s_mov_b32 s47, s39
	v_mov_b32_e32 v33, 0
	s_addc_u32 s35, s1, 0
	s_mov_b64 s[48:49], 0
	s_mov_b32 s51, 0
	s_mov_b32 s33, 0xbfb8aa3b
	;; [unrolled: 1-line block ×4, first 2 shown]
	v_mov_b32_e32 v36, 0x7f800000
	v_mov_b64_e32 v[34:35], s[4:5]
	s_mov_b32 s42, s38
	s_mov_b32 s43, s39
.LBB492_2:                              ; =>This Inner Loop Header: Depth=1
	v_lshlrev_b32_e32 v28, 2, v32
	buffer_load_dwordx4 v[4:7], v28, s[36:39], 0 offen sc0 nt
	buffer_load_dwordx4 v[12:15], v28, s[36:39], 16 offen sc0 nt
	buffer_load_dwordx4 v[16:19], v28, s[36:39], 32 offen sc0 nt
	buffer_load_dwordx4 v[0:3], v28, s[36:39], 48 offen sc0 nt
	buffer_load_dwordx4 v[8:11], v28, s[40:43], 0 offen sc0 nt
	s_waitcnt vmcnt(4)
	v_mul_f32_e32 v20, 0xbfb8aa3b, v4
	v_mul_f32_e32 v21, 0xbfb8aa3b, v5
	;; [unrolled: 1-line block ×4, first 2 shown]
	v_fma_f32 v42, v4, s33, -v20
	v_rndne_f32_e32 v43, v20
	v_fma_f32 v44, v5, s33, -v21
	v_rndne_f32_e32 v45, v21
	s_waitcnt vmcnt(3)
	v_mul_f32_e32 v24, 0xbfb8aa3b, v12
	s_waitcnt vmcnt(2)
	v_mul_f32_e32 v30, 0xbfb8aa3b, v17
	v_fma_f32 v46, v6, s33, -v22
	v_rndne_f32_e32 v47, v22
	v_fma_f32 v48, v7, s33, -v23
	v_rndne_f32_e32 v49, v23
	v_fmac_f32_e32 v42, 0xb2a5705f, v4
	v_sub_f32_e32 v20, v20, v43
	v_fmac_f32_e32 v44, 0xb2a5705f, v5
	v_sub_f32_e32 v21, v21, v45
	v_mul_f32_e32 v25, 0xbfb8aa3b, v13
	v_mul_f32_e32 v26, 0xbfb8aa3b, v14
	;; [unrolled: 1-line block ×4, first 2 shown]
	v_fma_f32 v50, v12, s33, -v24
	v_rndne_f32_e32 v51, v24
	v_add_f32_e32 v20, v20, v42
	v_fma_f32 v42, v17, s33, -v30
	v_add_f32_e32 v21, v21, v44
	v_rndne_f32_e32 v44, v30
	v_fmac_f32_e32 v46, 0xb2a5705f, v6
	v_sub_f32_e32 v22, v22, v47
	v_fmac_f32_e32 v48, 0xb2a5705f, v7
	v_sub_f32_e32 v23, v23, v49
	v_mul_f32_e32 v37, 0xbfb8aa3b, v19
	v_fma_f32 v52, v13, s33, -v25
	v_rndne_f32_e32 v53, v25
	v_fma_f32 v54, v14, s33, -v26
	v_rndne_f32_e32 v55, v26
	;; [unrolled: 2-line block ×3, first 2 shown]
	v_add_f32_e32 v46, v22, v46
	v_fma_f32 v22, v18, s33, -v31
	v_add_f32_e32 v48, v23, v48
	v_rndne_f32_e32 v60, v31
	v_fmac_f32_e32 v50, 0xb2a5705f, v12
	v_sub_f32_e32 v23, v24, v51
	v_fmac_f32_e32 v42, 0xb2a5705f, v17
	v_sub_f32_e32 v30, v30, v44
	v_mul_f32_e32 v29, 0xbfb8aa3b, v16
	s_waitcnt vmcnt(1)
	v_mul_f32_e32 v38, 0xbfb8aa3b, v0
	v_add_f32_e32 v24, v23, v50
	v_fma_f32 v23, v19, s33, -v37
	v_fmac_f32_e32 v52, 0xb2a5705f, v13
	v_sub_f32_e32 v25, v25, v53
	v_rndne_f32_e32 v50, v37
	v_fmac_f32_e32 v54, 0xb2a5705f, v14
	v_sub_f32_e32 v26, v26, v55
	v_fmac_f32_e32 v56, 0xb2a5705f, v15
	v_sub_f32_e32 v27, v27, v57
	v_add_f32_e32 v42, v30, v42
	v_fmac_f32_e32 v22, 0xb2a5705f, v18
	v_sub_f32_e32 v30, v31, v60
	v_fma_f32 v58, v16, s33, -v29
	v_rndne_f32_e32 v59, v29
	v_add_f32_e32 v25, v25, v52
	v_add_f32_e32 v52, v26, v54
	v_fma_f32 v26, v0, s33, -v38
	v_add_f32_e32 v54, v27, v56
	v_rndne_f32_e32 v56, v38
	v_add_f32_e32 v61, v30, v22
	v_fmac_f32_e32 v23, 0xb2a5705f, v19
	v_sub_f32_e32 v30, v37, v50
	v_mul_f32_e32 v39, 0xbfb8aa3b, v1
	v_mul_f32_e32 v40, 0xbfb8aa3b, v2
	v_mul_f32_e32 v41, 0xbfb8aa3b, v3
	v_fmac_f32_e32 v58, 0xb2a5705f, v16
	v_sub_f32_e32 v27, v29, v59
	v_add_f32_e32 v37, v30, v23
	v_fmac_f32_e32 v26, 0xb2a5705f, v0
	v_sub_f32_e32 v23, v38, v56
	v_add_f32_e32 v29, v27, v58
	v_fma_f32 v27, v1, s33, -v39
	v_rndne_f32_e32 v58, v39
	v_fma_f32 v22, v2, s33, -v40
	v_rndne_f32_e32 v62, v40
	v_add_f32_e32 v38, v23, v26
	v_fma_f32 v23, v3, s33, -v41
	v_rndne_f32_e32 v63, v41
	v_fmac_f32_e32 v27, 0xb2a5705f, v1
	v_sub_f32_e32 v26, v39, v58
	v_fmac_f32_e32 v22, 0xb2a5705f, v2
	v_sub_f32_e32 v30, v40, v62
	;; [unrolled: 2-line block ×3, first 2 shown]
	v_add_f32_e32 v39, v26, v27
	v_cvt_i32_f32_e32 v26, v43
	v_cvt_i32_f32_e32 v27, v45
	v_add_f32_e32 v40, v30, v22
	v_add_f32_e32 v41, v31, v23
	v_exp_f32_e32 v20, v20
	v_exp_f32_e32 v21, v21
	v_cvt_i32_f32_e32 v30, v51
	v_cvt_i32_f32_e32 v31, v53
	v_exp_f32_e32 v24, v24
	v_exp_f32_e32 v25, v25
	v_ldexp_f32 v43, v20, v26
	v_ldexp_f32 v45, v21, v27
	v_cvt_i32_f32_e32 v26, v47
	v_cvt_i32_f32_e32 v27, v49
	v_exp_f32_e32 v46, v46
	v_exp_f32_e32 v47, v48
	v_ldexp_f32 v48, v24, v30
	v_ldexp_f32 v49, v25, v31
	v_cvt_i32_f32_e32 v30, v55
	v_cvt_i32_f32_e32 v31, v57
	;; [unrolled: 1-line block ×3, first 2 shown]
	v_exp_f32_e32 v52, v52
	v_exp_f32_e32 v53, v54
	;; [unrolled: 1-line block ×3, first 2 shown]
	v_cvt_i32_f32_e32 v44, v44
	v_cvt_i32_f32_e32 v55, v56
	;; [unrolled: 1-line block ×5, first 2 shown]
	v_exp_f32_e32 v42, v42
	v_exp_f32_e32 v38, v38
	;; [unrolled: 1-line block ×5, first 2 shown]
	v_cvt_i32_f32_e32 v54, v60
	v_cvt_i32_f32_e32 v50, v50
	v_exp_f32_e32 v59, v61
	v_exp_f32_e32 v37, v37
	v_ldexp_f32 v46, v46, v26
	v_ldexp_f32 v47, v47, v27
	v_ldexp_f32 v52, v52, v30
	v_ldexp_f32 v53, v53, v31
	v_ldexp_f32 v51, v29, v51
	v_cmp_nlt_f32_e32 vcc, s52, v5
	v_cmp_nlt_f32_e64 s[0:1], s52, v6
	v_cmp_nlt_f32_e64 s[2:3], s52, v7
	v_cmp_nlt_f32_e64 s[4:5], s52, v12
	v_cmp_nlt_f32_e64 s[6:7], s52, v13
	v_cmp_nlt_f32_e64 s[8:9], s52, v14
	v_cmp_nlt_f32_e64 s[10:11], s52, v15
	v_cmp_nlt_f32_e64 s[12:13], s52, v16
	v_ldexp_f32 v42, v42, v44
	v_cmp_nlt_f32_e64 s[14:15], s52, v17
	v_ldexp_f32 v38, v38, v55
	v_cmp_nlt_f32_e64 s[20:21], s52, v0
	;; [unrolled: 2-line block ×5, first 2 shown]
	v_cmp_nlt_f32_e64 s[28:29], s52, v4
	v_ldexp_f32 v44, v59, v54
	v_cmp_nlt_f32_e64 s[16:17], s52, v18
	v_ldexp_f32 v37, v37, v50
	v_cmp_nlt_f32_e64 s[18:19], s52, v19
	v_cndmask_b32_e64 v43, 0, v43, s[28:29]
	v_cndmask_b32_e32 v45, 0, v45, vcc
	v_cmp_ngt_f32_e32 vcc, s53, v5
	v_cndmask_b32_e64 v46, 0, v46, s[0:1]
	v_cmp_ngt_f32_e64 s[0:1], s53, v6
	v_cndmask_b32_e64 v47, 0, v47, s[2:3]
	v_cmp_ngt_f32_e64 s[2:3], s53, v7
	;; [unrolled: 2-line block ×12, first 2 shown]
	v_cmp_ngt_f32_e64 s[28:29], s53, v4
	v_cndmask_b32_e64 v44, 0, v44, s[16:17]
	v_cmp_ngt_f32_e64 s[16:17], s53, v18
	v_cndmask_b32_e64 v37, 0, v37, s[18:19]
	;; [unrolled: 2-line block ×3, first 2 shown]
	v_cndmask_b32_e32 v45, v36, v45, vcc
	v_cndmask_b32_e64 v46, v36, v46, s[0:1]
	v_cndmask_b32_e64 v47, v36, v47, s[2:3]
	;; [unrolled: 1-line block ×14, first 2 shown]
	v_add_f32_e32 v43, 1.0, v43
	v_add_f32_e32 v45, 1.0, v45
	;; [unrolled: 1-line block ×16, first 2 shown]
	v_rcp_f32_e32 v38, v43
	v_rcp_f32_e32 v39, v45
	;; [unrolled: 1-line block ×16, first 2 shown]
	v_pk_mul_f32 v[4:5], v[4:5], v[38:39]
	v_pk_mul_f32 v[6:7], v[6:7], v[40:41]
	v_pk_mul_f32 v[12:13], v[12:13], v[42:43]
	v_pk_mul_f32 v[14:15], v[14:15], v[44:45]
	v_pk_mul_f32 v[0:1], v[0:1], v[50:51]
	v_pk_mul_f32 v[2:3], v[2:3], v[52:53]
	buffer_load_dwordx4 v[20:23], v28, s[40:43], 16 offen sc0 nt
	buffer_load_dwordx4 v[24:27], v28, s[40:43], 32 offen sc0 nt
	v_pk_mul_f32 v[16:17], v[16:17], v[46:47]
	buffer_load_dwordx4 v[28:31], v28, s[40:43], 48 offen sc0 nt
	v_pk_mul_f32 v[18:19], v[18:19], v[48:49]
	s_waitcnt vmcnt(3)
	;;#ASMSTART
	v_pk_mul_f32 v[4:5], v[4:5], v[8:9]
	v_pk_mul_f32 v[4:5], v[4:5], v[34:35]
	;;#ASMEND
	;;#ASMSTART
	v_pk_mul_f32 v[6:7], v[6:7], v[10:11]
	v_pk_mul_f32 v[6:7], v[6:7], v[34:35]
	;;#ASMEND
	s_waitcnt vmcnt(2)
	;;#ASMSTART
	v_pk_mul_f32 v[8:9], v[12:13], v[20:21]
	v_pk_mul_f32 v[8:9], v[8:9], v[34:35]
	;;#ASMEND
	;;#ASMSTART
	v_pk_mul_f32 v[10:11], v[14:15], v[22:23]
	v_pk_mul_f32 v[10:11], v[10:11], v[34:35]
	;;#ASMEND
	s_waitcnt vmcnt(1)
	;;#ASMSTART
	v_pk_mul_f32 v[12:13], v[16:17], v[24:25]
	v_pk_mul_f32 v[12:13], v[12:13], v[34:35]
	;;#ASMEND
	;;#ASMSTART
	v_pk_mul_f32 v[14:15], v[18:19], v[26:27]
	v_pk_mul_f32 v[14:15], v[14:15], v[34:35]
	;;#ASMEND
	s_waitcnt vmcnt(0)
	;;#ASMSTART
	v_pk_mul_f32 v[0:1], v[0:1], v[28:29]
	v_pk_mul_f32 v[0:1], v[0:1], v[34:35]
	;;#ASMEND
	;;#ASMSTART
	v_pk_mul_f32 v[2:3], v[2:3], v[30:31]
	v_pk_mul_f32 v[2:3], v[2:3], v[34:35]
	;;#ASMEND
	s_load_dword s0, s[34:35], 0xc
	v_cvt_i32_f32_e32 v4, v4
	v_cvt_i32_f32_sdwa v5, v5 dst_sel:BYTE_1 dst_unused:UNUSED_PAD src0_sel:DWORD
	v_cvt_i32_f32_e32 v6, v6
	v_cvt_i32_f32_sdwa v7, v7 dst_sel:BYTE_1 dst_unused:UNUSED_PAD src0_sel:DWORD
	;; [unrolled: 2-line block ×8, first 2 shown]
	v_or_b32_sdwa v4, v4, v5 dst_sel:DWORD dst_unused:UNUSED_PAD src0_sel:BYTE_0 src1_sel:DWORD
	v_or_b32_sdwa v5, v6, v7 dst_sel:WORD_1 dst_unused:UNUSED_PAD src0_sel:BYTE_0 src1_sel:DWORD
	v_or_b32_sdwa v6, v8, v9 dst_sel:DWORD dst_unused:UNUSED_PAD src0_sel:BYTE_0 src1_sel:DWORD
	v_or_b32_sdwa v7, v10, v11 dst_sel:WORD_1 dst_unused:UNUSED_PAD src0_sel:BYTE_0 src1_sel:DWORD
	;; [unrolled: 2-line block ×4, first 2 shown]
	s_waitcnt lgkmcnt(0)
	s_and_b32 s0, s0, 0xffff
	v_or_b32_sdwa v0, v4, v5 dst_sel:DWORD dst_unused:UNUSED_PAD src0_sel:WORD_0 src1_sel:DWORD
	v_or_b32_sdwa v1, v6, v7 dst_sel:DWORD dst_unused:UNUSED_PAD src0_sel:WORD_0 src1_sel:DWORD
	;; [unrolled: 1-line block ×4, first 2 shown]
	s_lshl_b32 s50, s0, 4
	buffer_store_dwordx4 v[0:3], v32, s[44:47], 0 offen
	v_lshl_add_u64 v[32:33], s[50:51], 0, v[32:33]
	v_cmp_le_i64_e32 vcc, s[30:31], v[32:33]
	s_or_b64 s[48:49], vcc, s[48:49]
	s_andn2_b64 exec, exec, s[48:49]
	s_cbranch_execnz .LBB492_2
.LBB492_3:
	s_endpgm
	.section	.rodata,"a",@progbits
	.p2align	6, 0x0
	.amdhsa_kernel _ZN5aiter25scaled_act_and_mul_kernelIfaTnPFfRKT_EXadL_ZNS_11silu_kernelIfEEfS3_EELi16EEEvPT0_PS2_if
		.amdhsa_group_segment_fixed_size 0
		.amdhsa_private_segment_fixed_size 0
		.amdhsa_kernarg_size 280
		.amdhsa_user_sgpr_count 2
		.amdhsa_user_sgpr_dispatch_ptr 0
		.amdhsa_user_sgpr_queue_ptr 0
		.amdhsa_user_sgpr_kernarg_segment_ptr 1
		.amdhsa_user_sgpr_dispatch_id 0
		.amdhsa_user_sgpr_kernarg_preload_length 0
		.amdhsa_user_sgpr_kernarg_preload_offset 0
		.amdhsa_user_sgpr_private_segment_size 0
		.amdhsa_uses_dynamic_stack 0
		.amdhsa_enable_private_segment 0
		.amdhsa_system_sgpr_workgroup_id_x 1
		.amdhsa_system_sgpr_workgroup_id_y 0
		.amdhsa_system_sgpr_workgroup_id_z 0
		.amdhsa_system_sgpr_workgroup_info 0
		.amdhsa_system_vgpr_workitem_id 0
		.amdhsa_next_free_vgpr 64
		.amdhsa_next_free_sgpr 54
		.amdhsa_accum_offset 64
		.amdhsa_reserve_vcc 1
		.amdhsa_float_round_mode_32 0
		.amdhsa_float_round_mode_16_64 0
		.amdhsa_float_denorm_mode_32 3
		.amdhsa_float_denorm_mode_16_64 3
		.amdhsa_dx10_clamp 1
		.amdhsa_ieee_mode 1
		.amdhsa_fp16_overflow 0
		.amdhsa_tg_split 0
		.amdhsa_exception_fp_ieee_invalid_op 0
		.amdhsa_exception_fp_denorm_src 0
		.amdhsa_exception_fp_ieee_div_zero 0
		.amdhsa_exception_fp_ieee_overflow 0
		.amdhsa_exception_fp_ieee_underflow 0
		.amdhsa_exception_fp_ieee_inexact 0
		.amdhsa_exception_int_div_zero 0
	.end_amdhsa_kernel
	.section	.text._ZN5aiter25scaled_act_and_mul_kernelIfaTnPFfRKT_EXadL_ZNS_11silu_kernelIfEEfS3_EELi16EEEvPT0_PS2_if,"axG",@progbits,_ZN5aiter25scaled_act_and_mul_kernelIfaTnPFfRKT_EXadL_ZNS_11silu_kernelIfEEfS3_EELi16EEEvPT0_PS2_if,comdat
.Lfunc_end492:
	.size	_ZN5aiter25scaled_act_and_mul_kernelIfaTnPFfRKT_EXadL_ZNS_11silu_kernelIfEEfS3_EELi16EEEvPT0_PS2_if, .Lfunc_end492-_ZN5aiter25scaled_act_and_mul_kernelIfaTnPFfRKT_EXadL_ZNS_11silu_kernelIfEEfS3_EELi16EEEvPT0_PS2_if
                                        ; -- End function
	.section	.AMDGPU.csdata,"",@progbits
; Kernel info:
; codeLenInByte = 2224
; NumSgprs: 60
; NumVgprs: 64
; NumAgprs: 0
; TotalNumVgprs: 64
; ScratchSize: 0
; MemoryBound: 0
; FloatMode: 240
; IeeeMode: 1
; LDSByteSize: 0 bytes/workgroup (compile time only)
; SGPRBlocks: 7
; VGPRBlocks: 7
; NumSGPRsForWavesPerEU: 60
; NumVGPRsForWavesPerEU: 64
; AccumOffset: 64
; Occupancy: 8
; WaveLimiterHint : 0
; COMPUTE_PGM_RSRC2:SCRATCH_EN: 0
; COMPUTE_PGM_RSRC2:USER_SGPR: 2
; COMPUTE_PGM_RSRC2:TRAP_HANDLER: 0
; COMPUTE_PGM_RSRC2:TGID_X_EN: 1
; COMPUTE_PGM_RSRC2:TGID_Y_EN: 0
; COMPUTE_PGM_RSRC2:TGID_Z_EN: 0
; COMPUTE_PGM_RSRC2:TIDIG_COMP_CNT: 0
; COMPUTE_PGM_RSRC3_GFX90A:ACCUM_OFFSET: 15
; COMPUTE_PGM_RSRC3_GFX90A:TG_SPLIT: 0
	.section	.text._ZN5aiter25scaled_act_and_mul_kernelIfaTnPFfRKT_EXadL_ZNS_11silu_kernelIfEEfS3_EELi8EEEvPT0_PS2_if,"axG",@progbits,_ZN5aiter25scaled_act_and_mul_kernelIfaTnPFfRKT_EXadL_ZNS_11silu_kernelIfEEfS3_EELi8EEEvPT0_PS2_if,comdat
	.protected	_ZN5aiter25scaled_act_and_mul_kernelIfaTnPFfRKT_EXadL_ZNS_11silu_kernelIfEEfS3_EELi8EEEvPT0_PS2_if ; -- Begin function _ZN5aiter25scaled_act_and_mul_kernelIfaTnPFfRKT_EXadL_ZNS_11silu_kernelIfEEfS3_EELi8EEEvPT0_PS2_if
	.globl	_ZN5aiter25scaled_act_and_mul_kernelIfaTnPFfRKT_EXadL_ZNS_11silu_kernelIfEEfS3_EELi8EEEvPT0_PS2_if
	.p2align	8
	.type	_ZN5aiter25scaled_act_and_mul_kernelIfaTnPFfRKT_EXadL_ZNS_11silu_kernelIfEEfS3_EELi8EEEvPT0_PS2_if,@function
_ZN5aiter25scaled_act_and_mul_kernelIfaTnPFfRKT_EXadL_ZNS_11silu_kernelIfEEfS3_EELi8EEEvPT0_PS2_if: ; @_ZN5aiter25scaled_act_and_mul_kernelIfaTnPFfRKT_EXadL_ZNS_11silu_kernelIfEEfS3_EELi8EEEvPT0_PS2_if
; %bb.0:
	s_load_dwordx2 s[4:5], s[0:1], 0x10
	v_lshlrev_b32_e32 v16, 3, v0
	s_waitcnt lgkmcnt(0)
	v_cmp_gt_i32_e32 vcc, s4, v16
	s_and_saveexec_b64 s[6:7], vcc
	s_cbranch_execz .LBB493_3
; %bb.1:
	s_load_dwordx4 s[8:11], s[0:1], 0x0
	s_ashr_i32 s15, s4, 31
	s_mul_hi_u32 s3, s4, s2
	s_mul_i32 s6, s15, s2
	s_add_i32 s3, s3, s6
	s_mul_i32 s2, s4, s2
	s_lshl_b64 s[6:7], s[2:3], 3
	s_mov_b32 s14, s4
	s_waitcnt lgkmcnt(0)
	s_add_u32 s16, s10, s6
	s_addc_u32 s10, s11, s7
	s_lshl_b64 s[6:7], s[14:15], 2
	s_add_u32 s20, s16, s6
	s_addc_u32 s6, s10, s7
	s_lshl_b32 s18, s4, 2
	s_and_b32 s17, s10, 0xffff
	s_and_b32 s21, s6, 0xffff
	s_add_u32 s24, s8, s2
	s_addc_u32 s2, s9, s3
	s_add_i32 s3, s4, 3
	s_ashr_i32 s4, s3, 31
	s_lshr_b32 s4, s4, 30
	s_add_i32 s3, s3, s4
	s_and_b32 s26, s3, -4
	s_and_b32 s25, s2, 0xffff
	s_mov_b32 s19, 0x20000
	s_mov_b32 s4, s5
	s_add_u32 s28, s0, 24
	s_mov_b32 s27, s19
	v_mov_b32_e32 v17, 0
	s_addc_u32 s29, s1, 0
	s_mov_b64 s[30:31], 0
	s_mov_b32 s35, 0
	s_mov_b32 s33, 0xbfb8aa3b
	;; [unrolled: 1-line block ×4, first 2 shown]
	v_mov_b32_e32 v20, 0x7f800000
	v_mov_b64_e32 v[18:19], s[4:5]
	s_mov_b32 s22, s18
	s_mov_b32 s23, s19
.LBB493_2:                              ; =>This Inner Loop Header: Depth=1
	v_lshlrev_b32_e32 v21, 2, v16
	buffer_load_dwordx4 v[12:15], v21, s[16:19], 0 offen sc0 nt
	buffer_load_dwordx4 v[4:7], v21, s[16:19], 16 offen sc0 nt
	;; [unrolled: 1-line block ×4, first 2 shown]
	s_waitcnt vmcnt(3)
	v_mul_f32_e32 v21, 0xbfb8aa3b, v12
	v_mul_f32_e32 v22, 0xbfb8aa3b, v13
	;; [unrolled: 1-line block ×4, first 2 shown]
	s_waitcnt vmcnt(2)
	v_mul_f32_e32 v25, 0xbfb8aa3b, v4
	v_mul_f32_e32 v26, 0xbfb8aa3b, v5
	;; [unrolled: 1-line block ×4, first 2 shown]
	v_fma_f32 v29, v12, s33, -v21
	v_rndne_f32_e32 v30, v21
	v_fma_f32 v31, v13, s33, -v22
	v_rndne_f32_e32 v32, v22
	;; [unrolled: 2-line block ×8, first 2 shown]
	v_fmac_f32_e32 v29, 0xb2a5705f, v12
	v_sub_f32_e32 v21, v21, v30
	v_fmac_f32_e32 v31, 0xb2a5705f, v13
	v_sub_f32_e32 v22, v22, v32
	;; [unrolled: 2-line block ×8, first 2 shown]
	v_add_f32_e32 v21, v21, v29
	v_add_f32_e32 v22, v22, v31
	v_add_f32_e32 v23, v23, v33
	v_add_f32_e32 v24, v24, v35
	v_add_f32_e32 v25, v25, v37
	v_add_f32_e32 v26, v26, v39
	v_add_f32_e32 v27, v27, v41
	v_add_f32_e32 v28, v28, v43
	v_cvt_i32_f32_e32 v30, v30
	v_cvt_i32_f32_e32 v32, v32
	;; [unrolled: 1-line block ×8, first 2 shown]
	v_exp_f32_e32 v21, v21
	v_exp_f32_e32 v22, v22
	;; [unrolled: 1-line block ×8, first 2 shown]
	v_ldexp_f32 v21, v21, v30
	v_ldexp_f32 v22, v22, v32
	v_cmp_nlt_f32_e32 vcc, s36, v13
	v_ldexp_f32 v23, v23, v34
	v_cmp_nlt_f32_e64 s[0:1], s36, v14
	v_ldexp_f32 v24, v24, v36
	v_cmp_nlt_f32_e64 s[2:3], s36, v15
	;; [unrolled: 2-line block ×6, first 2 shown]
	v_cmp_nlt_f32_e64 s[12:13], s36, v12
	v_cndmask_b32_e32 v22, 0, v22, vcc
	v_cmp_ngt_f32_e32 vcc, s37, v13
	v_cndmask_b32_e64 v21, 0, v21, s[12:13]
	v_cndmask_b32_e64 v23, 0, v23, s[0:1]
	v_cmp_ngt_f32_e64 s[0:1], s37, v14
	v_cndmask_b32_e64 v24, 0, v24, s[2:3]
	v_cmp_ngt_f32_e64 s[2:3], s37, v15
	;; [unrolled: 2-line block ×6, first 2 shown]
	v_cmp_ngt_f32_e64 s[12:13], s37, v12
	v_cndmask_b32_e32 v22, v20, v22, vcc
	v_cndmask_b32_e64 v23, v20, v23, s[0:1]
	v_cndmask_b32_e64 v21, v20, v21, s[12:13]
	;; [unrolled: 1-line block ×7, first 2 shown]
	v_add_f32_e32 v21, 1.0, v21
	v_add_f32_e32 v29, 1.0, v22
	;; [unrolled: 1-line block ×8, first 2 shown]
	v_rcp_f32_e32 v22, v21
	v_rcp_f32_e32 v23, v29
	;; [unrolled: 1-line block ×8, first 2 shown]
	v_pk_mul_f32 v[12:13], v[12:13], v[22:23]
	v_pk_mul_f32 v[14:15], v[14:15], v[24:25]
	;; [unrolled: 1-line block ×4, first 2 shown]
	s_waitcnt vmcnt(1)
	;;#ASMSTART
	v_pk_mul_f32 v[8:9], v[12:13], v[8:9]
	v_pk_mul_f32 v[8:9], v[8:9], v[18:19]
	;;#ASMEND
	;;#ASMSTART
	v_pk_mul_f32 v[10:11], v[14:15], v[10:11]
	v_pk_mul_f32 v[10:11], v[10:11], v[18:19]
	;;#ASMEND
	s_waitcnt vmcnt(0)
	;;#ASMSTART
	v_pk_mul_f32 v[0:1], v[4:5], v[0:1]
	v_pk_mul_f32 v[0:1], v[0:1], v[18:19]
	;;#ASMEND
	;;#ASMSTART
	v_pk_mul_f32 v[2:3], v[6:7], v[2:3]
	v_pk_mul_f32 v[2:3], v[2:3], v[18:19]
	;;#ASMEND
	s_load_dword s0, s[28:29], 0xc
	v_cvt_i32_f32_e32 v4, v8
	v_cvt_i32_f32_sdwa v5, v9 dst_sel:BYTE_1 dst_unused:UNUSED_PAD src0_sel:DWORD
	v_cvt_i32_f32_e32 v6, v10
	v_cvt_i32_f32_sdwa v7, v11 dst_sel:BYTE_1 dst_unused:UNUSED_PAD src0_sel:DWORD
	;; [unrolled: 2-line block ×4, first 2 shown]
	v_or_b32_sdwa v4, v4, v5 dst_sel:DWORD dst_unused:UNUSED_PAD src0_sel:BYTE_0 src1_sel:DWORD
	v_or_b32_sdwa v5, v6, v7 dst_sel:WORD_1 dst_unused:UNUSED_PAD src0_sel:BYTE_0 src1_sel:DWORD
	v_or_b32_sdwa v1, v0, v1 dst_sel:DWORD dst_unused:UNUSED_PAD src0_sel:BYTE_0 src1_sel:DWORD
	v_or_b32_sdwa v2, v2, v3 dst_sel:WORD_1 dst_unused:UNUSED_PAD src0_sel:BYTE_0 src1_sel:DWORD
	s_waitcnt lgkmcnt(0)
	s_and_b32 s0, s0, 0xffff
	v_or_b32_sdwa v0, v4, v5 dst_sel:DWORD dst_unused:UNUSED_PAD src0_sel:WORD_0 src1_sel:DWORD
	v_or_b32_sdwa v1, v1, v2 dst_sel:DWORD dst_unused:UNUSED_PAD src0_sel:WORD_0 src1_sel:DWORD
	s_lshl_b32 s34, s0, 3
	buffer_store_dwordx2 v[0:1], v16, s[24:27], 0 offen
	v_lshl_add_u64 v[16:17], s[34:35], 0, v[16:17]
	v_cmp_le_i64_e32 vcc, s[14:15], v[16:17]
	s_or_b64 s[30:31], vcc, s[30:31]
	s_andn2_b64 exec, exec, s[30:31]
	s_cbranch_execnz .LBB493_2
.LBB493_3:
	s_endpgm
	.section	.rodata,"a",@progbits
	.p2align	6, 0x0
	.amdhsa_kernel _ZN5aiter25scaled_act_and_mul_kernelIfaTnPFfRKT_EXadL_ZNS_11silu_kernelIfEEfS3_EELi8EEEvPT0_PS2_if
		.amdhsa_group_segment_fixed_size 0
		.amdhsa_private_segment_fixed_size 0
		.amdhsa_kernarg_size 280
		.amdhsa_user_sgpr_count 2
		.amdhsa_user_sgpr_dispatch_ptr 0
		.amdhsa_user_sgpr_queue_ptr 0
		.amdhsa_user_sgpr_kernarg_segment_ptr 1
		.amdhsa_user_sgpr_dispatch_id 0
		.amdhsa_user_sgpr_kernarg_preload_length 0
		.amdhsa_user_sgpr_kernarg_preload_offset 0
		.amdhsa_user_sgpr_private_segment_size 0
		.amdhsa_uses_dynamic_stack 0
		.amdhsa_enable_private_segment 0
		.amdhsa_system_sgpr_workgroup_id_x 1
		.amdhsa_system_sgpr_workgroup_id_y 0
		.amdhsa_system_sgpr_workgroup_id_z 0
		.amdhsa_system_sgpr_workgroup_info 0
		.amdhsa_system_vgpr_workitem_id 0
		.amdhsa_next_free_vgpr 45
		.amdhsa_next_free_sgpr 38
		.amdhsa_accum_offset 48
		.amdhsa_reserve_vcc 1
		.amdhsa_float_round_mode_32 0
		.amdhsa_float_round_mode_16_64 0
		.amdhsa_float_denorm_mode_32 3
		.amdhsa_float_denorm_mode_16_64 3
		.amdhsa_dx10_clamp 1
		.amdhsa_ieee_mode 1
		.amdhsa_fp16_overflow 0
		.amdhsa_tg_split 0
		.amdhsa_exception_fp_ieee_invalid_op 0
		.amdhsa_exception_fp_denorm_src 0
		.amdhsa_exception_fp_ieee_div_zero 0
		.amdhsa_exception_fp_ieee_overflow 0
		.amdhsa_exception_fp_ieee_underflow 0
		.amdhsa_exception_fp_ieee_inexact 0
		.amdhsa_exception_int_div_zero 0
	.end_amdhsa_kernel
	.section	.text._ZN5aiter25scaled_act_and_mul_kernelIfaTnPFfRKT_EXadL_ZNS_11silu_kernelIfEEfS3_EELi8EEEvPT0_PS2_if,"axG",@progbits,_ZN5aiter25scaled_act_and_mul_kernelIfaTnPFfRKT_EXadL_ZNS_11silu_kernelIfEEfS3_EELi8EEEvPT0_PS2_if,comdat
.Lfunc_end493:
	.size	_ZN5aiter25scaled_act_and_mul_kernelIfaTnPFfRKT_EXadL_ZNS_11silu_kernelIfEEfS3_EELi8EEEvPT0_PS2_if, .Lfunc_end493-_ZN5aiter25scaled_act_and_mul_kernelIfaTnPFfRKT_EXadL_ZNS_11silu_kernelIfEEfS3_EELi8EEEvPT0_PS2_if
                                        ; -- End function
	.section	.AMDGPU.csdata,"",@progbits
; Kernel info:
; codeLenInByte = 1248
; NumSgprs: 44
; NumVgprs: 45
; NumAgprs: 0
; TotalNumVgprs: 45
; ScratchSize: 0
; MemoryBound: 0
; FloatMode: 240
; IeeeMode: 1
; LDSByteSize: 0 bytes/workgroup (compile time only)
; SGPRBlocks: 5
; VGPRBlocks: 5
; NumSGPRsForWavesPerEU: 44
; NumVGPRsForWavesPerEU: 45
; AccumOffset: 48
; Occupancy: 8
; WaveLimiterHint : 0
; COMPUTE_PGM_RSRC2:SCRATCH_EN: 0
; COMPUTE_PGM_RSRC2:USER_SGPR: 2
; COMPUTE_PGM_RSRC2:TRAP_HANDLER: 0
; COMPUTE_PGM_RSRC2:TGID_X_EN: 1
; COMPUTE_PGM_RSRC2:TGID_Y_EN: 0
; COMPUTE_PGM_RSRC2:TGID_Z_EN: 0
; COMPUTE_PGM_RSRC2:TIDIG_COMP_CNT: 0
; COMPUTE_PGM_RSRC3_GFX90A:ACCUM_OFFSET: 11
; COMPUTE_PGM_RSRC3_GFX90A:TG_SPLIT: 0
	.section	.text._ZN5aiter25scaled_act_and_mul_kernelIfaTnPFfRKT_EXadL_ZNS_11silu_kernelIfEEfS3_EELi4EEEvPT0_PS2_if,"axG",@progbits,_ZN5aiter25scaled_act_and_mul_kernelIfaTnPFfRKT_EXadL_ZNS_11silu_kernelIfEEfS3_EELi4EEEvPT0_PS2_if,comdat
	.protected	_ZN5aiter25scaled_act_and_mul_kernelIfaTnPFfRKT_EXadL_ZNS_11silu_kernelIfEEfS3_EELi4EEEvPT0_PS2_if ; -- Begin function _ZN5aiter25scaled_act_and_mul_kernelIfaTnPFfRKT_EXadL_ZNS_11silu_kernelIfEEfS3_EELi4EEEvPT0_PS2_if
	.globl	_ZN5aiter25scaled_act_and_mul_kernelIfaTnPFfRKT_EXadL_ZNS_11silu_kernelIfEEfS3_EELi4EEEvPT0_PS2_if
	.p2align	8
	.type	_ZN5aiter25scaled_act_and_mul_kernelIfaTnPFfRKT_EXadL_ZNS_11silu_kernelIfEEfS3_EELi4EEEvPT0_PS2_if,@function
_ZN5aiter25scaled_act_and_mul_kernelIfaTnPFfRKT_EXadL_ZNS_11silu_kernelIfEEfS3_EELi4EEEvPT0_PS2_if: ; @_ZN5aiter25scaled_act_and_mul_kernelIfaTnPFfRKT_EXadL_ZNS_11silu_kernelIfEEfS3_EELi4EEEvPT0_PS2_if
; %bb.0:
	s_load_dwordx2 s[4:5], s[0:1], 0x10
	v_lshlrev_b32_e32 v8, 2, v0
	s_waitcnt lgkmcnt(0)
	v_cmp_gt_i32_e32 vcc, s4, v8
	s_and_saveexec_b64 s[6:7], vcc
	s_cbranch_execz .LBB494_3
; %bb.1:
	s_load_dwordx4 s[16:19], s[0:1], 0x0
	s_ashr_i32 s7, s4, 31
	s_mul_hi_u32 s3, s4, s2
	s_mul_i32 s8, s7, s2
	s_add_i32 s3, s3, s8
	s_mul_i32 s2, s4, s2
	s_lshl_b64 s[8:9], s[2:3], 3
	s_mov_b32 s6, s4
	s_waitcnt lgkmcnt(0)
	s_add_u32 s8, s18, s8
	s_addc_u32 s9, s19, s9
	s_lshl_b64 s[10:11], s[6:7], 2
	s_add_u32 s12, s8, s10
	s_addc_u32 s13, s9, s11
	s_lshl_b32 s10, s4, 2
	s_and_b32 s9, s9, 0xffff
	s_and_b32 s13, s13, 0xffff
	s_add_u32 s16, s16, s2
	s_addc_u32 s2, s17, s3
	s_add_i32 s3, s4, 3
	s_ashr_i32 s4, s3, 31
	s_lshr_b32 s4, s4, 30
	s_add_i32 s3, s3, s4
	s_and_b32 s18, s3, -4
	s_and_b32 s17, s2, 0xffff
	s_mov_b32 s11, 0x20000
	s_mov_b32 s4, s5
	s_add_u32 s20, s0, 24
	s_mov_b32 s19, s11
	v_mov_b32_e32 v9, 0
	s_addc_u32 s21, s1, 0
	s_mov_b64 s[22:23], 0
	s_mov_b32 s25, 0
	s_mov_b32 s26, 0xbfb8aa3b
	;; [unrolled: 1-line block ×4, first 2 shown]
	v_mov_b32_e32 v12, 0x7f800000
	v_mov_b64_e32 v[10:11], s[4:5]
	s_mov_b32 s14, s10
	s_mov_b32 s15, s11
.LBB494_2:                              ; =>This Inner Loop Header: Depth=1
	v_lshlrev_b32_e32 v13, 2, v8
	buffer_load_dwordx4 v[4:7], v13, s[8:11], 0 offen sc0 nt
	buffer_load_dwordx4 v[0:3], v13, s[12:15], 0 offen sc0 nt
	s_waitcnt vmcnt(1)
	v_mul_f32_e32 v13, 0xbfb8aa3b, v4
	v_mul_f32_e32 v14, 0xbfb8aa3b, v5
	;; [unrolled: 1-line block ×4, first 2 shown]
	v_fma_f32 v17, v4, s26, -v13
	v_rndne_f32_e32 v18, v13
	v_fma_f32 v19, v5, s26, -v14
	v_rndne_f32_e32 v20, v14
	;; [unrolled: 2-line block ×4, first 2 shown]
	v_fmac_f32_e32 v17, 0xb2a5705f, v4
	v_sub_f32_e32 v13, v13, v18
	v_fmac_f32_e32 v19, 0xb2a5705f, v5
	v_sub_f32_e32 v14, v14, v20
	;; [unrolled: 2-line block ×4, first 2 shown]
	v_add_f32_e32 v13, v13, v17
	v_add_f32_e32 v14, v14, v19
	;; [unrolled: 1-line block ×4, first 2 shown]
	v_cvt_i32_f32_e32 v18, v18
	v_cvt_i32_f32_e32 v20, v20
	;; [unrolled: 1-line block ×4, first 2 shown]
	v_exp_f32_e32 v13, v13
	v_exp_f32_e32 v14, v14
	;; [unrolled: 1-line block ×4, first 2 shown]
	v_ldexp_f32 v13, v13, v18
	v_ldexp_f32 v14, v14, v20
	v_cmp_nlt_f32_e32 vcc, s27, v5
	v_ldexp_f32 v15, v15, v22
	v_cmp_nlt_f32_e64 s[0:1], s27, v6
	v_ldexp_f32 v16, v16, v24
	v_cmp_nlt_f32_e64 s[2:3], s27, v7
	v_cmp_nlt_f32_e64 s[4:5], s27, v4
	v_cndmask_b32_e32 v14, 0, v14, vcc
	v_cmp_ngt_f32_e32 vcc, s28, v5
	v_cndmask_b32_e64 v13, 0, v13, s[4:5]
	v_cndmask_b32_e64 v15, 0, v15, s[0:1]
	v_cmp_ngt_f32_e64 s[0:1], s28, v6
	v_cndmask_b32_e64 v16, 0, v16, s[2:3]
	v_cmp_ngt_f32_e64 s[2:3], s28, v7
	v_cmp_ngt_f32_e64 s[4:5], s28, v4
	v_cndmask_b32_e32 v14, v12, v14, vcc
	v_cndmask_b32_e64 v15, v12, v15, s[0:1]
	v_cndmask_b32_e64 v13, v12, v13, s[4:5]
	;; [unrolled: 1-line block ×3, first 2 shown]
	v_add_f32_e32 v13, 1.0, v13
	v_add_f32_e32 v17, 1.0, v14
	;; [unrolled: 1-line block ×4, first 2 shown]
	v_rcp_f32_e32 v14, v13
	v_rcp_f32_e32 v15, v17
	;; [unrolled: 1-line block ×4, first 2 shown]
	v_pk_mul_f32 v[4:5], v[4:5], v[14:15]
	s_waitcnt vmcnt(0)
	;;#ASMSTART
	v_pk_mul_f32 v[0:1], v[4:5], v[0:1]
	v_pk_mul_f32 v[0:1], v[0:1], v[10:11]
	;;#ASMEND
	v_pk_mul_f32 v[6:7], v[6:7], v[16:17]
	v_cvt_i32_f32_e32 v0, v0
	;;#ASMSTART
	v_pk_mul_f32 v[2:3], v[6:7], v[2:3]
	v_pk_mul_f32 v[2:3], v[2:3], v[10:11]
	;;#ASMEND
	s_load_dword s0, s[20:21], 0xc
	v_cvt_i32_f32_sdwa v1, v1 dst_sel:BYTE_1 dst_unused:UNUSED_PAD src0_sel:DWORD
	v_cvt_i32_f32_e32 v2, v2
	v_cvt_i32_f32_sdwa v3, v3 dst_sel:BYTE_1 dst_unused:UNUSED_PAD src0_sel:DWORD
	v_or_b32_sdwa v0, v0, v1 dst_sel:DWORD dst_unused:UNUSED_PAD src0_sel:BYTE_0 src1_sel:DWORD
	s_waitcnt lgkmcnt(0)
	s_and_b32 s0, s0, 0xffff
	v_or_b32_sdwa v1, v2, v3 dst_sel:WORD_1 dst_unused:UNUSED_PAD src0_sel:BYTE_0 src1_sel:DWORD
	s_lshl_b32 s24, s0, 2
	v_or_b32_sdwa v0, v0, v1 dst_sel:DWORD dst_unused:UNUSED_PAD src0_sel:WORD_0 src1_sel:DWORD
	buffer_store_dword v0, v8, s[16:19], 0 offen
	v_lshl_add_u64 v[8:9], s[24:25], 0, v[8:9]
	v_cmp_le_i64_e32 vcc, s[6:7], v[8:9]
	s_or_b64 s[22:23], vcc, s[22:23]
	s_andn2_b64 exec, exec, s[22:23]
	s_cbranch_execnz .LBB494_2
.LBB494_3:
	s_endpgm
	.section	.rodata,"a",@progbits
	.p2align	6, 0x0
	.amdhsa_kernel _ZN5aiter25scaled_act_and_mul_kernelIfaTnPFfRKT_EXadL_ZNS_11silu_kernelIfEEfS3_EELi4EEEvPT0_PS2_if
		.amdhsa_group_segment_fixed_size 0
		.amdhsa_private_segment_fixed_size 0
		.amdhsa_kernarg_size 280
		.amdhsa_user_sgpr_count 2
		.amdhsa_user_sgpr_dispatch_ptr 0
		.amdhsa_user_sgpr_queue_ptr 0
		.amdhsa_user_sgpr_kernarg_segment_ptr 1
		.amdhsa_user_sgpr_dispatch_id 0
		.amdhsa_user_sgpr_kernarg_preload_length 0
		.amdhsa_user_sgpr_kernarg_preload_offset 0
		.amdhsa_user_sgpr_private_segment_size 0
		.amdhsa_uses_dynamic_stack 0
		.amdhsa_enable_private_segment 0
		.amdhsa_system_sgpr_workgroup_id_x 1
		.amdhsa_system_sgpr_workgroup_id_y 0
		.amdhsa_system_sgpr_workgroup_id_z 0
		.amdhsa_system_sgpr_workgroup_info 0
		.amdhsa_system_vgpr_workitem_id 0
		.amdhsa_next_free_vgpr 25
		.amdhsa_next_free_sgpr 29
		.amdhsa_accum_offset 28
		.amdhsa_reserve_vcc 1
		.amdhsa_float_round_mode_32 0
		.amdhsa_float_round_mode_16_64 0
		.amdhsa_float_denorm_mode_32 3
		.amdhsa_float_denorm_mode_16_64 3
		.amdhsa_dx10_clamp 1
		.amdhsa_ieee_mode 1
		.amdhsa_fp16_overflow 0
		.amdhsa_tg_split 0
		.amdhsa_exception_fp_ieee_invalid_op 0
		.amdhsa_exception_fp_denorm_src 0
		.amdhsa_exception_fp_ieee_div_zero 0
		.amdhsa_exception_fp_ieee_overflow 0
		.amdhsa_exception_fp_ieee_underflow 0
		.amdhsa_exception_fp_ieee_inexact 0
		.amdhsa_exception_int_div_zero 0
	.end_amdhsa_kernel
	.section	.text._ZN5aiter25scaled_act_and_mul_kernelIfaTnPFfRKT_EXadL_ZNS_11silu_kernelIfEEfS3_EELi4EEEvPT0_PS2_if,"axG",@progbits,_ZN5aiter25scaled_act_and_mul_kernelIfaTnPFfRKT_EXadL_ZNS_11silu_kernelIfEEfS3_EELi4EEEvPT0_PS2_if,comdat
.Lfunc_end494:
	.size	_ZN5aiter25scaled_act_and_mul_kernelIfaTnPFfRKT_EXadL_ZNS_11silu_kernelIfEEfS3_EELi4EEEvPT0_PS2_if, .Lfunc_end494-_ZN5aiter25scaled_act_and_mul_kernelIfaTnPFfRKT_EXadL_ZNS_11silu_kernelIfEEfS3_EELi4EEEvPT0_PS2_if
                                        ; -- End function
	.section	.AMDGPU.csdata,"",@progbits
; Kernel info:
; codeLenInByte = 760
; NumSgprs: 35
; NumVgprs: 25
; NumAgprs: 0
; TotalNumVgprs: 25
; ScratchSize: 0
; MemoryBound: 0
; FloatMode: 240
; IeeeMode: 1
; LDSByteSize: 0 bytes/workgroup (compile time only)
; SGPRBlocks: 4
; VGPRBlocks: 3
; NumSGPRsForWavesPerEU: 35
; NumVGPRsForWavesPerEU: 25
; AccumOffset: 28
; Occupancy: 8
; WaveLimiterHint : 0
; COMPUTE_PGM_RSRC2:SCRATCH_EN: 0
; COMPUTE_PGM_RSRC2:USER_SGPR: 2
; COMPUTE_PGM_RSRC2:TRAP_HANDLER: 0
; COMPUTE_PGM_RSRC2:TGID_X_EN: 1
; COMPUTE_PGM_RSRC2:TGID_Y_EN: 0
; COMPUTE_PGM_RSRC2:TGID_Z_EN: 0
; COMPUTE_PGM_RSRC2:TIDIG_COMP_CNT: 0
; COMPUTE_PGM_RSRC3_GFX90A:ACCUM_OFFSET: 6
; COMPUTE_PGM_RSRC3_GFX90A:TG_SPLIT: 0
	.section	.text._ZN5aiter25scaled_act_and_mul_kernelIfaTnPFfRKT_EXadL_ZNS_11silu_kernelIfEEfS3_EELi2EEEvPT0_PS2_if,"axG",@progbits,_ZN5aiter25scaled_act_and_mul_kernelIfaTnPFfRKT_EXadL_ZNS_11silu_kernelIfEEfS3_EELi2EEEvPT0_PS2_if,comdat
	.protected	_ZN5aiter25scaled_act_and_mul_kernelIfaTnPFfRKT_EXadL_ZNS_11silu_kernelIfEEfS3_EELi2EEEvPT0_PS2_if ; -- Begin function _ZN5aiter25scaled_act_and_mul_kernelIfaTnPFfRKT_EXadL_ZNS_11silu_kernelIfEEfS3_EELi2EEEvPT0_PS2_if
	.globl	_ZN5aiter25scaled_act_and_mul_kernelIfaTnPFfRKT_EXadL_ZNS_11silu_kernelIfEEfS3_EELi2EEEvPT0_PS2_if
	.p2align	8
	.type	_ZN5aiter25scaled_act_and_mul_kernelIfaTnPFfRKT_EXadL_ZNS_11silu_kernelIfEEfS3_EELi2EEEvPT0_PS2_if,@function
_ZN5aiter25scaled_act_and_mul_kernelIfaTnPFfRKT_EXadL_ZNS_11silu_kernelIfEEfS3_EELi2EEEvPT0_PS2_if: ; @_ZN5aiter25scaled_act_and_mul_kernelIfaTnPFfRKT_EXadL_ZNS_11silu_kernelIfEEfS3_EELi2EEEvPT0_PS2_if
; %bb.0:
	s_load_dwordx2 s[10:11], s[0:1], 0x10
	v_lshlrev_b32_e32 v0, 1, v0
	s_waitcnt lgkmcnt(0)
	v_cmp_gt_i32_e32 vcc, s10, v0
	s_and_saveexec_b64 s[4:5], vcc
	s_cbranch_execz .LBB495_3
; %bb.1:
	s_load_dwordx4 s[12:15], s[0:1], 0x0
	s_ashr_i32 s17, s10, 31
	s_mul_hi_u32 s3, s10, s2
	s_mul_i32 s4, s17, s2
	s_add_i32 s3, s3, s4
	s_mul_i32 s2, s10, s2
	s_lshl_b64 s[4:5], s[2:3], 3
	s_mov_b32 s16, s10
	s_waitcnt lgkmcnt(0)
	s_add_u32 s4, s14, s4
	s_addc_u32 s5, s15, s5
	s_lshl_b64 s[6:7], s[16:17], 2
	s_add_u32 s8, s4, s6
	s_addc_u32 s9, s5, s7
	s_lshl_b32 s6, s10, 2
	s_and_b32 s5, s5, 0xffff
	s_and_b32 s9, s9, 0xffff
	s_add_u32 s12, s12, s2
	s_addc_u32 s2, s13, s3
	s_add_i32 s3, s10, 3
	s_ashr_i32 s10, s3, 31
	s_lshr_b32 s10, s10, 30
	s_add_i32 s3, s3, s10
	s_and_b32 s14, s3, -4
	s_and_b32 s13, s2, 0xffff
	s_mov_b32 s7, 0x20000
	s_mov_b32 s10, s11
	s_add_u32 s2, s0, 24
	s_mov_b32 s15, s7
	v_mov_b32_e32 v1, 0
	s_addc_u32 s3, s1, 0
	s_mov_b64 s[18:19], 0
	s_mov_b32 s21, 0
	s_mov_b32 s22, 0xbfb8aa3b
	;; [unrolled: 1-line block ×4, first 2 shown]
	v_mov_b32_e32 v4, 0x7f800000
	v_mov_b64_e32 v[2:3], s[10:11]
	s_mov_b32 s10, s6
	s_mov_b32 s11, s7
.LBB495_2:                              ; =>This Inner Loop Header: Depth=1
	v_lshlrev_b32_e32 v5, 2, v0
	buffer_load_dwordx2 v[6:7], v5, s[4:7], 0 offen sc0 nt
	buffer_load_dwordx2 v[8:9], v5, s[8:11], 0 offen sc0 nt
	s_waitcnt vmcnt(1)
	v_mul_f32_e32 v5, 0xbfb8aa3b, v7
	v_mul_f32_e32 v10, 0xbfb8aa3b, v6
	v_fma_f32 v11, v7, s22, -v5
	v_rndne_f32_e32 v12, v5
	v_fma_f32 v13, v6, s22, -v10
	v_rndne_f32_e32 v14, v10
	v_fmac_f32_e32 v11, 0xb2a5705f, v7
	v_sub_f32_e32 v5, v5, v12
	v_fmac_f32_e32 v13, 0xb2a5705f, v6
	v_sub_f32_e32 v10, v10, v14
	v_add_f32_e32 v5, v5, v11
	v_add_f32_e32 v10, v10, v13
	v_cvt_i32_f32_e32 v12, v12
	v_cvt_i32_f32_e32 v14, v14
	v_exp_f32_e32 v5, v5
	v_exp_f32_e32 v10, v10
	v_cmp_nlt_f32_e32 vcc, s23, v6
	v_cmp_nlt_f32_e64 s[0:1], s23, v7
	v_ldexp_f32 v5, v5, v12
	v_ldexp_f32 v10, v10, v14
	v_cndmask_b32_e64 v5, 0, v5, s[0:1]
	v_cndmask_b32_e32 v10, 0, v10, vcc
	v_cmp_ngt_f32_e32 vcc, s24, v6
	v_cmp_ngt_f32_e64 s[0:1], s24, v7
	s_nop 0
	v_cndmask_b32_e32 v10, v4, v10, vcc
	v_cndmask_b32_e64 v5, v4, v5, s[0:1]
	v_add_f32_e32 v5, 1.0, v5
	v_add_f32_e32 v10, 1.0, v10
	v_rcp_f32_e32 v11, v5
	v_rcp_f32_e32 v10, v10
	s_nop 0
	v_pk_mul_f32 v[6:7], v[10:11], v[6:7]
	s_waitcnt vmcnt(0)
	;;#ASMSTART
	v_pk_mul_f32 v[6:7], v[6:7], v[8:9]
	v_pk_mul_f32 v[6:7], v[6:7], v[2:3]
	;;#ASMEND
	s_load_dword s0, s[2:3], 0xc
	v_cvt_i32_f32_e32 v5, v6
	v_cvt_i32_f32_sdwa v6, v7 dst_sel:BYTE_1 dst_unused:UNUSED_PAD src0_sel:DWORD
	s_waitcnt lgkmcnt(0)
	s_and_b32 s0, s0, 0xffff
	v_or_b32_sdwa v5, v5, v6 dst_sel:DWORD dst_unused:UNUSED_PAD src0_sel:BYTE_0 src1_sel:DWORD
	s_lshl_b32 s20, s0, 1
	buffer_store_short v5, v0, s[12:15], 0 offen
	v_lshl_add_u64 v[0:1], s[20:21], 0, v[0:1]
	v_cmp_le_i64_e32 vcc, s[16:17], v[0:1]
	s_or_b64 s[18:19], vcc, s[18:19]
	s_andn2_b64 exec, exec, s[18:19]
	s_cbranch_execnz .LBB495_2
.LBB495_3:
	s_endpgm
	.section	.rodata,"a",@progbits
	.p2align	6, 0x0
	.amdhsa_kernel _ZN5aiter25scaled_act_and_mul_kernelIfaTnPFfRKT_EXadL_ZNS_11silu_kernelIfEEfS3_EELi2EEEvPT0_PS2_if
		.amdhsa_group_segment_fixed_size 0
		.amdhsa_private_segment_fixed_size 0
		.amdhsa_kernarg_size 280
		.amdhsa_user_sgpr_count 2
		.amdhsa_user_sgpr_dispatch_ptr 0
		.amdhsa_user_sgpr_queue_ptr 0
		.amdhsa_user_sgpr_kernarg_segment_ptr 1
		.amdhsa_user_sgpr_dispatch_id 0
		.amdhsa_user_sgpr_kernarg_preload_length 0
		.amdhsa_user_sgpr_kernarg_preload_offset 0
		.amdhsa_user_sgpr_private_segment_size 0
		.amdhsa_uses_dynamic_stack 0
		.amdhsa_enable_private_segment 0
		.amdhsa_system_sgpr_workgroup_id_x 1
		.amdhsa_system_sgpr_workgroup_id_y 0
		.amdhsa_system_sgpr_workgroup_id_z 0
		.amdhsa_system_sgpr_workgroup_info 0
		.amdhsa_system_vgpr_workitem_id 0
		.amdhsa_next_free_vgpr 15
		.amdhsa_next_free_sgpr 25
		.amdhsa_accum_offset 16
		.amdhsa_reserve_vcc 1
		.amdhsa_float_round_mode_32 0
		.amdhsa_float_round_mode_16_64 0
		.amdhsa_float_denorm_mode_32 3
		.amdhsa_float_denorm_mode_16_64 3
		.amdhsa_dx10_clamp 1
		.amdhsa_ieee_mode 1
		.amdhsa_fp16_overflow 0
		.amdhsa_tg_split 0
		.amdhsa_exception_fp_ieee_invalid_op 0
		.amdhsa_exception_fp_denorm_src 0
		.amdhsa_exception_fp_ieee_div_zero 0
		.amdhsa_exception_fp_ieee_overflow 0
		.amdhsa_exception_fp_ieee_underflow 0
		.amdhsa_exception_fp_ieee_inexact 0
		.amdhsa_exception_int_div_zero 0
	.end_amdhsa_kernel
	.section	.text._ZN5aiter25scaled_act_and_mul_kernelIfaTnPFfRKT_EXadL_ZNS_11silu_kernelIfEEfS3_EELi2EEEvPT0_PS2_if,"axG",@progbits,_ZN5aiter25scaled_act_and_mul_kernelIfaTnPFfRKT_EXadL_ZNS_11silu_kernelIfEEfS3_EELi2EEEvPT0_PS2_if,comdat
.Lfunc_end495:
	.size	_ZN5aiter25scaled_act_and_mul_kernelIfaTnPFfRKT_EXadL_ZNS_11silu_kernelIfEEfS3_EELi2EEEvPT0_PS2_if, .Lfunc_end495-_ZN5aiter25scaled_act_and_mul_kernelIfaTnPFfRKT_EXadL_ZNS_11silu_kernelIfEEfS3_EELi2EEEvPT0_PS2_if
                                        ; -- End function
	.section	.AMDGPU.csdata,"",@progbits
; Kernel info:
; codeLenInByte = 532
; NumSgprs: 31
; NumVgprs: 15
; NumAgprs: 0
; TotalNumVgprs: 15
; ScratchSize: 0
; MemoryBound: 0
; FloatMode: 240
; IeeeMode: 1
; LDSByteSize: 0 bytes/workgroup (compile time only)
; SGPRBlocks: 3
; VGPRBlocks: 1
; NumSGPRsForWavesPerEU: 31
; NumVGPRsForWavesPerEU: 15
; AccumOffset: 16
; Occupancy: 8
; WaveLimiterHint : 0
; COMPUTE_PGM_RSRC2:SCRATCH_EN: 0
; COMPUTE_PGM_RSRC2:USER_SGPR: 2
; COMPUTE_PGM_RSRC2:TRAP_HANDLER: 0
; COMPUTE_PGM_RSRC2:TGID_X_EN: 1
; COMPUTE_PGM_RSRC2:TGID_Y_EN: 0
; COMPUTE_PGM_RSRC2:TGID_Z_EN: 0
; COMPUTE_PGM_RSRC2:TIDIG_COMP_CNT: 0
; COMPUTE_PGM_RSRC3_GFX90A:ACCUM_OFFSET: 3
; COMPUTE_PGM_RSRC3_GFX90A:TG_SPLIT: 0
	.section	.text._ZN5aiter25scaled_act_and_mul_kernelIfaTnPFfRKT_EXadL_ZNS_11silu_kernelIfEEfS3_EELi1EEEvPT0_PS2_if,"axG",@progbits,_ZN5aiter25scaled_act_and_mul_kernelIfaTnPFfRKT_EXadL_ZNS_11silu_kernelIfEEfS3_EELi1EEEvPT0_PS2_if,comdat
	.protected	_ZN5aiter25scaled_act_and_mul_kernelIfaTnPFfRKT_EXadL_ZNS_11silu_kernelIfEEfS3_EELi1EEEvPT0_PS2_if ; -- Begin function _ZN5aiter25scaled_act_and_mul_kernelIfaTnPFfRKT_EXadL_ZNS_11silu_kernelIfEEfS3_EELi1EEEvPT0_PS2_if
	.globl	_ZN5aiter25scaled_act_and_mul_kernelIfaTnPFfRKT_EXadL_ZNS_11silu_kernelIfEEfS3_EELi1EEEvPT0_PS2_if
	.p2align	8
	.type	_ZN5aiter25scaled_act_and_mul_kernelIfaTnPFfRKT_EXadL_ZNS_11silu_kernelIfEEfS3_EELi1EEEvPT0_PS2_if,@function
_ZN5aiter25scaled_act_and_mul_kernelIfaTnPFfRKT_EXadL_ZNS_11silu_kernelIfEEfS3_EELi1EEEvPT0_PS2_if: ; @_ZN5aiter25scaled_act_and_mul_kernelIfaTnPFfRKT_EXadL_ZNS_11silu_kernelIfEEfS3_EELi1EEEvPT0_PS2_if
; %bb.0:
	s_load_dwordx2 s[12:13], s[0:1], 0x10
	s_waitcnt lgkmcnt(0)
	v_cmp_gt_i32_e32 vcc, s12, v0
	s_and_saveexec_b64 s[4:5], vcc
	s_cbranch_execz .LBB496_3
; %bb.1:
	s_load_dwordx4 s[8:11], s[0:1], 0x0
	s_load_dword s16, s[0:1], 0x24
	s_ashr_i32 s15, s12, 31
	s_mul_hi_u32 s3, s12, s2
	s_mul_i32 s4, s15, s2
	s_add_i32 s7, s3, s4
	s_mul_i32 s6, s12, s2
	s_lshl_b64 s[2:3], s[6:7], 3
	s_mov_b32 s14, s12
	s_waitcnt lgkmcnt(0)
	s_add_u32 s0, s10, s2
	s_addc_u32 s1, s11, s3
	s_lshl_b64 s[2:3], s[14:15], 2
	s_add_u32 s4, s0, s2
	s_addc_u32 s5, s1, s3
	s_lshl_b32 s2, s12, 2
	s_and_b32 s1, s1, 0xffff
	s_and_b32 s5, s5, 0xffff
	s_add_u32 s8, s8, s6
	s_addc_u32 s6, s9, s7
	s_add_i32 s7, s12, 3
	s_ashr_i32 s9, s7, 31
	s_lshr_b32 s9, s9, 30
	s_mov_b32 s3, 0x20000
	s_add_i32 s7, s7, s9
	s_and_b32 s16, s16, 0xffff
	s_and_b32 s10, s7, -4
	s_and_b32 s9, s6, 0xffff
	s_mov_b32 s11, s3
	s_mov_b32 s17, 0
	v_mov_b32_e32 v1, 0
	v_lshlrev_b32_e32 v2, 2, v0
	s_lshl_b32 s12, s16, 2
	s_mov_b64 s[18:19], 0
	s_mov_b32 s6, s2
	s_mov_b32 s7, s3
	;; [unrolled: 1-line block ×5, first 2 shown]
	v_mov_b32_e32 v3, 0x7f800000
.LBB496_2:                              ; =>This Inner Loop Header: Depth=1
	buffer_load_dword v4, v2, s[0:3], 0 offen sc0 nt
	buffer_load_dword v5, v2, s[4:7], 0 offen sc0 nt
	v_add_u32_e32 v2, s12, v2
	s_waitcnt vmcnt(1)
	v_mul_f32_e32 v6, 0xbfb8aa3b, v4
	v_fma_f32 v7, v4, s20, -v6
	v_rndne_f32_e32 v8, v6
	v_fmac_f32_e32 v7, 0xb2a5705f, v4
	v_sub_f32_e32 v6, v6, v8
	v_add_f32_e32 v6, v6, v7
	v_cvt_i32_f32_e32 v8, v8
	v_exp_f32_e32 v6, v6
	v_cmp_nlt_f32_e32 vcc, s21, v4
	v_ldexp_f32 v6, v6, v8
	s_nop 0
	v_cndmask_b32_e32 v6, 0, v6, vcc
	v_cmp_ngt_f32_e32 vcc, s22, v4
	s_nop 1
	v_cndmask_b32_e32 v6, v3, v6, vcc
	v_add_f32_e32 v6, 1.0, v6
	v_rcp_f32_e32 v6, v6
	s_nop 0
	v_mul_f32_e32 v4, v6, v4
	s_waitcnt vmcnt(0)
	v_mul_f32_e32 v4, v4, v5
	v_mul_f32_e32 v4, s13, v4
	v_cvt_i32_f32_e32 v4, v4
	buffer_store_byte v4, v0, s[8:11], 0 offen
	v_lshl_add_u64 v[0:1], v[0:1], 0, s[16:17]
	v_cmp_le_i64_e32 vcc, s[14:15], v[0:1]
	s_or_b64 s[18:19], vcc, s[18:19]
	s_andn2_b64 exec, exec, s[18:19]
	s_cbranch_execnz .LBB496_2
.LBB496_3:
	s_endpgm
	.section	.rodata,"a",@progbits
	.p2align	6, 0x0
	.amdhsa_kernel _ZN5aiter25scaled_act_and_mul_kernelIfaTnPFfRKT_EXadL_ZNS_11silu_kernelIfEEfS3_EELi1EEEvPT0_PS2_if
		.amdhsa_group_segment_fixed_size 0
		.amdhsa_private_segment_fixed_size 0
		.amdhsa_kernarg_size 280
		.amdhsa_user_sgpr_count 2
		.amdhsa_user_sgpr_dispatch_ptr 0
		.amdhsa_user_sgpr_queue_ptr 0
		.amdhsa_user_sgpr_kernarg_segment_ptr 1
		.amdhsa_user_sgpr_dispatch_id 0
		.amdhsa_user_sgpr_kernarg_preload_length 0
		.amdhsa_user_sgpr_kernarg_preload_offset 0
		.amdhsa_user_sgpr_private_segment_size 0
		.amdhsa_uses_dynamic_stack 0
		.amdhsa_enable_private_segment 0
		.amdhsa_system_sgpr_workgroup_id_x 1
		.amdhsa_system_sgpr_workgroup_id_y 0
		.amdhsa_system_sgpr_workgroup_id_z 0
		.amdhsa_system_sgpr_workgroup_info 0
		.amdhsa_system_vgpr_workitem_id 0
		.amdhsa_next_free_vgpr 9
		.amdhsa_next_free_sgpr 23
		.amdhsa_accum_offset 12
		.amdhsa_reserve_vcc 1
		.amdhsa_float_round_mode_32 0
		.amdhsa_float_round_mode_16_64 0
		.amdhsa_float_denorm_mode_32 3
		.amdhsa_float_denorm_mode_16_64 3
		.amdhsa_dx10_clamp 1
		.amdhsa_ieee_mode 1
		.amdhsa_fp16_overflow 0
		.amdhsa_tg_split 0
		.amdhsa_exception_fp_ieee_invalid_op 0
		.amdhsa_exception_fp_denorm_src 0
		.amdhsa_exception_fp_ieee_div_zero 0
		.amdhsa_exception_fp_ieee_overflow 0
		.amdhsa_exception_fp_ieee_underflow 0
		.amdhsa_exception_fp_ieee_inexact 0
		.amdhsa_exception_int_div_zero 0
	.end_amdhsa_kernel
	.section	.text._ZN5aiter25scaled_act_and_mul_kernelIfaTnPFfRKT_EXadL_ZNS_11silu_kernelIfEEfS3_EELi1EEEvPT0_PS2_if,"axG",@progbits,_ZN5aiter25scaled_act_and_mul_kernelIfaTnPFfRKT_EXadL_ZNS_11silu_kernelIfEEfS3_EELi1EEEvPT0_PS2_if,comdat
.Lfunc_end496:
	.size	_ZN5aiter25scaled_act_and_mul_kernelIfaTnPFfRKT_EXadL_ZNS_11silu_kernelIfEEfS3_EELi1EEEvPT0_PS2_if, .Lfunc_end496-_ZN5aiter25scaled_act_and_mul_kernelIfaTnPFfRKT_EXadL_ZNS_11silu_kernelIfEEfS3_EELi1EEEvPT0_PS2_if
                                        ; -- End function
	.section	.AMDGPU.csdata,"",@progbits
; Kernel info:
; codeLenInByte = 396
; NumSgprs: 29
; NumVgprs: 9
; NumAgprs: 0
; TotalNumVgprs: 9
; ScratchSize: 0
; MemoryBound: 0
; FloatMode: 240
; IeeeMode: 1
; LDSByteSize: 0 bytes/workgroup (compile time only)
; SGPRBlocks: 3
; VGPRBlocks: 1
; NumSGPRsForWavesPerEU: 29
; NumVGPRsForWavesPerEU: 9
; AccumOffset: 12
; Occupancy: 8
; WaveLimiterHint : 0
; COMPUTE_PGM_RSRC2:SCRATCH_EN: 0
; COMPUTE_PGM_RSRC2:USER_SGPR: 2
; COMPUTE_PGM_RSRC2:TRAP_HANDLER: 0
; COMPUTE_PGM_RSRC2:TGID_X_EN: 1
; COMPUTE_PGM_RSRC2:TGID_Y_EN: 0
; COMPUTE_PGM_RSRC2:TGID_Z_EN: 0
; COMPUTE_PGM_RSRC2:TIDIG_COMP_CNT: 0
; COMPUTE_PGM_RSRC3_GFX90A:ACCUM_OFFSET: 2
; COMPUTE_PGM_RSRC3_GFX90A:TG_SPLIT: 0
	.section	.text._ZN5aiter25scaled_act_and_mul_kernelIDF16_DB8_TnPFfRKT_EXadL_ZNS_11silu_kernelIDF16_EEfS4_EELi16EEEvPT0_PS3_if,"axG",@progbits,_ZN5aiter25scaled_act_and_mul_kernelIDF16_DB8_TnPFfRKT_EXadL_ZNS_11silu_kernelIDF16_EEfS4_EELi16EEEvPT0_PS3_if,comdat
	.protected	_ZN5aiter25scaled_act_and_mul_kernelIDF16_DB8_TnPFfRKT_EXadL_ZNS_11silu_kernelIDF16_EEfS4_EELi16EEEvPT0_PS3_if ; -- Begin function _ZN5aiter25scaled_act_and_mul_kernelIDF16_DB8_TnPFfRKT_EXadL_ZNS_11silu_kernelIDF16_EEfS4_EELi16EEEvPT0_PS3_if
	.globl	_ZN5aiter25scaled_act_and_mul_kernelIDF16_DB8_TnPFfRKT_EXadL_ZNS_11silu_kernelIDF16_EEfS4_EELi16EEEvPT0_PS3_if
	.p2align	8
	.type	_ZN5aiter25scaled_act_and_mul_kernelIDF16_DB8_TnPFfRKT_EXadL_ZNS_11silu_kernelIDF16_EEfS4_EELi16EEEvPT0_PS3_if,@function
_ZN5aiter25scaled_act_and_mul_kernelIDF16_DB8_TnPFfRKT_EXadL_ZNS_11silu_kernelIDF16_EEfS4_EELi16EEEvPT0_PS3_if: ; @_ZN5aiter25scaled_act_and_mul_kernelIDF16_DB8_TnPFfRKT_EXadL_ZNS_11silu_kernelIDF16_EEfS4_EELi16EEEvPT0_PS3_if
; %bb.0:
	s_load_dwordx2 s[10:11], s[0:1], 0x10
	v_lshlrev_b32_e32 v16, 4, v0
	s_waitcnt lgkmcnt(0)
	v_cmp_gt_i32_e32 vcc, s10, v16
	s_and_saveexec_b64 s[4:5], vcc
	s_cbranch_execz .LBB497_3
; %bb.1:
	s_load_dwordx4 s[12:15], s[0:1], 0x0
	s_ashr_i32 s17, s10, 31
	s_mul_hi_u32 s3, s10, s2
	s_mul_i32 s4, s17, s2
	s_add_i32 s3, s3, s4
	s_mul_i32 s2, s10, s2
	s_lshl_b64 s[4:5], s[2:3], 2
	s_mov_b32 s16, s10
	s_waitcnt lgkmcnt(0)
	s_add_u32 s4, s14, s4
	s_addc_u32 s5, s15, s5
	s_lshl_b64 s[6:7], s[16:17], 1
	s_add_u32 s8, s4, s6
	s_addc_u32 s9, s5, s7
	s_add_i32 s6, s10, 1
	s_lshr_b32 s7, s6, 31
	s_add_i32 s6, s6, s7
	s_lshl_b32 s6, s6, 1
	s_and_b32 s6, s6, -4
	s_and_b32 s5, s5, 0xffff
	s_and_b32 s9, s9, 0xffff
	s_add_u32 s12, s12, s2
	s_addc_u32 s2, s13, s3
	s_add_i32 s3, s10, 3
	s_ashr_i32 s10, s3, 31
	s_lshr_b32 s10, s10, 30
	s_add_i32 s3, s3, s10
	s_and_b32 s14, s3, -4
	s_and_b32 s13, s2, 0xffff
	s_mov_b32 s7, 0x20000
	s_mov_b32 s10, s11
	s_add_u32 s0, s0, 24
	s_mov_b32 s15, s7
	v_mov_b32_e32 v17, 0
	s_addc_u32 s1, s1, 0
	s_mov_b64 s[2:3], 0
	s_mov_b32 s19, 0
	s_mov_b32 s20, 0xbfb8aa3b
	;; [unrolled: 1-line block ×5, first 2 shown]
	v_mov_b32_e32 v20, 0x7f800000
	v_mov_b64_e32 v[18:19], s[10:11]
	s_mov_b32 s10, s6
	s_mov_b32 s11, s7
.LBB497_2:                              ; =>This Inner Loop Header: Depth=1
	v_lshlrev_b32_e32 v21, 1, v16
	buffer_load_dwordx4 v[12:15], v21, s[4:7], 0 offen sc0 nt
	buffer_load_dwordx4 v[4:7], v21, s[4:7], 16 offen sc0 nt
	buffer_load_dwordx4 v[8:11], v21, s[8:11], 0 offen sc0 nt
	buffer_load_dwordx4 v[0:3], v21, s[8:11], 16 offen sc0 nt
	s_waitcnt vmcnt(3)
	v_cvt_f32_f16_e32 v22, v12
	v_cvt_f32_f16_sdwa v23, v12 dst_sel:DWORD dst_unused:UNUSED_PAD src0_sel:WORD_1
	v_mul_f32_e32 v21, 0xbfb8aa3b, v22
	v_fma_mix_f32 v24, v12, s20, -v21 op_sel_hi:[1,0,0]
	v_rndne_f32_e32 v25, v21
	v_fma_mix_f32 v24, v12, s21, v24 op_sel_hi:[1,0,0]
	v_sub_f32_e32 v21, v21, v25
	v_add_f32_e32 v21, v21, v24
	v_exp_f32_e32 v21, v21
	v_cvt_i32_f32_e32 v24, v25
	v_cmp_nlt_f32_e32 vcc, s22, v22
	v_ldexp_f32 v21, v21, v24
	s_nop 0
	v_cndmask_b32_e32 v21, 0, v21, vcc
	v_cmp_ngt_f32_e32 vcc, s23, v22
	s_nop 1
	v_cndmask_b32_e32 v21, v20, v21, vcc
	v_add_f32_e32 v21, 1.0, v21
	v_rcp_f32_e32 v24, v21
	v_mul_f32_e32 v21, 0xbfb8aa3b, v23
	v_fma_mix_f32 v25, v12, s20, -v21 op_sel:[1,0,0] op_sel_hi:[1,0,0]
	v_cmp_nlt_f32_e32 vcc, s22, v23
	v_fma_mix_f32 v12, v12, s21, v25 op_sel:[1,0,0] op_sel_hi:[1,0,0]
	v_rndne_f32_e32 v25, v21
	v_sub_f32_e32 v21, v21, v25
	v_add_f32_e32 v12, v21, v12
	v_exp_f32_e32 v12, v12
	v_cvt_i32_f32_e32 v21, v25
	v_ldexp_f32 v12, v12, v21
	v_cndmask_b32_e32 v12, 0, v12, vcc
	v_cmp_ngt_f32_e32 vcc, s23, v23
	s_nop 1
	v_cndmask_b32_e32 v12, v20, v12, vcc
	v_add_f32_e32 v12, 1.0, v12
	v_rcp_f32_e32 v25, v12
	s_nop 0
	v_pk_mul_f32 v[22:23], v[24:25], v[22:23]
	s_waitcnt vmcnt(1)
	v_cvt_f32_f16_e32 v24, v8
	v_cvt_f32_f16_sdwa v25, v8 dst_sel:DWORD dst_unused:UNUSED_PAD src0_sel:WORD_1
	;;#ASMSTART
	v_pk_mul_f32 v[22:23], v[22:23], v[24:25]
	v_pk_mul_f32 v[22:23], v[22:23], v[18:19]
	;;#ASMEND
	s_nop 0
	v_cvt_pk_fp8_f32 v8, v22, 0
	v_cvt_f32_f16_e32 v22, v13
	v_cvt_pk_fp8_f32 v12, v23, 0
	v_cvt_f32_f16_sdwa v23, v13 dst_sel:DWORD dst_unused:UNUSED_PAD src0_sel:WORD_1
	v_mul_f32_e32 v21, 0xbfb8aa3b, v22
	v_fma_mix_f32 v24, v13, s20, -v21 op_sel_hi:[1,0,0]
	v_rndne_f32_e32 v25, v21
	v_fma_mix_f32 v24, v13, s21, v24 op_sel_hi:[1,0,0]
	v_sub_f32_e32 v21, v21, v25
	v_add_f32_e32 v21, v21, v24
	v_exp_f32_e32 v21, v21
	v_cvt_i32_f32_e32 v24, v25
	v_cmp_nlt_f32_e32 vcc, s22, v22
	v_ldexp_f32 v21, v21, v24
	s_nop 0
	v_cndmask_b32_e32 v21, 0, v21, vcc
	v_cmp_ngt_f32_e32 vcc, s23, v22
	s_nop 1
	v_cndmask_b32_e32 v21, v20, v21, vcc
	v_add_f32_e32 v21, 1.0, v21
	v_rcp_f32_e32 v24, v21
	v_mul_f32_e32 v21, 0xbfb8aa3b, v23
	v_fma_mix_f32 v25, v13, s20, -v21 op_sel:[1,0,0] op_sel_hi:[1,0,0]
	v_cmp_nlt_f32_e32 vcc, s22, v23
	v_fma_mix_f32 v13, v13, s21, v25 op_sel:[1,0,0] op_sel_hi:[1,0,0]
	v_rndne_f32_e32 v25, v21
	v_sub_f32_e32 v21, v21, v25
	v_add_f32_e32 v13, v21, v13
	v_exp_f32_e32 v13, v13
	v_cvt_i32_f32_e32 v21, v25
	v_ldexp_f32 v13, v13, v21
	v_cndmask_b32_e32 v13, 0, v13, vcc
	v_cmp_ngt_f32_e32 vcc, s23, v23
	s_nop 1
	v_cndmask_b32_e32 v13, v20, v13, vcc
	v_add_f32_e32 v13, 1.0, v13
	v_rcp_f32_e32 v25, v13
	s_nop 0
	v_pk_mul_f32 v[22:23], v[24:25], v[22:23]
	v_cvt_f32_f16_e32 v24, v9
	v_cvt_f32_f16_sdwa v25, v9 dst_sel:DWORD dst_unused:UNUSED_PAD src0_sel:WORD_1
	;;#ASMSTART
	v_pk_mul_f32 v[22:23], v[22:23], v[24:25]
	v_pk_mul_f32 v[22:23], v[22:23], v[18:19]
	;;#ASMEND
	s_nop 0
	v_cvt_pk_fp8_f32 v9, v22, 0
	v_cvt_f32_f16_e32 v22, v14
	v_cvt_pk_fp8_f32 v13, v23, 0
	v_cvt_f32_f16_sdwa v23, v14 dst_sel:DWORD dst_unused:UNUSED_PAD src0_sel:WORD_1
	v_mul_f32_e32 v21, 0xbfb8aa3b, v22
	v_fma_mix_f32 v24, v14, s20, -v21 op_sel_hi:[1,0,0]
	v_rndne_f32_e32 v25, v21
	v_fma_mix_f32 v24, v14, s21, v24 op_sel_hi:[1,0,0]
	v_sub_f32_e32 v21, v21, v25
	v_add_f32_e32 v21, v21, v24
	v_exp_f32_e32 v21, v21
	v_cvt_i32_f32_e32 v24, v25
	v_cmp_nlt_f32_e32 vcc, s22, v22
	v_ldexp_f32 v21, v21, v24
	s_nop 0
	v_cndmask_b32_e32 v21, 0, v21, vcc
	v_cmp_ngt_f32_e32 vcc, s23, v22
	s_nop 1
	v_cndmask_b32_e32 v21, v20, v21, vcc
	v_add_f32_e32 v21, 1.0, v21
	v_rcp_f32_e32 v24, v21
	v_mul_f32_e32 v21, 0xbfb8aa3b, v23
	v_fma_mix_f32 v25, v14, s20, -v21 op_sel:[1,0,0] op_sel_hi:[1,0,0]
	v_cmp_nlt_f32_e32 vcc, s22, v23
	v_fma_mix_f32 v14, v14, s21, v25 op_sel:[1,0,0] op_sel_hi:[1,0,0]
	v_rndne_f32_e32 v25, v21
	v_sub_f32_e32 v21, v21, v25
	v_add_f32_e32 v14, v21, v14
	v_exp_f32_e32 v14, v14
	v_cvt_i32_f32_e32 v21, v25
	v_ldexp_f32 v14, v14, v21
	v_cndmask_b32_e32 v14, 0, v14, vcc
	v_cmp_ngt_f32_e32 vcc, s23, v23
	s_nop 1
	v_cndmask_b32_e32 v14, v20, v14, vcc
	v_add_f32_e32 v14, 1.0, v14
	v_rcp_f32_e32 v25, v14
	s_nop 0
	v_pk_mul_f32 v[22:23], v[24:25], v[22:23]
	;; [unrolled: 46-line block ×4, first 2 shown]
	s_waitcnt vmcnt(0)
	v_cvt_f32_f16_e32 v24, v0
	v_cvt_f32_f16_sdwa v25, v0 dst_sel:DWORD dst_unused:UNUSED_PAD src0_sel:WORD_1
	;;#ASMSTART
	v_pk_mul_f32 v[22:23], v[22:23], v[24:25]
	v_pk_mul_f32 v[22:23], v[22:23], v[18:19]
	;;#ASMEND
	s_nop 0
	v_cvt_pk_fp8_f32 v4, v22, 0
	v_cvt_f32_f16_e32 v22, v5
	v_cvt_pk_fp8_f32 v21, v23, 0
	v_cvt_f32_f16_sdwa v23, v5 dst_sel:DWORD dst_unused:UNUSED_PAD src0_sel:WORD_1
	v_mul_f32_e32 v0, 0xbfb8aa3b, v22
	v_fma_mix_f32 v24, v5, s20, -v0 op_sel_hi:[1,0,0]
	v_rndne_f32_e32 v25, v0
	v_fma_mix_f32 v24, v5, s21, v24 op_sel_hi:[1,0,0]
	v_sub_f32_e32 v0, v0, v25
	v_add_f32_e32 v0, v0, v24
	v_exp_f32_e32 v0, v0
	v_cvt_i32_f32_e32 v24, v25
	v_cmp_nlt_f32_e32 vcc, s22, v22
	v_ldexp_f32 v0, v0, v24
	s_nop 0
	v_cndmask_b32_e32 v0, 0, v0, vcc
	v_cmp_ngt_f32_e32 vcc, s23, v22
	s_nop 1
	v_cndmask_b32_e32 v0, v20, v0, vcc
	v_add_f32_e32 v0, 1.0, v0
	v_rcp_f32_e32 v24, v0
	v_mul_f32_e32 v0, 0xbfb8aa3b, v23
	v_fma_mix_f32 v25, v5, s20, -v0 op_sel:[1,0,0] op_sel_hi:[1,0,0]
	v_cmp_nlt_f32_e32 vcc, s22, v23
	v_fma_mix_f32 v5, v5, s21, v25 op_sel:[1,0,0] op_sel_hi:[1,0,0]
	v_rndne_f32_e32 v25, v0
	v_sub_f32_e32 v0, v0, v25
	v_add_f32_e32 v0, v0, v5
	v_exp_f32_e32 v0, v0
	v_cvt_i32_f32_e32 v5, v25
	v_ldexp_f32 v0, v0, v5
	v_cndmask_b32_e32 v0, 0, v0, vcc
	v_cmp_ngt_f32_e32 vcc, s23, v23
	s_nop 1
	v_cndmask_b32_e32 v0, v20, v0, vcc
	v_add_f32_e32 v0, 1.0, v0
	v_rcp_f32_e32 v25, v0
	v_cvt_f32_f16_e32 v0, v1
	v_cvt_f32_f16_sdwa v1, v1 dst_sel:DWORD dst_unused:UNUSED_PAD src0_sel:WORD_1
	v_pk_mul_f32 v[22:23], v[24:25], v[22:23]
	s_nop 0
	;;#ASMSTART
	v_pk_mul_f32 v[0:1], v[22:23], v[0:1]
	v_pk_mul_f32 v[0:1], v[0:1], v[18:19]
	;;#ASMEND
	s_nop 0
	v_cvt_pk_fp8_f32 v5, v0, 0
	v_cvt_f32_f16_e32 v0, v6
	v_cvt_pk_fp8_f32 v22, v1, 0
	v_cvt_f32_f16_sdwa v1, v6 dst_sel:DWORD dst_unused:UNUSED_PAD src0_sel:WORD_1
	v_mul_f32_e32 v23, 0xbfb8aa3b, v0
	v_fma_mix_f32 v24, v6, s20, -v23 op_sel_hi:[1,0,0]
	v_rndne_f32_e32 v25, v23
	v_fma_mix_f32 v24, v6, s21, v24 op_sel_hi:[1,0,0]
	v_sub_f32_e32 v23, v23, v25
	v_add_f32_e32 v23, v23, v24
	v_exp_f32_e32 v23, v23
	v_cvt_i32_f32_e32 v24, v25
	v_cmp_nlt_f32_e32 vcc, s22, v0
	v_ldexp_f32 v23, v23, v24
	s_nop 0
	v_cndmask_b32_e32 v23, 0, v23, vcc
	v_cmp_ngt_f32_e32 vcc, s23, v0
	s_nop 1
	v_cndmask_b32_e32 v23, v20, v23, vcc
	v_add_f32_e32 v23, 1.0, v23
	v_rcp_f32_e32 v24, v23
	v_mul_f32_e32 v23, 0xbfb8aa3b, v1
	v_fma_mix_f32 v25, v6, s20, -v23 op_sel:[1,0,0] op_sel_hi:[1,0,0]
	v_cmp_nlt_f32_e32 vcc, s22, v1
	v_fma_mix_f32 v6, v6, s21, v25 op_sel:[1,0,0] op_sel_hi:[1,0,0]
	v_rndne_f32_e32 v25, v23
	v_sub_f32_e32 v23, v23, v25
	v_add_f32_e32 v6, v23, v6
	v_exp_f32_e32 v6, v6
	v_cvt_i32_f32_e32 v23, v25
	v_ldexp_f32 v6, v6, v23
	v_cndmask_b32_e32 v6, 0, v6, vcc
	v_cmp_ngt_f32_e32 vcc, s23, v1
	s_nop 1
	v_cndmask_b32_e32 v6, v20, v6, vcc
	v_add_f32_e32 v6, 1.0, v6
	v_rcp_f32_e32 v25, v6
	s_nop 0
	v_pk_mul_f32 v[0:1], v[24:25], v[0:1]
	v_cvt_f32_f16_e32 v24, v2
	v_cvt_f32_f16_sdwa v25, v2 dst_sel:DWORD dst_unused:UNUSED_PAD src0_sel:WORD_1
	;;#ASMSTART
	v_pk_mul_f32 v[0:1], v[0:1], v[24:25]
	v_pk_mul_f32 v[0:1], v[0:1], v[18:19]
	;;#ASMEND
	s_nop 0
	v_cvt_pk_fp8_f32 v6, v0, 0
	v_cvt_f32_f16_e32 v0, v7
	v_cvt_pk_fp8_f32 v23, v1, 0
	v_cvt_f32_f16_sdwa v1, v7 dst_sel:DWORD dst_unused:UNUSED_PAD src0_sel:WORD_1
	v_mul_f32_e32 v2, 0xbfb8aa3b, v0
	v_fma_mix_f32 v24, v7, s20, -v2 op_sel_hi:[1,0,0]
	v_rndne_f32_e32 v25, v2
	v_fma_mix_f32 v24, v7, s21, v24 op_sel_hi:[1,0,0]
	v_sub_f32_e32 v2, v2, v25
	v_add_f32_e32 v2, v2, v24
	v_exp_f32_e32 v2, v2
	v_cvt_i32_f32_e32 v24, v25
	v_cmp_nlt_f32_e32 vcc, s22, v0
	v_ldexp_f32 v2, v2, v24
	s_nop 0
	v_cndmask_b32_e32 v2, 0, v2, vcc
	v_cmp_ngt_f32_e32 vcc, s23, v0
	s_nop 1
	v_cndmask_b32_e32 v2, v20, v2, vcc
	v_add_f32_e32 v2, 1.0, v2
	v_rcp_f32_e32 v24, v2
	v_mul_f32_e32 v2, 0xbfb8aa3b, v1
	v_fma_mix_f32 v25, v7, s20, -v2 op_sel:[1,0,0] op_sel_hi:[1,0,0]
	v_cmp_nlt_f32_e32 vcc, s22, v1
	v_fma_mix_f32 v7, v7, s21, v25 op_sel:[1,0,0] op_sel_hi:[1,0,0]
	v_rndne_f32_e32 v25, v2
	v_sub_f32_e32 v2, v2, v25
	v_add_f32_e32 v2, v2, v7
	v_exp_f32_e32 v2, v2
	v_cvt_i32_f32_e32 v7, v25
	v_ldexp_f32 v2, v2, v7
	v_cndmask_b32_e32 v2, 0, v2, vcc
	v_cmp_ngt_f32_e32 vcc, s23, v1
	s_nop 1
	v_cndmask_b32_e32 v2, v20, v2, vcc
	v_add_f32_e32 v2, 1.0, v2
	v_rcp_f32_e32 v25, v2
	v_cvt_f32_f16_e32 v2, v3
	v_cvt_f32_f16_sdwa v3, v3 dst_sel:DWORD dst_unused:UNUSED_PAD src0_sel:WORD_1
	v_pk_mul_f32 v[0:1], v[24:25], v[0:1]
	s_nop 0
	;;#ASMSTART
	v_pk_mul_f32 v[0:1], v[0:1], v[2:3]
	v_pk_mul_f32 v[0:1], v[0:1], v[18:19]
	;;#ASMEND
	v_lshlrev_b16_e32 v2, 8, v15
	v_cvt_pk_fp8_f32 v3, v0, 0
	v_cvt_pk_fp8_f32 v7, v1, 0
	v_lshlrev_b16_e32 v0, 8, v12
	v_lshlrev_b16_e32 v1, 8, v13
	v_or_b32_sdwa v0, v8, v0 dst_sel:DWORD dst_unused:UNUSED_PAD src0_sel:BYTE_0 src1_sel:DWORD
	v_or_b32_sdwa v1, v9, v1 dst_sel:WORD_1 dst_unused:UNUSED_PAD src0_sel:BYTE_0 src1_sel:DWORD
	v_or_b32_sdwa v2, v11, v2 dst_sel:WORD_1 dst_unused:UNUSED_PAD src0_sel:BYTE_0 src1_sel:DWORD
	v_or_b32_sdwa v0, v0, v1 dst_sel:DWORD dst_unused:UNUSED_PAD src0_sel:WORD_0 src1_sel:DWORD
	v_lshlrev_b16_e32 v1, 8, v14
	v_or_b32_sdwa v1, v10, v1 dst_sel:DWORD dst_unused:UNUSED_PAD src0_sel:BYTE_0 src1_sel:DWORD
	s_load_dword s18, s[0:1], 0xc
	v_or_b32_sdwa v1, v1, v2 dst_sel:DWORD dst_unused:UNUSED_PAD src0_sel:WORD_0 src1_sel:DWORD
	v_lshlrev_b16_e32 v2, 8, v21
	v_or_b32_sdwa v2, v4, v2 dst_sel:DWORD dst_unused:UNUSED_PAD src0_sel:BYTE_0 src1_sel:DWORD
	v_lshlrev_b16_e32 v4, 8, v22
	v_or_b32_sdwa v4, v5, v4 dst_sel:WORD_1 dst_unused:UNUSED_PAD src0_sel:BYTE_0 src1_sel:DWORD
	v_lshlrev_b16_e32 v5, 8, v7
	v_or_b32_sdwa v2, v2, v4 dst_sel:DWORD dst_unused:UNUSED_PAD src0_sel:WORD_0 src1_sel:DWORD
	v_lshlrev_b16_e32 v4, 8, v23
	v_or_b32_sdwa v4, v6, v4 dst_sel:DWORD dst_unused:UNUSED_PAD src0_sel:BYTE_0 src1_sel:DWORD
	v_or_b32_sdwa v3, v3, v5 dst_sel:WORD_1 dst_unused:UNUSED_PAD src0_sel:BYTE_0 src1_sel:DWORD
	s_waitcnt lgkmcnt(0)
	s_and_b32 s18, s18, 0xffff
	v_or_b32_sdwa v3, v4, v3 dst_sel:DWORD dst_unused:UNUSED_PAD src0_sel:WORD_0 src1_sel:DWORD
	s_lshl_b32 s18, s18, 4
	buffer_store_dwordx4 v[0:3], v16, s[12:15], 0 offen
	v_lshl_add_u64 v[16:17], s[18:19], 0, v[16:17]
	v_cmp_le_i64_e32 vcc, s[16:17], v[16:17]
	s_or_b64 s[2:3], vcc, s[2:3]
	s_andn2_b64 exec, exec, s[2:3]
	s_cbranch_execnz .LBB497_2
.LBB497_3:
	s_endpgm
	.section	.rodata,"a",@progbits
	.p2align	6, 0x0
	.amdhsa_kernel _ZN5aiter25scaled_act_and_mul_kernelIDF16_DB8_TnPFfRKT_EXadL_ZNS_11silu_kernelIDF16_EEfS4_EELi16EEEvPT0_PS3_if
		.amdhsa_group_segment_fixed_size 0
		.amdhsa_private_segment_fixed_size 0
		.amdhsa_kernarg_size 280
		.amdhsa_user_sgpr_count 2
		.amdhsa_user_sgpr_dispatch_ptr 0
		.amdhsa_user_sgpr_queue_ptr 0
		.amdhsa_user_sgpr_kernarg_segment_ptr 1
		.amdhsa_user_sgpr_dispatch_id 0
		.amdhsa_user_sgpr_kernarg_preload_length 0
		.amdhsa_user_sgpr_kernarg_preload_offset 0
		.amdhsa_user_sgpr_private_segment_size 0
		.amdhsa_uses_dynamic_stack 0
		.amdhsa_enable_private_segment 0
		.amdhsa_system_sgpr_workgroup_id_x 1
		.amdhsa_system_sgpr_workgroup_id_y 0
		.amdhsa_system_sgpr_workgroup_id_z 0
		.amdhsa_system_sgpr_workgroup_info 0
		.amdhsa_system_vgpr_workitem_id 0
		.amdhsa_next_free_vgpr 26
		.amdhsa_next_free_sgpr 24
		.amdhsa_accum_offset 28
		.amdhsa_reserve_vcc 1
		.amdhsa_float_round_mode_32 0
		.amdhsa_float_round_mode_16_64 0
		.amdhsa_float_denorm_mode_32 3
		.amdhsa_float_denorm_mode_16_64 3
		.amdhsa_dx10_clamp 1
		.amdhsa_ieee_mode 1
		.amdhsa_fp16_overflow 0
		.amdhsa_tg_split 0
		.amdhsa_exception_fp_ieee_invalid_op 0
		.amdhsa_exception_fp_denorm_src 0
		.amdhsa_exception_fp_ieee_div_zero 0
		.amdhsa_exception_fp_ieee_overflow 0
		.amdhsa_exception_fp_ieee_underflow 0
		.amdhsa_exception_fp_ieee_inexact 0
		.amdhsa_exception_int_div_zero 0
	.end_amdhsa_kernel
	.section	.text._ZN5aiter25scaled_act_and_mul_kernelIDF16_DB8_TnPFfRKT_EXadL_ZNS_11silu_kernelIDF16_EEfS4_EELi16EEEvPT0_PS3_if,"axG",@progbits,_ZN5aiter25scaled_act_and_mul_kernelIDF16_DB8_TnPFfRKT_EXadL_ZNS_11silu_kernelIDF16_EEfS4_EELi16EEEvPT0_PS3_if,comdat
.Lfunc_end497:
	.size	_ZN5aiter25scaled_act_and_mul_kernelIDF16_DB8_TnPFfRKT_EXadL_ZNS_11silu_kernelIDF16_EEfS4_EELi16EEEvPT0_PS3_if, .Lfunc_end497-_ZN5aiter25scaled_act_and_mul_kernelIDF16_DB8_TnPFfRKT_EXadL_ZNS_11silu_kernelIDF16_EEfS4_EELi16EEEvPT0_PS3_if
                                        ; -- End function
	.section	.AMDGPU.csdata,"",@progbits
; Kernel info:
; codeLenInByte = 2368
; NumSgprs: 30
; NumVgprs: 26
; NumAgprs: 0
; TotalNumVgprs: 26
; ScratchSize: 0
; MemoryBound: 0
; FloatMode: 240
; IeeeMode: 1
; LDSByteSize: 0 bytes/workgroup (compile time only)
; SGPRBlocks: 3
; VGPRBlocks: 3
; NumSGPRsForWavesPerEU: 30
; NumVGPRsForWavesPerEU: 26
; AccumOffset: 28
; Occupancy: 8
; WaveLimiterHint : 0
; COMPUTE_PGM_RSRC2:SCRATCH_EN: 0
; COMPUTE_PGM_RSRC2:USER_SGPR: 2
; COMPUTE_PGM_RSRC2:TRAP_HANDLER: 0
; COMPUTE_PGM_RSRC2:TGID_X_EN: 1
; COMPUTE_PGM_RSRC2:TGID_Y_EN: 0
; COMPUTE_PGM_RSRC2:TGID_Z_EN: 0
; COMPUTE_PGM_RSRC2:TIDIG_COMP_CNT: 0
; COMPUTE_PGM_RSRC3_GFX90A:ACCUM_OFFSET: 6
; COMPUTE_PGM_RSRC3_GFX90A:TG_SPLIT: 0
	.section	.text._ZN5aiter25scaled_act_and_mul_kernelIDF16_DB8_TnPFfRKT_EXadL_ZNS_11silu_kernelIDF16_EEfS4_EELi8EEEvPT0_PS3_if,"axG",@progbits,_ZN5aiter25scaled_act_and_mul_kernelIDF16_DB8_TnPFfRKT_EXadL_ZNS_11silu_kernelIDF16_EEfS4_EELi8EEEvPT0_PS3_if,comdat
	.protected	_ZN5aiter25scaled_act_and_mul_kernelIDF16_DB8_TnPFfRKT_EXadL_ZNS_11silu_kernelIDF16_EEfS4_EELi8EEEvPT0_PS3_if ; -- Begin function _ZN5aiter25scaled_act_and_mul_kernelIDF16_DB8_TnPFfRKT_EXadL_ZNS_11silu_kernelIDF16_EEfS4_EELi8EEEvPT0_PS3_if
	.globl	_ZN5aiter25scaled_act_and_mul_kernelIDF16_DB8_TnPFfRKT_EXadL_ZNS_11silu_kernelIDF16_EEfS4_EELi8EEEvPT0_PS3_if
	.p2align	8
	.type	_ZN5aiter25scaled_act_and_mul_kernelIDF16_DB8_TnPFfRKT_EXadL_ZNS_11silu_kernelIDF16_EEfS4_EELi8EEEvPT0_PS3_if,@function
_ZN5aiter25scaled_act_and_mul_kernelIDF16_DB8_TnPFfRKT_EXadL_ZNS_11silu_kernelIDF16_EEfS4_EELi8EEEvPT0_PS3_if: ; @_ZN5aiter25scaled_act_and_mul_kernelIDF16_DB8_TnPFfRKT_EXadL_ZNS_11silu_kernelIDF16_EEfS4_EELi8EEEvPT0_PS3_if
; %bb.0:
	s_load_dwordx2 s[4:5], s[0:1], 0x10
	v_lshlrev_b32_e32 v8, 3, v0
	s_waitcnt lgkmcnt(0)
	v_cmp_gt_i32_e32 vcc, s4, v8
	s_and_saveexec_b64 s[6:7], vcc
	s_cbranch_execz .LBB498_3
; %bb.1:
	s_load_dwordx4 s[8:11], s[0:1], 0x0
	s_ashr_i32 s15, s4, 31
	s_mul_hi_u32 s3, s4, s2
	s_mul_i32 s6, s15, s2
	s_add_i32 s3, s3, s6
	s_mul_i32 s2, s4, s2
	s_lshl_b64 s[6:7], s[2:3], 2
	s_mov_b32 s14, s4
	s_waitcnt lgkmcnt(0)
	s_add_u32 s16, s10, s6
	s_addc_u32 s10, s11, s7
	s_lshl_b64 s[6:7], s[14:15], 1
	s_add_u32 s20, s16, s6
	s_addc_u32 s6, s10, s7
	s_add_i32 s7, s4, 1
	s_lshr_b32 s11, s7, 31
	s_add_i32 s7, s7, s11
	s_lshl_b32 s7, s7, 1
	s_and_b32 s18, s7, -4
	s_and_b32 s17, s10, 0xffff
	s_and_b32 s21, s6, 0xffff
	s_add_u32 s24, s8, s2
	s_addc_u32 s2, s9, s3
	s_add_i32 s3, s4, 3
	s_ashr_i32 s4, s3, 31
	s_lshr_b32 s4, s4, 30
	s_add_i32 s3, s3, s4
	s_and_b32 s26, s3, -4
	s_and_b32 s25, s2, 0xffff
	s_mov_b32 s19, 0x20000
	s_mov_b32 s4, s5
	s_add_u32 s28, s0, 24
	s_mov_b32 s27, s19
	v_mov_b32_e32 v9, 0
	s_addc_u32 s29, s1, 0
	s_mov_b64 s[30:31], 0
	s_mov_b32 s35, 0
	s_mov_b32 s33, 0xbfb8aa3b
	;; [unrolled: 1-line block ×5, first 2 shown]
	v_mov_b32_e32 v24, 0x7f800000
	v_mov_b64_e32 v[10:11], s[4:5]
	s_mov_b32 s22, s18
	s_mov_b32 s23, s19
.LBB498_2:                              ; =>This Inner Loop Header: Depth=1
	v_lshlrev_b32_e32 v12, 1, v8
	buffer_load_dwordx4 v[0:3], v12, s[16:19], 0 offen sc0 nt
	buffer_load_dwordx4 v[4:7], v12, s[20:23], 0 offen sc0 nt
	s_waitcnt vmcnt(1)
	v_cvt_f32_f16_e32 v12, v0
	v_cvt_f32_f16_sdwa v13, v0 dst_sel:DWORD dst_unused:UNUSED_PAD src0_sel:WORD_1
	v_cvt_f32_f16_e32 v16, v1
	v_cvt_f32_f16_sdwa v17, v1 dst_sel:DWORD dst_unused:UNUSED_PAD src0_sel:WORD_1
	;; [unrolled: 2-line block ×4, first 2 shown]
	v_mul_f32_e32 v25, 0xbfb8aa3b, v12
	v_mul_f32_e32 v26, 0xbfb8aa3b, v13
	;; [unrolled: 1-line block ×8, first 2 shown]
	v_fma_mix_f32 v33, v0, s33, -v25 op_sel_hi:[1,0,0]
	v_rndne_f32_e32 v34, v25
	v_fma_mix_f32 v35, v0, s33, -v26 op_sel:[1,0,0] op_sel_hi:[1,0,0]
	v_rndne_f32_e32 v36, v26
	v_fma_mix_f32 v37, v1, s33, -v27 op_sel_hi:[1,0,0]
	v_rndne_f32_e32 v38, v27
	v_fma_mix_f32 v39, v1, s33, -v28 op_sel:[1,0,0] op_sel_hi:[1,0,0]
	v_rndne_f32_e32 v40, v28
	;; [unrolled: 4-line block ×4, first 2 shown]
	v_fma_mix_f32 v33, v0, s36, v33 op_sel_hi:[1,0,0]
	v_sub_f32_e32 v25, v25, v34
	v_fma_mix_f32 v0, v0, s36, v35 op_sel:[1,0,0] op_sel_hi:[1,0,0]
	v_sub_f32_e32 v26, v26, v36
	v_cvt_i32_f32_e32 v35, v36
	v_fma_mix_f32 v36, v1, s36, v37 op_sel_hi:[1,0,0]
	v_sub_f32_e32 v27, v27, v38
	v_fma_mix_f32 v1, v1, s36, v39 op_sel:[1,0,0] op_sel_hi:[1,0,0]
	v_sub_f32_e32 v28, v28, v40
	v_cvt_i32_f32_e32 v37, v38
	v_cvt_i32_f32_e32 v38, v40
	v_fma_mix_f32 v39, v2, s36, v41 op_sel_hi:[1,0,0]
	v_sub_f32_e32 v29, v29, v42
	v_cvt_i32_f32_e32 v40, v42
	v_fma_mix_f32 v2, v2, s36, v43 op_sel:[1,0,0] op_sel_hi:[1,0,0]
	v_sub_f32_e32 v30, v30, v44
	v_fma_mix_f32 v42, v3, s36, v45 op_sel_hi:[1,0,0]
	v_sub_f32_e32 v31, v31, v46
	v_fma_mix_f32 v3, v3, s36, v47 op_sel:[1,0,0] op_sel_hi:[1,0,0]
	v_sub_f32_e32 v32, v32, v48
	v_add_f32_e32 v25, v25, v33
	v_add_f32_e32 v0, v26, v0
	v_add_f32_e32 v26, v27, v36
	v_add_f32_e32 v1, v28, v1
	v_cvt_i32_f32_e32 v34, v34
	v_add_f32_e32 v27, v29, v39
	v_add_f32_e32 v2, v30, v2
	;; [unrolled: 1-line block ×4, first 2 shown]
	v_exp_f32_e32 v25, v25
	v_exp_f32_e32 v0, v0
	;; [unrolled: 1-line block ×4, first 2 shown]
	v_cvt_i32_f32_e32 v41, v44
	v_cvt_i32_f32_e32 v43, v46
	;; [unrolled: 1-line block ×3, first 2 shown]
	v_exp_f32_e32 v27, v27
	v_exp_f32_e32 v2, v2
	;; [unrolled: 1-line block ×4, first 2 shown]
	v_ldexp_f32 v25, v25, v34
	v_ldexp_f32 v0, v0, v35
	v_cmp_nlt_f32_e32 vcc, s37, v13
	v_ldexp_f32 v26, v26, v37
	v_cmp_nlt_f32_e64 s[0:1], s37, v16
	v_ldexp_f32 v1, v1, v38
	v_cmp_nlt_f32_e64 s[2:3], s37, v17
	v_cmp_nlt_f32_e64 s[12:13], s37, v12
	v_ldexp_f32 v27, v27, v40
	v_cmp_nlt_f32_e64 s[4:5], s37, v18
	v_ldexp_f32 v2, v2, v41
	;; [unrolled: 2-line block ×4, first 2 shown]
	v_cmp_nlt_f32_e64 s[10:11], s37, v23
	v_cndmask_b32_e64 v25, 0, v25, s[12:13]
	v_cndmask_b32_e32 v0, 0, v0, vcc
	v_cmp_ngt_f32_e32 vcc, s38, v13
	v_cndmask_b32_e64 v26, 0, v26, s[0:1]
	v_cmp_ngt_f32_e64 s[0:1], s38, v16
	v_cndmask_b32_e64 v1, 0, v1, s[2:3]
	v_cmp_ngt_f32_e64 s[2:3], s38, v17
	v_cmp_ngt_f32_e64 s[12:13], s38, v12
	v_cndmask_b32_e64 v27, 0, v27, s[4:5]
	v_cmp_ngt_f32_e64 s[4:5], s38, v18
	v_cndmask_b32_e64 v2, 0, v2, s[6:7]
	;; [unrolled: 2-line block ×5, first 2 shown]
	v_cndmask_b32_e32 v0, v24, v0, vcc
	v_cndmask_b32_e64 v26, v24, v26, s[0:1]
	v_cndmask_b32_e64 v1, v24, v1, s[2:3]
	;; [unrolled: 1-line block ×6, first 2 shown]
	v_add_f32_e32 v25, 1.0, v25
	v_add_f32_e32 v29, 1.0, v0
	;; [unrolled: 1-line block ×8, first 2 shown]
	v_rcp_f32_e32 v0, v25
	v_rcp_f32_e32 v1, v29
	;; [unrolled: 1-line block ×8, first 2 shown]
	s_waitcnt vmcnt(0)
	v_cvt_f32_f16_e32 v14, v4
	v_cvt_f32_f16_sdwa v15, v4 dst_sel:DWORD dst_unused:UNUSED_PAD src0_sel:WORD_1
	v_cvt_f32_f16_e32 v4, v5
	v_cvt_f32_f16_sdwa v5, v5 dst_sel:DWORD dst_unused:UNUSED_PAD src0_sel:WORD_1
	;; [unrolled: 2-line block ×4, first 2 shown]
	v_pk_mul_f32 v[0:1], v[0:1], v[12:13]
	v_pk_mul_f32 v[2:3], v[2:3], v[16:17]
	;; [unrolled: 1-line block ×4, first 2 shown]
	;;#ASMSTART
	v_pk_mul_f32 v[0:1], v[0:1], v[14:15]
	v_pk_mul_f32 v[0:1], v[0:1], v[10:11]
	;;#ASMEND
	;;#ASMSTART
	v_pk_mul_f32 v[2:3], v[2:3], v[4:5]
	v_pk_mul_f32 v[2:3], v[2:3], v[10:11]
	;;#ASMEND
	;; [unrolled: 4-line block ×3, first 2 shown]
	s_nop 0
	;;#ASMSTART
	v_pk_mul_f32 v[6:7], v[16:17], v[6:7]
	v_pk_mul_f32 v[6:7], v[6:7], v[10:11]
	;;#ASMEND
	s_load_dword s0, s[28:29], 0xc
	v_cvt_pk_fp8_f32 v1, v1, 0
	v_cvt_pk_fp8_f32 v3, v3, 0
	;; [unrolled: 1-line block ×8, first 2 shown]
	v_lshlrev_b16_e32 v1, 8, v1
	v_lshlrev_b16_e32 v3, 8, v3
	;; [unrolled: 1-line block ×4, first 2 shown]
	s_waitcnt lgkmcnt(0)
	s_and_b32 s0, s0, 0xffff
	v_or_b32_sdwa v0, v0, v1 dst_sel:DWORD dst_unused:UNUSED_PAD src0_sel:BYTE_0 src1_sel:DWORD
	v_or_b32_sdwa v1, v2, v3 dst_sel:WORD_1 dst_unused:UNUSED_PAD src0_sel:BYTE_0 src1_sel:DWORD
	v_or_b32_sdwa v2, v4, v5 dst_sel:DWORD dst_unused:UNUSED_PAD src0_sel:BYTE_0 src1_sel:DWORD
	v_or_b32_sdwa v3, v6, v7 dst_sel:WORD_1 dst_unused:UNUSED_PAD src0_sel:BYTE_0 src1_sel:DWORD
	s_lshl_b32 s34, s0, 3
	v_or_b32_sdwa v0, v0, v1 dst_sel:DWORD dst_unused:UNUSED_PAD src0_sel:WORD_0 src1_sel:DWORD
	v_or_b32_sdwa v1, v2, v3 dst_sel:DWORD dst_unused:UNUSED_PAD src0_sel:WORD_0 src1_sel:DWORD
	buffer_store_dwordx2 v[0:1], v8, s[24:27], 0 offen
	v_lshl_add_u64 v[8:9], s[34:35], 0, v[8:9]
	v_cmp_le_i64_e32 vcc, s[14:15], v[8:9]
	s_or_b64 s[30:31], vcc, s[30:31]
	s_andn2_b64 exec, exec, s[30:31]
	s_cbranch_execnz .LBB498_2
.LBB498_3:
	s_endpgm
	.section	.rodata,"a",@progbits
	.p2align	6, 0x0
	.amdhsa_kernel _ZN5aiter25scaled_act_and_mul_kernelIDF16_DB8_TnPFfRKT_EXadL_ZNS_11silu_kernelIDF16_EEfS4_EELi8EEEvPT0_PS3_if
		.amdhsa_group_segment_fixed_size 0
		.amdhsa_private_segment_fixed_size 0
		.amdhsa_kernarg_size 280
		.amdhsa_user_sgpr_count 2
		.amdhsa_user_sgpr_dispatch_ptr 0
		.amdhsa_user_sgpr_queue_ptr 0
		.amdhsa_user_sgpr_kernarg_segment_ptr 1
		.amdhsa_user_sgpr_dispatch_id 0
		.amdhsa_user_sgpr_kernarg_preload_length 0
		.amdhsa_user_sgpr_kernarg_preload_offset 0
		.amdhsa_user_sgpr_private_segment_size 0
		.amdhsa_uses_dynamic_stack 0
		.amdhsa_enable_private_segment 0
		.amdhsa_system_sgpr_workgroup_id_x 1
		.amdhsa_system_sgpr_workgroup_id_y 0
		.amdhsa_system_sgpr_workgroup_id_z 0
		.amdhsa_system_sgpr_workgroup_info 0
		.amdhsa_system_vgpr_workitem_id 0
		.amdhsa_next_free_vgpr 49
		.amdhsa_next_free_sgpr 39
		.amdhsa_accum_offset 52
		.amdhsa_reserve_vcc 1
		.amdhsa_float_round_mode_32 0
		.amdhsa_float_round_mode_16_64 0
		.amdhsa_float_denorm_mode_32 3
		.amdhsa_float_denorm_mode_16_64 3
		.amdhsa_dx10_clamp 1
		.amdhsa_ieee_mode 1
		.amdhsa_fp16_overflow 0
		.amdhsa_tg_split 0
		.amdhsa_exception_fp_ieee_invalid_op 0
		.amdhsa_exception_fp_denorm_src 0
		.amdhsa_exception_fp_ieee_div_zero 0
		.amdhsa_exception_fp_ieee_overflow 0
		.amdhsa_exception_fp_ieee_underflow 0
		.amdhsa_exception_fp_ieee_inexact 0
		.amdhsa_exception_int_div_zero 0
	.end_amdhsa_kernel
	.section	.text._ZN5aiter25scaled_act_and_mul_kernelIDF16_DB8_TnPFfRKT_EXadL_ZNS_11silu_kernelIDF16_EEfS4_EELi8EEEvPT0_PS3_if,"axG",@progbits,_ZN5aiter25scaled_act_and_mul_kernelIDF16_DB8_TnPFfRKT_EXadL_ZNS_11silu_kernelIDF16_EEfS4_EELi8EEEvPT0_PS3_if,comdat
.Lfunc_end498:
	.size	_ZN5aiter25scaled_act_and_mul_kernelIDF16_DB8_TnPFfRKT_EXadL_ZNS_11silu_kernelIDF16_EEfS4_EELi8EEEvPT0_PS3_if, .Lfunc_end498-_ZN5aiter25scaled_act_and_mul_kernelIDF16_DB8_TnPFfRKT_EXadL_ZNS_11silu_kernelIDF16_EEfS4_EELi8EEEvPT0_PS3_if
                                        ; -- End function
	.section	.AMDGPU.csdata,"",@progbits
; Kernel info:
; codeLenInByte = 1380
; NumSgprs: 45
; NumVgprs: 49
; NumAgprs: 0
; TotalNumVgprs: 49
; ScratchSize: 0
; MemoryBound: 0
; FloatMode: 240
; IeeeMode: 1
; LDSByteSize: 0 bytes/workgroup (compile time only)
; SGPRBlocks: 5
; VGPRBlocks: 6
; NumSGPRsForWavesPerEU: 45
; NumVGPRsForWavesPerEU: 49
; AccumOffset: 52
; Occupancy: 8
; WaveLimiterHint : 0
; COMPUTE_PGM_RSRC2:SCRATCH_EN: 0
; COMPUTE_PGM_RSRC2:USER_SGPR: 2
; COMPUTE_PGM_RSRC2:TRAP_HANDLER: 0
; COMPUTE_PGM_RSRC2:TGID_X_EN: 1
; COMPUTE_PGM_RSRC2:TGID_Y_EN: 0
; COMPUTE_PGM_RSRC2:TGID_Z_EN: 0
; COMPUTE_PGM_RSRC2:TIDIG_COMP_CNT: 0
; COMPUTE_PGM_RSRC3_GFX90A:ACCUM_OFFSET: 12
; COMPUTE_PGM_RSRC3_GFX90A:TG_SPLIT: 0
	.section	.text._ZN5aiter25scaled_act_and_mul_kernelIDF16_DB8_TnPFfRKT_EXadL_ZNS_11silu_kernelIDF16_EEfS4_EELi4EEEvPT0_PS3_if,"axG",@progbits,_ZN5aiter25scaled_act_and_mul_kernelIDF16_DB8_TnPFfRKT_EXadL_ZNS_11silu_kernelIDF16_EEfS4_EELi4EEEvPT0_PS3_if,comdat
	.protected	_ZN5aiter25scaled_act_and_mul_kernelIDF16_DB8_TnPFfRKT_EXadL_ZNS_11silu_kernelIDF16_EEfS4_EELi4EEEvPT0_PS3_if ; -- Begin function _ZN5aiter25scaled_act_and_mul_kernelIDF16_DB8_TnPFfRKT_EXadL_ZNS_11silu_kernelIDF16_EEfS4_EELi4EEEvPT0_PS3_if
	.globl	_ZN5aiter25scaled_act_and_mul_kernelIDF16_DB8_TnPFfRKT_EXadL_ZNS_11silu_kernelIDF16_EEfS4_EELi4EEEvPT0_PS3_if
	.p2align	8
	.type	_ZN5aiter25scaled_act_and_mul_kernelIDF16_DB8_TnPFfRKT_EXadL_ZNS_11silu_kernelIDF16_EEfS4_EELi4EEEvPT0_PS3_if,@function
_ZN5aiter25scaled_act_and_mul_kernelIDF16_DB8_TnPFfRKT_EXadL_ZNS_11silu_kernelIDF16_EEfS4_EELi4EEEvPT0_PS3_if: ; @_ZN5aiter25scaled_act_and_mul_kernelIDF16_DB8_TnPFfRKT_EXadL_ZNS_11silu_kernelIDF16_EEfS4_EELi4EEEvPT0_PS3_if
; %bb.0:
	s_load_dwordx2 s[4:5], s[0:1], 0x10
	v_lshlrev_b32_e32 v0, 2, v0
	s_waitcnt lgkmcnt(0)
	v_cmp_gt_i32_e32 vcc, s4, v0
	s_and_saveexec_b64 s[6:7], vcc
	s_cbranch_execz .LBB499_3
; %bb.1:
	s_load_dwordx4 s[16:19], s[0:1], 0x0
	s_ashr_i32 s7, s4, 31
	s_mul_hi_u32 s3, s4, s2
	s_mul_i32 s8, s7, s2
	s_add_i32 s3, s3, s8
	s_mul_i32 s2, s4, s2
	s_lshl_b64 s[8:9], s[2:3], 2
	s_mov_b32 s6, s4
	s_waitcnt lgkmcnt(0)
	s_add_u32 s8, s18, s8
	s_addc_u32 s9, s19, s9
	s_lshl_b64 s[10:11], s[6:7], 1
	s_add_u32 s12, s8, s10
	s_addc_u32 s13, s9, s11
	s_add_i32 s10, s4, 1
	s_lshr_b32 s11, s10, 31
	s_add_i32 s10, s10, s11
	s_lshl_b32 s10, s10, 1
	s_and_b32 s10, s10, -4
	s_and_b32 s9, s9, 0xffff
	s_and_b32 s13, s13, 0xffff
	s_add_u32 s16, s16, s2
	s_addc_u32 s2, s17, s3
	s_add_i32 s3, s4, 3
	s_ashr_i32 s4, s3, 31
	s_lshr_b32 s4, s4, 30
	s_add_i32 s3, s3, s4
	s_and_b32 s18, s3, -4
	s_and_b32 s17, s2, 0xffff
	s_mov_b32 s11, 0x20000
	s_mov_b32 s4, s5
	s_add_u32 s20, s0, 24
	s_mov_b32 s19, s11
	v_mov_b32_e32 v1, 0
	s_addc_u32 s21, s1, 0
	s_mov_b64 s[22:23], 0
	s_mov_b32 s25, 0
	s_mov_b32 s26, 0xbfb8aa3b
	s_mov_b32 s27, 0xb2a5705f
	s_mov_b32 s28, 0x42ce8ed0
	s_mov_b32 s29, 0xc2b17218
	v_mov_b32_e32 v6, 0x7f800000
	v_mov_b64_e32 v[2:3], s[4:5]
	s_mov_b32 s14, s10
	s_mov_b32 s15, s11
.LBB499_2:                              ; =>This Inner Loop Header: Depth=1
	v_lshlrev_b32_e32 v4, 1, v0
	buffer_load_dwordx2 v[8:9], v4, s[8:11], 0 offen sc0 nt
	buffer_load_dwordx2 v[10:11], v4, s[12:15], 0 offen sc0 nt
	s_waitcnt vmcnt(1)
	v_cvt_f32_f16_e32 v4, v8
	v_cvt_f32_f16_sdwa v5, v8 dst_sel:DWORD dst_unused:UNUSED_PAD src0_sel:WORD_1
	v_cvt_f32_f16_e32 v14, v9
	v_cvt_f32_f16_sdwa v15, v9 dst_sel:DWORD dst_unused:UNUSED_PAD src0_sel:WORD_1
	v_mul_f32_e32 v7, 0xbfb8aa3b, v4
	v_mul_f32_e32 v16, 0xbfb8aa3b, v5
	;; [unrolled: 1-line block ×4, first 2 shown]
	v_fma_mix_f32 v19, v8, s26, -v7 op_sel_hi:[1,0,0]
	v_rndne_f32_e32 v20, v7
	v_fma_mix_f32 v21, v8, s26, -v16 op_sel:[1,0,0] op_sel_hi:[1,0,0]
	v_rndne_f32_e32 v22, v16
	v_fma_mix_f32 v23, v9, s26, -v17 op_sel_hi:[1,0,0]
	v_rndne_f32_e32 v24, v17
	v_fma_mix_f32 v25, v9, s26, -v18 op_sel:[1,0,0] op_sel_hi:[1,0,0]
	v_rndne_f32_e32 v26, v18
	v_fma_mix_f32 v19, v8, s27, v19 op_sel_hi:[1,0,0]
	v_sub_f32_e32 v7, v7, v20
	v_fma_mix_f32 v8, v8, s27, v21 op_sel:[1,0,0] op_sel_hi:[1,0,0]
	v_sub_f32_e32 v16, v16, v22
	v_cvt_i32_f32_e32 v21, v22
	v_fma_mix_f32 v22, v9, s27, v23 op_sel_hi:[1,0,0]
	v_sub_f32_e32 v17, v17, v24
	v_fma_mix_f32 v9, v9, s27, v25 op_sel:[1,0,0] op_sel_hi:[1,0,0]
	v_sub_f32_e32 v18, v18, v26
	v_add_f32_e32 v7, v7, v19
	v_add_f32_e32 v8, v16, v8
	v_cvt_i32_f32_e32 v20, v20
	v_add_f32_e32 v16, v17, v22
	v_add_f32_e32 v9, v18, v9
	v_exp_f32_e32 v7, v7
	v_exp_f32_e32 v8, v8
	v_cvt_i32_f32_e32 v23, v24
	v_cvt_i32_f32_e32 v24, v26
	v_exp_f32_e32 v16, v16
	v_exp_f32_e32 v9, v9
	v_ldexp_f32 v7, v7, v20
	v_ldexp_f32 v8, v8, v21
	v_cmp_nlt_f32_e32 vcc, s28, v5
	v_cmp_nlt_f32_e64 s[4:5], s28, v4
	v_ldexp_f32 v16, v16, v23
	v_cmp_nlt_f32_e64 s[0:1], s28, v14
	v_ldexp_f32 v9, v9, v24
	v_cmp_nlt_f32_e64 s[2:3], s28, v15
	v_cndmask_b32_e64 v7, 0, v7, s[4:5]
	v_cndmask_b32_e32 v8, 0, v8, vcc
	v_cmp_ngt_f32_e32 vcc, s29, v5
	v_cmp_ngt_f32_e64 s[4:5], s29, v4
	v_cndmask_b32_e64 v16, 0, v16, s[0:1]
	v_cmp_ngt_f32_e64 s[0:1], s29, v14
	v_cndmask_b32_e64 v9, 0, v9, s[2:3]
	;; [unrolled: 2-line block ×3, first 2 shown]
	v_cndmask_b32_e32 v8, v6, v8, vcc
	v_cndmask_b32_e64 v16, v6, v16, s[0:1]
	v_cndmask_b32_e64 v9, v6, v9, s[2:3]
	v_add_f32_e32 v7, 1.0, v7
	v_add_f32_e32 v17, 1.0, v8
	;; [unrolled: 1-line block ×4, first 2 shown]
	v_rcp_f32_e32 v8, v7
	v_rcp_f32_e32 v9, v17
	;; [unrolled: 1-line block ×4, first 2 shown]
	s_waitcnt vmcnt(0)
	v_cvt_f32_f16_e32 v12, v10
	v_pk_mul_f32 v[4:5], v[8:9], v[4:5]
	v_cvt_f32_f16_sdwa v13, v10 dst_sel:DWORD dst_unused:UNUSED_PAD src0_sel:WORD_1
	v_pk_mul_f32 v[8:9], v[16:17], v[14:15]
	;;#ASMSTART
	v_pk_mul_f32 v[4:5], v[4:5], v[12:13]
	v_pk_mul_f32 v[4:5], v[4:5], v[2:3]
	;;#ASMEND
	v_cvt_f32_f16_e32 v10, v11
	v_cvt_f32_f16_sdwa v11, v11 dst_sel:DWORD dst_unused:UNUSED_PAD src0_sel:WORD_1
	;;#ASMSTART
	v_pk_mul_f32 v[8:9], v[8:9], v[10:11]
	v_pk_mul_f32 v[8:9], v[8:9], v[2:3]
	;;#ASMEND
	s_load_dword s0, s[20:21], 0xc
	v_cvt_pk_fp8_f32 v5, v5, 0
	v_cvt_pk_fp8_f32 v7, v9, 0
	;; [unrolled: 1-line block ×4, first 2 shown]
	v_lshlrev_b16_e32 v5, 8, v5
	v_lshlrev_b16_e32 v7, 8, v7
	s_waitcnt lgkmcnt(0)
	s_and_b32 s0, s0, 0xffff
	v_or_b32_sdwa v4, v4, v5 dst_sel:DWORD dst_unused:UNUSED_PAD src0_sel:BYTE_0 src1_sel:DWORD
	v_or_b32_sdwa v5, v8, v7 dst_sel:WORD_1 dst_unused:UNUSED_PAD src0_sel:BYTE_0 src1_sel:DWORD
	s_lshl_b32 s24, s0, 2
	v_or_b32_sdwa v4, v4, v5 dst_sel:DWORD dst_unused:UNUSED_PAD src0_sel:WORD_0 src1_sel:DWORD
	buffer_store_dword v4, v0, s[16:19], 0 offen
	v_lshl_add_u64 v[0:1], s[24:25], 0, v[0:1]
	v_cmp_le_i64_e32 vcc, s[6:7], v[0:1]
	s_or_b64 s[22:23], vcc, s[22:23]
	s_andn2_b64 exec, exec, s[22:23]
	s_cbranch_execnz .LBB499_2
.LBB499_3:
	s_endpgm
	.section	.rodata,"a",@progbits
	.p2align	6, 0x0
	.amdhsa_kernel _ZN5aiter25scaled_act_and_mul_kernelIDF16_DB8_TnPFfRKT_EXadL_ZNS_11silu_kernelIDF16_EEfS4_EELi4EEEvPT0_PS3_if
		.amdhsa_group_segment_fixed_size 0
		.amdhsa_private_segment_fixed_size 0
		.amdhsa_kernarg_size 280
		.amdhsa_user_sgpr_count 2
		.amdhsa_user_sgpr_dispatch_ptr 0
		.amdhsa_user_sgpr_queue_ptr 0
		.amdhsa_user_sgpr_kernarg_segment_ptr 1
		.amdhsa_user_sgpr_dispatch_id 0
		.amdhsa_user_sgpr_kernarg_preload_length 0
		.amdhsa_user_sgpr_kernarg_preload_offset 0
		.amdhsa_user_sgpr_private_segment_size 0
		.amdhsa_uses_dynamic_stack 0
		.amdhsa_enable_private_segment 0
		.amdhsa_system_sgpr_workgroup_id_x 1
		.amdhsa_system_sgpr_workgroup_id_y 0
		.amdhsa_system_sgpr_workgroup_id_z 0
		.amdhsa_system_sgpr_workgroup_info 0
		.amdhsa_system_vgpr_workitem_id 0
		.amdhsa_next_free_vgpr 27
		.amdhsa_next_free_sgpr 30
		.amdhsa_accum_offset 28
		.amdhsa_reserve_vcc 1
		.amdhsa_float_round_mode_32 0
		.amdhsa_float_round_mode_16_64 0
		.amdhsa_float_denorm_mode_32 3
		.amdhsa_float_denorm_mode_16_64 3
		.amdhsa_dx10_clamp 1
		.amdhsa_ieee_mode 1
		.amdhsa_fp16_overflow 0
		.amdhsa_tg_split 0
		.amdhsa_exception_fp_ieee_invalid_op 0
		.amdhsa_exception_fp_denorm_src 0
		.amdhsa_exception_fp_ieee_div_zero 0
		.amdhsa_exception_fp_ieee_overflow 0
		.amdhsa_exception_fp_ieee_underflow 0
		.amdhsa_exception_fp_ieee_inexact 0
		.amdhsa_exception_int_div_zero 0
	.end_amdhsa_kernel
	.section	.text._ZN5aiter25scaled_act_and_mul_kernelIDF16_DB8_TnPFfRKT_EXadL_ZNS_11silu_kernelIDF16_EEfS4_EELi4EEEvPT0_PS3_if,"axG",@progbits,_ZN5aiter25scaled_act_and_mul_kernelIDF16_DB8_TnPFfRKT_EXadL_ZNS_11silu_kernelIDF16_EEfS4_EELi4EEEvPT0_PS3_if,comdat
.Lfunc_end499:
	.size	_ZN5aiter25scaled_act_and_mul_kernelIDF16_DB8_TnPFfRKT_EXadL_ZNS_11silu_kernelIDF16_EEfS4_EELi4EEEvPT0_PS3_if, .Lfunc_end499-_ZN5aiter25scaled_act_and_mul_kernelIDF16_DB8_TnPFfRKT_EXadL_ZNS_11silu_kernelIDF16_EEfS4_EELi4EEEvPT0_PS3_if
                                        ; -- End function
	.section	.AMDGPU.csdata,"",@progbits
; Kernel info:
; codeLenInByte = 848
; NumSgprs: 36
; NumVgprs: 27
; NumAgprs: 0
; TotalNumVgprs: 27
; ScratchSize: 0
; MemoryBound: 0
; FloatMode: 240
; IeeeMode: 1
; LDSByteSize: 0 bytes/workgroup (compile time only)
; SGPRBlocks: 4
; VGPRBlocks: 3
; NumSGPRsForWavesPerEU: 36
; NumVGPRsForWavesPerEU: 27
; AccumOffset: 28
; Occupancy: 8
; WaveLimiterHint : 0
; COMPUTE_PGM_RSRC2:SCRATCH_EN: 0
; COMPUTE_PGM_RSRC2:USER_SGPR: 2
; COMPUTE_PGM_RSRC2:TRAP_HANDLER: 0
; COMPUTE_PGM_RSRC2:TGID_X_EN: 1
; COMPUTE_PGM_RSRC2:TGID_Y_EN: 0
; COMPUTE_PGM_RSRC2:TGID_Z_EN: 0
; COMPUTE_PGM_RSRC2:TIDIG_COMP_CNT: 0
; COMPUTE_PGM_RSRC3_GFX90A:ACCUM_OFFSET: 6
; COMPUTE_PGM_RSRC3_GFX90A:TG_SPLIT: 0
	.section	.text._ZN5aiter25scaled_act_and_mul_kernelIDF16_DB8_TnPFfRKT_EXadL_ZNS_11silu_kernelIDF16_EEfS4_EELi2EEEvPT0_PS3_if,"axG",@progbits,_ZN5aiter25scaled_act_and_mul_kernelIDF16_DB8_TnPFfRKT_EXadL_ZNS_11silu_kernelIDF16_EEfS4_EELi2EEEvPT0_PS3_if,comdat
	.protected	_ZN5aiter25scaled_act_and_mul_kernelIDF16_DB8_TnPFfRKT_EXadL_ZNS_11silu_kernelIDF16_EEfS4_EELi2EEEvPT0_PS3_if ; -- Begin function _ZN5aiter25scaled_act_and_mul_kernelIDF16_DB8_TnPFfRKT_EXadL_ZNS_11silu_kernelIDF16_EEfS4_EELi2EEEvPT0_PS3_if
	.globl	_ZN5aiter25scaled_act_and_mul_kernelIDF16_DB8_TnPFfRKT_EXadL_ZNS_11silu_kernelIDF16_EEfS4_EELi2EEEvPT0_PS3_if
	.p2align	8
	.type	_ZN5aiter25scaled_act_and_mul_kernelIDF16_DB8_TnPFfRKT_EXadL_ZNS_11silu_kernelIDF16_EEfS4_EELi2EEEvPT0_PS3_if,@function
_ZN5aiter25scaled_act_and_mul_kernelIDF16_DB8_TnPFfRKT_EXadL_ZNS_11silu_kernelIDF16_EEfS4_EELi2EEEvPT0_PS3_if: ; @_ZN5aiter25scaled_act_and_mul_kernelIDF16_DB8_TnPFfRKT_EXadL_ZNS_11silu_kernelIDF16_EEfS4_EELi2EEEvPT0_PS3_if
; %bb.0:
	s_load_dwordx2 s[10:11], s[0:1], 0x10
	v_lshlrev_b32_e32 v0, 1, v0
	s_waitcnt lgkmcnt(0)
	v_cmp_gt_i32_e32 vcc, s10, v0
	s_and_saveexec_b64 s[4:5], vcc
	s_cbranch_execz .LBB500_3
; %bb.1:
	s_load_dwordx4 s[12:15], s[0:1], 0x0
	s_ashr_i32 s17, s10, 31
	s_mul_hi_u32 s3, s10, s2
	s_mul_i32 s4, s17, s2
	s_add_i32 s3, s3, s4
	s_mul_i32 s2, s10, s2
	s_lshl_b64 s[4:5], s[2:3], 2
	s_mov_b32 s16, s10
	s_waitcnt lgkmcnt(0)
	s_add_u32 s4, s14, s4
	s_addc_u32 s5, s15, s5
	s_lshl_b64 s[6:7], s[16:17], 1
	s_add_u32 s8, s4, s6
	s_addc_u32 s9, s5, s7
	s_add_i32 s6, s10, 1
	s_lshr_b32 s7, s6, 31
	s_add_i32 s6, s6, s7
	s_lshl_b32 s6, s6, 1
	s_and_b32 s6, s6, -4
	s_and_b32 s5, s5, 0xffff
	s_and_b32 s9, s9, 0xffff
	s_add_u32 s12, s12, s2
	s_addc_u32 s2, s13, s3
	s_add_i32 s3, s10, 3
	s_ashr_i32 s10, s3, 31
	s_lshr_b32 s10, s10, 30
	s_add_i32 s3, s3, s10
	s_and_b32 s14, s3, -4
	s_and_b32 s13, s2, 0xffff
	s_mov_b32 s7, 0x20000
	s_mov_b32 s10, s11
	s_add_u32 s2, s0, 24
	s_mov_b32 s15, s7
	v_mov_b32_e32 v1, 0
	s_addc_u32 s3, s1, 0
	s_mov_b64 s[18:19], 0
	s_mov_b32 s21, 0
	s_mov_b32 s22, 0xbfb8aa3b
	;; [unrolled: 1-line block ×5, first 2 shown]
	v_mov_b32_e32 v4, 0x7f800000
	v_mov_b64_e32 v[2:3], s[10:11]
	s_mov_b32 s10, s6
	s_mov_b32 s11, s7
.LBB500_2:                              ; =>This Inner Loop Header: Depth=1
	v_lshlrev_b32_e32 v5, 1, v0
	buffer_load_dword v10, v5, s[4:7], 0 offen sc0 nt
	buffer_load_dword v9, v5, s[8:11], 0 offen sc0 nt
	s_waitcnt vmcnt(1)
	v_cvt_f32_f16_sdwa v7, v10 dst_sel:DWORD dst_unused:UNUSED_PAD src0_sel:WORD_1
	v_cvt_f32_f16_e32 v6, v10
	s_waitcnt vmcnt(0)
	v_cvt_f32_f16_e32 v8, v9
	v_cvt_f32_f16_sdwa v9, v9 dst_sel:DWORD dst_unused:UNUSED_PAD src0_sel:WORD_1
	v_mul_f32_e32 v5, 0xbfb8aa3b, v7
	v_mul_f32_e32 v11, 0xbfb8aa3b, v6
	v_fma_mix_f32 v12, v10, s22, -v5 op_sel:[1,0,0] op_sel_hi:[1,0,0]
	v_rndne_f32_e32 v13, v5
	v_fma_mix_f32 v14, v10, s22, -v11 op_sel_hi:[1,0,0]
	v_rndne_f32_e32 v15, v11
	v_fma_mix_f32 v12, v10, s23, v12 op_sel:[1,0,0] op_sel_hi:[1,0,0]
	v_sub_f32_e32 v5, v5, v13
	v_fma_mix_f32 v10, v10, s23, v14 op_sel_hi:[1,0,0]
	v_sub_f32_e32 v11, v11, v15
	v_add_f32_e32 v5, v5, v12
	v_add_f32_e32 v10, v11, v10
	v_cvt_i32_f32_e32 v13, v13
	v_cvt_i32_f32_e32 v14, v15
	v_exp_f32_e32 v5, v5
	v_exp_f32_e32 v10, v10
	v_cmp_nlt_f32_e32 vcc, s24, v6
	v_cmp_nlt_f32_e64 s[0:1], s24, v7
	v_ldexp_f32 v5, v5, v13
	v_ldexp_f32 v10, v10, v14
	v_cndmask_b32_e64 v5, 0, v5, s[0:1]
	v_cndmask_b32_e32 v10, 0, v10, vcc
	v_cmp_ngt_f32_e32 vcc, s25, v6
	v_cmp_ngt_f32_e64 s[0:1], s25, v7
	s_nop 0
	v_cndmask_b32_e32 v10, v4, v10, vcc
	v_cndmask_b32_e64 v5, v4, v5, s[0:1]
	v_add_f32_e32 v5, 1.0, v5
	v_add_f32_e32 v10, 1.0, v10
	v_rcp_f32_e32 v11, v5
	v_rcp_f32_e32 v10, v10
	s_nop 0
	v_pk_mul_f32 v[6:7], v[10:11], v[6:7]
	s_nop 0
	;;#ASMSTART
	v_pk_mul_f32 v[6:7], v[6:7], v[8:9]
	v_pk_mul_f32 v[6:7], v[6:7], v[2:3]
	;;#ASMEND
	s_load_dword s0, s[2:3], 0xc
	v_cvt_pk_fp8_f32 v5, v7, 0
	v_cvt_pk_fp8_f32 v6, v6, 0
	v_lshlrev_b16_e32 v5, 8, v5
	s_waitcnt lgkmcnt(0)
	s_and_b32 s0, s0, 0xffff
	v_or_b32_sdwa v5, v6, v5 dst_sel:DWORD dst_unused:UNUSED_PAD src0_sel:BYTE_0 src1_sel:DWORD
	s_lshl_b32 s20, s0, 1
	buffer_store_short v5, v0, s[12:15], 0 offen
	v_lshl_add_u64 v[0:1], s[20:21], 0, v[0:1]
	v_cmp_le_i64_e32 vcc, s[16:17], v[0:1]
	s_or_b64 s[18:19], vcc, s[18:19]
	s_andn2_b64 exec, exec, s[18:19]
	s_cbranch_execnz .LBB500_2
.LBB500_3:
	s_endpgm
	.section	.rodata,"a",@progbits
	.p2align	6, 0x0
	.amdhsa_kernel _ZN5aiter25scaled_act_and_mul_kernelIDF16_DB8_TnPFfRKT_EXadL_ZNS_11silu_kernelIDF16_EEfS4_EELi2EEEvPT0_PS3_if
		.amdhsa_group_segment_fixed_size 0
		.amdhsa_private_segment_fixed_size 0
		.amdhsa_kernarg_size 280
		.amdhsa_user_sgpr_count 2
		.amdhsa_user_sgpr_dispatch_ptr 0
		.amdhsa_user_sgpr_queue_ptr 0
		.amdhsa_user_sgpr_kernarg_segment_ptr 1
		.amdhsa_user_sgpr_dispatch_id 0
		.amdhsa_user_sgpr_kernarg_preload_length 0
		.amdhsa_user_sgpr_kernarg_preload_offset 0
		.amdhsa_user_sgpr_private_segment_size 0
		.amdhsa_uses_dynamic_stack 0
		.amdhsa_enable_private_segment 0
		.amdhsa_system_sgpr_workgroup_id_x 1
		.amdhsa_system_sgpr_workgroup_id_y 0
		.amdhsa_system_sgpr_workgroup_id_z 0
		.amdhsa_system_sgpr_workgroup_info 0
		.amdhsa_system_vgpr_workitem_id 0
		.amdhsa_next_free_vgpr 16
		.amdhsa_next_free_sgpr 26
		.amdhsa_accum_offset 16
		.amdhsa_reserve_vcc 1
		.amdhsa_float_round_mode_32 0
		.amdhsa_float_round_mode_16_64 0
		.amdhsa_float_denorm_mode_32 3
		.amdhsa_float_denorm_mode_16_64 3
		.amdhsa_dx10_clamp 1
		.amdhsa_ieee_mode 1
		.amdhsa_fp16_overflow 0
		.amdhsa_tg_split 0
		.amdhsa_exception_fp_ieee_invalid_op 0
		.amdhsa_exception_fp_denorm_src 0
		.amdhsa_exception_fp_ieee_div_zero 0
		.amdhsa_exception_fp_ieee_overflow 0
		.amdhsa_exception_fp_ieee_underflow 0
		.amdhsa_exception_fp_ieee_inexact 0
		.amdhsa_exception_int_div_zero 0
	.end_amdhsa_kernel
	.section	.text._ZN5aiter25scaled_act_and_mul_kernelIDF16_DB8_TnPFfRKT_EXadL_ZNS_11silu_kernelIDF16_EEfS4_EELi2EEEvPT0_PS3_if,"axG",@progbits,_ZN5aiter25scaled_act_and_mul_kernelIDF16_DB8_TnPFfRKT_EXadL_ZNS_11silu_kernelIDF16_EEfS4_EELi2EEEvPT0_PS3_if,comdat
.Lfunc_end500:
	.size	_ZN5aiter25scaled_act_and_mul_kernelIDF16_DB8_TnPFfRKT_EXadL_ZNS_11silu_kernelIDF16_EEfS4_EELi2EEEvPT0_PS3_if, .Lfunc_end500-_ZN5aiter25scaled_act_and_mul_kernelIDF16_DB8_TnPFfRKT_EXadL_ZNS_11silu_kernelIDF16_EEfS4_EELi2EEEvPT0_PS3_if
                                        ; -- End function
	.section	.AMDGPU.csdata,"",@progbits
; Kernel info:
; codeLenInByte = 592
; NumSgprs: 32
; NumVgprs: 16
; NumAgprs: 0
; TotalNumVgprs: 16
; ScratchSize: 0
; MemoryBound: 0
; FloatMode: 240
; IeeeMode: 1
; LDSByteSize: 0 bytes/workgroup (compile time only)
; SGPRBlocks: 3
; VGPRBlocks: 1
; NumSGPRsForWavesPerEU: 32
; NumVGPRsForWavesPerEU: 16
; AccumOffset: 16
; Occupancy: 8
; WaveLimiterHint : 0
; COMPUTE_PGM_RSRC2:SCRATCH_EN: 0
; COMPUTE_PGM_RSRC2:USER_SGPR: 2
; COMPUTE_PGM_RSRC2:TRAP_HANDLER: 0
; COMPUTE_PGM_RSRC2:TGID_X_EN: 1
; COMPUTE_PGM_RSRC2:TGID_Y_EN: 0
; COMPUTE_PGM_RSRC2:TGID_Z_EN: 0
; COMPUTE_PGM_RSRC2:TIDIG_COMP_CNT: 0
; COMPUTE_PGM_RSRC3_GFX90A:ACCUM_OFFSET: 3
; COMPUTE_PGM_RSRC3_GFX90A:TG_SPLIT: 0
	.section	.text._ZN5aiter25scaled_act_and_mul_kernelIDF16_DB8_TnPFfRKT_EXadL_ZNS_11silu_kernelIDF16_EEfS4_EELi1EEEvPT0_PS3_if,"axG",@progbits,_ZN5aiter25scaled_act_and_mul_kernelIDF16_DB8_TnPFfRKT_EXadL_ZNS_11silu_kernelIDF16_EEfS4_EELi1EEEvPT0_PS3_if,comdat
	.protected	_ZN5aiter25scaled_act_and_mul_kernelIDF16_DB8_TnPFfRKT_EXadL_ZNS_11silu_kernelIDF16_EEfS4_EELi1EEEvPT0_PS3_if ; -- Begin function _ZN5aiter25scaled_act_and_mul_kernelIDF16_DB8_TnPFfRKT_EXadL_ZNS_11silu_kernelIDF16_EEfS4_EELi1EEEvPT0_PS3_if
	.globl	_ZN5aiter25scaled_act_and_mul_kernelIDF16_DB8_TnPFfRKT_EXadL_ZNS_11silu_kernelIDF16_EEfS4_EELi1EEEvPT0_PS3_if
	.p2align	8
	.type	_ZN5aiter25scaled_act_and_mul_kernelIDF16_DB8_TnPFfRKT_EXadL_ZNS_11silu_kernelIDF16_EEfS4_EELi1EEEvPT0_PS3_if,@function
_ZN5aiter25scaled_act_and_mul_kernelIDF16_DB8_TnPFfRKT_EXadL_ZNS_11silu_kernelIDF16_EEfS4_EELi1EEEvPT0_PS3_if: ; @_ZN5aiter25scaled_act_and_mul_kernelIDF16_DB8_TnPFfRKT_EXadL_ZNS_11silu_kernelIDF16_EEfS4_EELi1EEEvPT0_PS3_if
; %bb.0:
	s_load_dwordx2 s[12:13], s[0:1], 0x10
	s_waitcnt lgkmcnt(0)
	v_cmp_gt_i32_e32 vcc, s12, v0
	s_and_saveexec_b64 s[4:5], vcc
	s_cbranch_execz .LBB501_3
; %bb.1:
	s_load_dwordx4 s[8:11], s[0:1], 0x0
	s_load_dword s16, s[0:1], 0x24
	s_ashr_i32 s15, s12, 31
	s_mul_hi_u32 s3, s12, s2
	s_mul_i32 s4, s15, s2
	s_add_i32 s7, s3, s4
	s_mul_i32 s6, s12, s2
	s_lshl_b64 s[2:3], s[6:7], 2
	s_mov_b32 s14, s12
	s_waitcnt lgkmcnt(0)
	s_add_u32 s0, s10, s2
	s_addc_u32 s1, s11, s3
	s_lshl_b64 s[2:3], s[14:15], 1
	s_add_u32 s4, s0, s2
	s_addc_u32 s5, s1, s3
	s_add_i32 s2, s12, 1
	s_lshr_b32 s3, s2, 31
	s_add_i32 s2, s2, s3
	s_lshl_b32 s2, s2, 1
	s_and_b32 s2, s2, -4
	s_and_b32 s1, s1, 0xffff
	s_and_b32 s5, s5, 0xffff
	s_add_u32 s8, s8, s6
	s_addc_u32 s6, s9, s7
	s_add_i32 s7, s12, 3
	s_ashr_i32 s9, s7, 31
	s_lshr_b32 s9, s9, 30
	s_mov_b32 s3, 0x20000
	s_add_i32 s7, s7, s9
	s_and_b32 s16, s16, 0xffff
	s_and_b32 s10, s7, -4
	s_and_b32 s9, s6, 0xffff
	s_mov_b32 s11, s3
	s_mov_b32 s17, 0
	v_mov_b32_e32 v1, 0
	v_lshlrev_b32_e32 v2, 1, v0
	s_lshl_b32 s12, s16, 1
	s_mov_b64 s[18:19], 0
	s_mov_b32 s6, s2
	s_mov_b32 s7, s3
	;; [unrolled: 1-line block ×6, first 2 shown]
	v_mov_b32_e32 v3, 0x7f800000
.LBB501_2:                              ; =>This Inner Loop Header: Depth=1
	buffer_load_ushort v4, v2, s[0:3], 0 offen sc0 nt
	buffer_load_ushort v5, v2, s[4:7], 0 offen sc0 nt
	v_add_u32_e32 v2, s12, v2
	s_waitcnt vmcnt(1)
	v_cvt_f32_f16_e32 v6, v4
	s_waitcnt vmcnt(0)
	v_cvt_f32_f16_e32 v5, v5
	v_mul_f32_e32 v7, 0xbfb8aa3b, v6
	v_fma_mix_f32 v8, v4, s20, -v7 op_sel_hi:[1,0,0]
	v_rndne_f32_e32 v9, v7
	v_fma_mix_f32 v4, v4, s21, v8 op_sel_hi:[1,0,0]
	v_sub_f32_e32 v7, v7, v9
	v_add_f32_e32 v4, v7, v4
	v_cvt_i32_f32_e32 v8, v9
	v_exp_f32_e32 v4, v4
	v_cmp_nlt_f32_e32 vcc, s22, v6
	v_ldexp_f32 v4, v4, v8
	s_nop 0
	v_cndmask_b32_e32 v4, 0, v4, vcc
	v_cmp_ngt_f32_e32 vcc, s23, v6
	s_nop 1
	v_cndmask_b32_e32 v4, v3, v4, vcc
	v_add_f32_e32 v4, 1.0, v4
	v_rcp_f32_e32 v4, v4
	s_nop 0
	v_mul_f32_e32 v4, v4, v6
	v_mul_f32_e32 v4, v4, v5
	;; [unrolled: 1-line block ×3, first 2 shown]
	v_cvt_pk_fp8_f32 v4, v4, 0
	buffer_store_byte v4, v0, s[8:11], 0 offen
	v_lshl_add_u64 v[0:1], v[0:1], 0, s[16:17]
	v_cmp_le_i64_e32 vcc, s[14:15], v[0:1]
	s_or_b64 s[18:19], vcc, s[18:19]
	s_andn2_b64 exec, exec, s[18:19]
	s_cbranch_execnz .LBB501_2
.LBB501_3:
	s_endpgm
	.section	.rodata,"a",@progbits
	.p2align	6, 0x0
	.amdhsa_kernel _ZN5aiter25scaled_act_and_mul_kernelIDF16_DB8_TnPFfRKT_EXadL_ZNS_11silu_kernelIDF16_EEfS4_EELi1EEEvPT0_PS3_if
		.amdhsa_group_segment_fixed_size 0
		.amdhsa_private_segment_fixed_size 0
		.amdhsa_kernarg_size 280
		.amdhsa_user_sgpr_count 2
		.amdhsa_user_sgpr_dispatch_ptr 0
		.amdhsa_user_sgpr_queue_ptr 0
		.amdhsa_user_sgpr_kernarg_segment_ptr 1
		.amdhsa_user_sgpr_dispatch_id 0
		.amdhsa_user_sgpr_kernarg_preload_length 0
		.amdhsa_user_sgpr_kernarg_preload_offset 0
		.amdhsa_user_sgpr_private_segment_size 0
		.amdhsa_uses_dynamic_stack 0
		.amdhsa_enable_private_segment 0
		.amdhsa_system_sgpr_workgroup_id_x 1
		.amdhsa_system_sgpr_workgroup_id_y 0
		.amdhsa_system_sgpr_workgroup_id_z 0
		.amdhsa_system_sgpr_workgroup_info 0
		.amdhsa_system_vgpr_workitem_id 0
		.amdhsa_next_free_vgpr 10
		.amdhsa_next_free_sgpr 24
		.amdhsa_accum_offset 12
		.amdhsa_reserve_vcc 1
		.amdhsa_float_round_mode_32 0
		.amdhsa_float_round_mode_16_64 0
		.amdhsa_float_denorm_mode_32 3
		.amdhsa_float_denorm_mode_16_64 3
		.amdhsa_dx10_clamp 1
		.amdhsa_ieee_mode 1
		.amdhsa_fp16_overflow 0
		.amdhsa_tg_split 0
		.amdhsa_exception_fp_ieee_invalid_op 0
		.amdhsa_exception_fp_denorm_src 0
		.amdhsa_exception_fp_ieee_div_zero 0
		.amdhsa_exception_fp_ieee_overflow 0
		.amdhsa_exception_fp_ieee_underflow 0
		.amdhsa_exception_fp_ieee_inexact 0
		.amdhsa_exception_int_div_zero 0
	.end_amdhsa_kernel
	.section	.text._ZN5aiter25scaled_act_and_mul_kernelIDF16_DB8_TnPFfRKT_EXadL_ZNS_11silu_kernelIDF16_EEfS4_EELi1EEEvPT0_PS3_if,"axG",@progbits,_ZN5aiter25scaled_act_and_mul_kernelIDF16_DB8_TnPFfRKT_EXadL_ZNS_11silu_kernelIDF16_EEfS4_EELi1EEEvPT0_PS3_if,comdat
.Lfunc_end501:
	.size	_ZN5aiter25scaled_act_and_mul_kernelIDF16_DB8_TnPFfRKT_EXadL_ZNS_11silu_kernelIDF16_EEfS4_EELi1EEEvPT0_PS3_if, .Lfunc_end501-_ZN5aiter25scaled_act_and_mul_kernelIDF16_DB8_TnPFfRKT_EXadL_ZNS_11silu_kernelIDF16_EEfS4_EELi1EEEvPT0_PS3_if
                                        ; -- End function
	.section	.AMDGPU.csdata,"",@progbits
; Kernel info:
; codeLenInByte = 432
; NumSgprs: 30
; NumVgprs: 10
; NumAgprs: 0
; TotalNumVgprs: 10
; ScratchSize: 0
; MemoryBound: 0
; FloatMode: 240
; IeeeMode: 1
; LDSByteSize: 0 bytes/workgroup (compile time only)
; SGPRBlocks: 3
; VGPRBlocks: 1
; NumSGPRsForWavesPerEU: 30
; NumVGPRsForWavesPerEU: 10
; AccumOffset: 12
; Occupancy: 8
; WaveLimiterHint : 0
; COMPUTE_PGM_RSRC2:SCRATCH_EN: 0
; COMPUTE_PGM_RSRC2:USER_SGPR: 2
; COMPUTE_PGM_RSRC2:TRAP_HANDLER: 0
; COMPUTE_PGM_RSRC2:TGID_X_EN: 1
; COMPUTE_PGM_RSRC2:TGID_Y_EN: 0
; COMPUTE_PGM_RSRC2:TGID_Z_EN: 0
; COMPUTE_PGM_RSRC2:TIDIG_COMP_CNT: 0
; COMPUTE_PGM_RSRC3_GFX90A:ACCUM_OFFSET: 2
; COMPUTE_PGM_RSRC3_GFX90A:TG_SPLIT: 0
	.section	.text._ZN5aiter25scaled_act_and_mul_kernelIDF16_aTnPFfRKT_EXadL_ZNS_11silu_kernelIDF16_EEfS3_EELi16EEEvPT0_PS2_if,"axG",@progbits,_ZN5aiter25scaled_act_and_mul_kernelIDF16_aTnPFfRKT_EXadL_ZNS_11silu_kernelIDF16_EEfS3_EELi16EEEvPT0_PS2_if,comdat
	.protected	_ZN5aiter25scaled_act_and_mul_kernelIDF16_aTnPFfRKT_EXadL_ZNS_11silu_kernelIDF16_EEfS3_EELi16EEEvPT0_PS2_if ; -- Begin function _ZN5aiter25scaled_act_and_mul_kernelIDF16_aTnPFfRKT_EXadL_ZNS_11silu_kernelIDF16_EEfS3_EELi16EEEvPT0_PS2_if
	.globl	_ZN5aiter25scaled_act_and_mul_kernelIDF16_aTnPFfRKT_EXadL_ZNS_11silu_kernelIDF16_EEfS3_EELi16EEEvPT0_PS2_if
	.p2align	8
	.type	_ZN5aiter25scaled_act_and_mul_kernelIDF16_aTnPFfRKT_EXadL_ZNS_11silu_kernelIDF16_EEfS3_EELi16EEEvPT0_PS2_if,@function
_ZN5aiter25scaled_act_and_mul_kernelIDF16_aTnPFfRKT_EXadL_ZNS_11silu_kernelIDF16_EEfS3_EELi16EEEvPT0_PS2_if: ; @_ZN5aiter25scaled_act_and_mul_kernelIDF16_aTnPFfRKT_EXadL_ZNS_11silu_kernelIDF16_EEfS3_EELi16EEEvPT0_PS2_if
; %bb.0:
	s_load_dwordx2 s[10:11], s[0:1], 0x10
	v_lshlrev_b32_e32 v16, 4, v0
	s_waitcnt lgkmcnt(0)
	v_cmp_gt_i32_e32 vcc, s10, v16
	s_and_saveexec_b64 s[4:5], vcc
	s_cbranch_execz .LBB502_3
; %bb.1:
	s_load_dwordx4 s[12:15], s[0:1], 0x0
	s_ashr_i32 s17, s10, 31
	s_mul_hi_u32 s3, s10, s2
	s_mul_i32 s4, s17, s2
	s_add_i32 s3, s3, s4
	s_mul_i32 s2, s10, s2
	s_lshl_b64 s[4:5], s[2:3], 2
	s_mov_b32 s16, s10
	s_waitcnt lgkmcnt(0)
	s_add_u32 s4, s14, s4
	s_addc_u32 s5, s15, s5
	s_lshl_b64 s[6:7], s[16:17], 1
	s_add_u32 s8, s4, s6
	s_addc_u32 s9, s5, s7
	s_add_i32 s6, s10, 1
	s_lshr_b32 s7, s6, 31
	s_add_i32 s6, s6, s7
	s_lshl_b32 s6, s6, 1
	s_and_b32 s6, s6, -4
	s_and_b32 s5, s5, 0xffff
	s_and_b32 s9, s9, 0xffff
	s_add_u32 s12, s12, s2
	s_addc_u32 s2, s13, s3
	s_add_i32 s3, s10, 3
	s_ashr_i32 s10, s3, 31
	s_lshr_b32 s10, s10, 30
	s_add_i32 s3, s3, s10
	s_and_b32 s14, s3, -4
	s_and_b32 s13, s2, 0xffff
	s_mov_b32 s7, 0x20000
	s_mov_b32 s10, s11
	s_add_u32 s0, s0, 24
	s_mov_b32 s15, s7
	v_mov_b32_e32 v17, 0
	s_addc_u32 s1, s1, 0
	s_mov_b64 s[2:3], 0
	s_mov_b32 s19, 0
	s_mov_b32 s20, 0xbfb8aa3b
	;; [unrolled: 1-line block ×5, first 2 shown]
	v_mov_b32_e32 v20, 0x7f800000
	v_mov_b64_e32 v[18:19], s[10:11]
	s_mov_b32 s10, s6
	s_mov_b32 s11, s7
.LBB502_2:                              ; =>This Inner Loop Header: Depth=1
	v_lshlrev_b32_e32 v21, 1, v16
	buffer_load_dwordx4 v[12:15], v21, s[4:7], 0 offen sc0 nt
	buffer_load_dwordx4 v[4:7], v21, s[4:7], 16 offen sc0 nt
	;; [unrolled: 1-line block ×4, first 2 shown]
	s_waitcnt vmcnt(3)
	v_cvt_f32_f16_e32 v22, v12
	v_cvt_f32_f16_sdwa v23, v12 dst_sel:DWORD dst_unused:UNUSED_PAD src0_sel:WORD_1
	v_mul_f32_e32 v21, 0xbfb8aa3b, v22
	v_fma_mix_f32 v24, v12, s20, -v21 op_sel_hi:[1,0,0]
	v_rndne_f32_e32 v25, v21
	v_fma_mix_f32 v24, v12, s21, v24 op_sel_hi:[1,0,0]
	v_sub_f32_e32 v21, v21, v25
	v_add_f32_e32 v21, v21, v24
	v_exp_f32_e32 v21, v21
	v_cvt_i32_f32_e32 v24, v25
	v_cmp_nlt_f32_e32 vcc, s22, v22
	v_ldexp_f32 v21, v21, v24
	s_nop 0
	v_cndmask_b32_e32 v21, 0, v21, vcc
	v_cmp_ngt_f32_e32 vcc, s23, v22
	s_nop 1
	v_cndmask_b32_e32 v21, v20, v21, vcc
	v_add_f32_e32 v21, 1.0, v21
	v_rcp_f32_e32 v24, v21
	v_mul_f32_e32 v21, 0xbfb8aa3b, v23
	v_fma_mix_f32 v25, v12, s20, -v21 op_sel:[1,0,0] op_sel_hi:[1,0,0]
	v_cmp_nlt_f32_e32 vcc, s22, v23
	v_fma_mix_f32 v12, v12, s21, v25 op_sel:[1,0,0] op_sel_hi:[1,0,0]
	v_rndne_f32_e32 v25, v21
	v_sub_f32_e32 v21, v21, v25
	v_add_f32_e32 v12, v21, v12
	v_exp_f32_e32 v12, v12
	v_cvt_i32_f32_e32 v21, v25
	v_ldexp_f32 v12, v12, v21
	v_cndmask_b32_e32 v12, 0, v12, vcc
	v_cmp_ngt_f32_e32 vcc, s23, v23
	s_nop 1
	v_cndmask_b32_e32 v12, v20, v12, vcc
	v_add_f32_e32 v12, 1.0, v12
	v_rcp_f32_e32 v25, v12
	s_nop 0
	v_pk_mul_f32 v[22:23], v[24:25], v[22:23]
	s_waitcnt vmcnt(1)
	v_cvt_f32_f16_e32 v24, v8
	v_cvt_f32_f16_sdwa v25, v8 dst_sel:DWORD dst_unused:UNUSED_PAD src0_sel:WORD_1
	;;#ASMSTART
	v_pk_mul_f32 v[22:23], v[22:23], v[24:25]
	v_pk_mul_f32 v[22:23], v[22:23], v[18:19]
	;;#ASMEND
	s_nop 0
	v_cvt_i32_f32_e32 v8, v22
	v_cvt_f32_f16_e32 v22, v13
	v_cvt_i32_f32_sdwa v12, v23 dst_sel:BYTE_1 dst_unused:UNUSED_PAD src0_sel:DWORD
	v_cvt_f32_f16_sdwa v23, v13 dst_sel:DWORD dst_unused:UNUSED_PAD src0_sel:WORD_1
	v_mul_f32_e32 v21, 0xbfb8aa3b, v22
	v_fma_mix_f32 v24, v13, s20, -v21 op_sel_hi:[1,0,0]
	v_rndne_f32_e32 v25, v21
	v_fma_mix_f32 v24, v13, s21, v24 op_sel_hi:[1,0,0]
	v_sub_f32_e32 v21, v21, v25
	v_add_f32_e32 v21, v21, v24
	v_exp_f32_e32 v21, v21
	v_cvt_i32_f32_e32 v24, v25
	v_cmp_nlt_f32_e32 vcc, s22, v22
	v_ldexp_f32 v21, v21, v24
	s_nop 0
	v_cndmask_b32_e32 v21, 0, v21, vcc
	v_cmp_ngt_f32_e32 vcc, s23, v22
	s_nop 1
	v_cndmask_b32_e32 v21, v20, v21, vcc
	v_add_f32_e32 v21, 1.0, v21
	v_rcp_f32_e32 v24, v21
	v_mul_f32_e32 v21, 0xbfb8aa3b, v23
	v_fma_mix_f32 v25, v13, s20, -v21 op_sel:[1,0,0] op_sel_hi:[1,0,0]
	v_cmp_nlt_f32_e32 vcc, s22, v23
	v_fma_mix_f32 v13, v13, s21, v25 op_sel:[1,0,0] op_sel_hi:[1,0,0]
	v_rndne_f32_e32 v25, v21
	v_sub_f32_e32 v21, v21, v25
	v_add_f32_e32 v13, v21, v13
	v_exp_f32_e32 v13, v13
	v_cvt_i32_f32_e32 v21, v25
	v_ldexp_f32 v13, v13, v21
	v_cndmask_b32_e32 v13, 0, v13, vcc
	v_cmp_ngt_f32_e32 vcc, s23, v23
	s_nop 1
	v_cndmask_b32_e32 v13, v20, v13, vcc
	v_add_f32_e32 v13, 1.0, v13
	v_rcp_f32_e32 v25, v13
	s_nop 0
	v_pk_mul_f32 v[22:23], v[24:25], v[22:23]
	v_cvt_f32_f16_e32 v24, v9
	v_cvt_f32_f16_sdwa v25, v9 dst_sel:DWORD dst_unused:UNUSED_PAD src0_sel:WORD_1
	;;#ASMSTART
	v_pk_mul_f32 v[22:23], v[22:23], v[24:25]
	v_pk_mul_f32 v[22:23], v[22:23], v[18:19]
	;;#ASMEND
	s_nop 0
	v_cvt_i32_f32_e32 v9, v22
	v_cvt_f32_f16_e32 v22, v14
	v_cvt_i32_f32_sdwa v13, v23 dst_sel:BYTE_1 dst_unused:UNUSED_PAD src0_sel:DWORD
	v_cvt_f32_f16_sdwa v23, v14 dst_sel:DWORD dst_unused:UNUSED_PAD src0_sel:WORD_1
	v_mul_f32_e32 v21, 0xbfb8aa3b, v22
	v_fma_mix_f32 v24, v14, s20, -v21 op_sel_hi:[1,0,0]
	v_rndne_f32_e32 v25, v21
	v_fma_mix_f32 v24, v14, s21, v24 op_sel_hi:[1,0,0]
	v_sub_f32_e32 v21, v21, v25
	v_add_f32_e32 v21, v21, v24
	v_exp_f32_e32 v21, v21
	v_cvt_i32_f32_e32 v24, v25
	v_cmp_nlt_f32_e32 vcc, s22, v22
	v_ldexp_f32 v21, v21, v24
	s_nop 0
	v_cndmask_b32_e32 v21, 0, v21, vcc
	v_cmp_ngt_f32_e32 vcc, s23, v22
	s_nop 1
	v_cndmask_b32_e32 v21, v20, v21, vcc
	v_add_f32_e32 v21, 1.0, v21
	v_rcp_f32_e32 v24, v21
	v_mul_f32_e32 v21, 0xbfb8aa3b, v23
	v_fma_mix_f32 v25, v14, s20, -v21 op_sel:[1,0,0] op_sel_hi:[1,0,0]
	v_cmp_nlt_f32_e32 vcc, s22, v23
	v_fma_mix_f32 v14, v14, s21, v25 op_sel:[1,0,0] op_sel_hi:[1,0,0]
	v_rndne_f32_e32 v25, v21
	v_sub_f32_e32 v21, v21, v25
	v_add_f32_e32 v14, v21, v14
	v_exp_f32_e32 v14, v14
	v_cvt_i32_f32_e32 v21, v25
	v_ldexp_f32 v14, v14, v21
	v_cndmask_b32_e32 v14, 0, v14, vcc
	v_cmp_ngt_f32_e32 vcc, s23, v23
	s_nop 1
	v_cndmask_b32_e32 v14, v20, v14, vcc
	v_add_f32_e32 v14, 1.0, v14
	v_rcp_f32_e32 v25, v14
	s_nop 0
	v_pk_mul_f32 v[22:23], v[24:25], v[22:23]
	;; [unrolled: 46-line block ×4, first 2 shown]
	s_waitcnt vmcnt(0)
	v_cvt_f32_f16_e32 v24, v0
	v_cvt_f32_f16_sdwa v25, v0 dst_sel:DWORD dst_unused:UNUSED_PAD src0_sel:WORD_1
	;;#ASMSTART
	v_pk_mul_f32 v[22:23], v[22:23], v[24:25]
	v_pk_mul_f32 v[22:23], v[22:23], v[18:19]
	;;#ASMEND
	s_nop 0
	v_cvt_i32_f32_e32 v4, v22
	v_cvt_f32_f16_e32 v22, v5
	v_cvt_i32_f32_sdwa v21, v23 dst_sel:BYTE_1 dst_unused:UNUSED_PAD src0_sel:DWORD
	v_cvt_f32_f16_sdwa v23, v5 dst_sel:DWORD dst_unused:UNUSED_PAD src0_sel:WORD_1
	v_mul_f32_e32 v0, 0xbfb8aa3b, v22
	v_fma_mix_f32 v24, v5, s20, -v0 op_sel_hi:[1,0,0]
	v_rndne_f32_e32 v25, v0
	v_fma_mix_f32 v24, v5, s21, v24 op_sel_hi:[1,0,0]
	v_sub_f32_e32 v0, v0, v25
	v_add_f32_e32 v0, v0, v24
	v_exp_f32_e32 v0, v0
	v_cvt_i32_f32_e32 v24, v25
	v_cmp_nlt_f32_e32 vcc, s22, v22
	v_ldexp_f32 v0, v0, v24
	s_nop 0
	v_cndmask_b32_e32 v0, 0, v0, vcc
	v_cmp_ngt_f32_e32 vcc, s23, v22
	s_nop 1
	v_cndmask_b32_e32 v0, v20, v0, vcc
	v_add_f32_e32 v0, 1.0, v0
	v_rcp_f32_e32 v24, v0
	v_mul_f32_e32 v0, 0xbfb8aa3b, v23
	v_fma_mix_f32 v25, v5, s20, -v0 op_sel:[1,0,0] op_sel_hi:[1,0,0]
	v_cmp_nlt_f32_e32 vcc, s22, v23
	v_fma_mix_f32 v5, v5, s21, v25 op_sel:[1,0,0] op_sel_hi:[1,0,0]
	v_rndne_f32_e32 v25, v0
	v_sub_f32_e32 v0, v0, v25
	v_add_f32_e32 v0, v0, v5
	v_exp_f32_e32 v0, v0
	v_cvt_i32_f32_e32 v5, v25
	v_ldexp_f32 v0, v0, v5
	v_cndmask_b32_e32 v0, 0, v0, vcc
	v_cmp_ngt_f32_e32 vcc, s23, v23
	s_nop 1
	v_cndmask_b32_e32 v0, v20, v0, vcc
	v_add_f32_e32 v0, 1.0, v0
	v_rcp_f32_e32 v25, v0
	v_cvt_f32_f16_e32 v0, v1
	v_cvt_f32_f16_sdwa v1, v1 dst_sel:DWORD dst_unused:UNUSED_PAD src0_sel:WORD_1
	v_pk_mul_f32 v[22:23], v[24:25], v[22:23]
	s_nop 0
	;;#ASMSTART
	v_pk_mul_f32 v[0:1], v[22:23], v[0:1]
	v_pk_mul_f32 v[0:1], v[0:1], v[18:19]
	;;#ASMEND
	s_nop 0
	v_cvt_i32_f32_e32 v5, v0
	v_cvt_f32_f16_e32 v0, v6
	v_cvt_i32_f32_sdwa v22, v1 dst_sel:BYTE_1 dst_unused:UNUSED_PAD src0_sel:DWORD
	v_cvt_f32_f16_sdwa v1, v6 dst_sel:DWORD dst_unused:UNUSED_PAD src0_sel:WORD_1
	v_mul_f32_e32 v23, 0xbfb8aa3b, v0
	v_fma_mix_f32 v24, v6, s20, -v23 op_sel_hi:[1,0,0]
	v_rndne_f32_e32 v25, v23
	v_fma_mix_f32 v24, v6, s21, v24 op_sel_hi:[1,0,0]
	v_sub_f32_e32 v23, v23, v25
	v_add_f32_e32 v23, v23, v24
	v_exp_f32_e32 v23, v23
	v_cvt_i32_f32_e32 v24, v25
	v_cmp_nlt_f32_e32 vcc, s22, v0
	v_ldexp_f32 v23, v23, v24
	s_nop 0
	v_cndmask_b32_e32 v23, 0, v23, vcc
	v_cmp_ngt_f32_e32 vcc, s23, v0
	s_nop 1
	v_cndmask_b32_e32 v23, v20, v23, vcc
	v_add_f32_e32 v23, 1.0, v23
	v_rcp_f32_e32 v24, v23
	v_mul_f32_e32 v23, 0xbfb8aa3b, v1
	v_fma_mix_f32 v25, v6, s20, -v23 op_sel:[1,0,0] op_sel_hi:[1,0,0]
	v_cmp_nlt_f32_e32 vcc, s22, v1
	v_fma_mix_f32 v6, v6, s21, v25 op_sel:[1,0,0] op_sel_hi:[1,0,0]
	v_rndne_f32_e32 v25, v23
	v_sub_f32_e32 v23, v23, v25
	v_add_f32_e32 v6, v23, v6
	v_exp_f32_e32 v6, v6
	v_cvt_i32_f32_e32 v23, v25
	v_ldexp_f32 v6, v6, v23
	v_cndmask_b32_e32 v6, 0, v6, vcc
	v_cmp_ngt_f32_e32 vcc, s23, v1
	s_nop 1
	v_cndmask_b32_e32 v6, v20, v6, vcc
	v_add_f32_e32 v6, 1.0, v6
	v_rcp_f32_e32 v25, v6
	s_nop 0
	v_pk_mul_f32 v[0:1], v[24:25], v[0:1]
	v_cvt_f32_f16_e32 v24, v2
	v_cvt_f32_f16_sdwa v25, v2 dst_sel:DWORD dst_unused:UNUSED_PAD src0_sel:WORD_1
	;;#ASMSTART
	v_pk_mul_f32 v[0:1], v[0:1], v[24:25]
	v_pk_mul_f32 v[0:1], v[0:1], v[18:19]
	;;#ASMEND
	s_nop 0
	v_cvt_i32_f32_e32 v6, v0
	v_cvt_f32_f16_e32 v0, v7
	v_cvt_i32_f32_sdwa v23, v1 dst_sel:BYTE_1 dst_unused:UNUSED_PAD src0_sel:DWORD
	v_cvt_f32_f16_sdwa v1, v7 dst_sel:DWORD dst_unused:UNUSED_PAD src0_sel:WORD_1
	v_mul_f32_e32 v2, 0xbfb8aa3b, v0
	v_fma_mix_f32 v24, v7, s20, -v2 op_sel_hi:[1,0,0]
	v_rndne_f32_e32 v25, v2
	v_fma_mix_f32 v24, v7, s21, v24 op_sel_hi:[1,0,0]
	v_sub_f32_e32 v2, v2, v25
	v_add_f32_e32 v2, v2, v24
	v_exp_f32_e32 v2, v2
	v_cvt_i32_f32_e32 v24, v25
	v_cmp_nlt_f32_e32 vcc, s22, v0
	v_ldexp_f32 v2, v2, v24
	s_nop 0
	v_cndmask_b32_e32 v2, 0, v2, vcc
	v_cmp_ngt_f32_e32 vcc, s23, v0
	s_nop 1
	v_cndmask_b32_e32 v2, v20, v2, vcc
	v_add_f32_e32 v2, 1.0, v2
	v_rcp_f32_e32 v24, v2
	v_mul_f32_e32 v2, 0xbfb8aa3b, v1
	v_fma_mix_f32 v25, v7, s20, -v2 op_sel:[1,0,0] op_sel_hi:[1,0,0]
	v_cmp_nlt_f32_e32 vcc, s22, v1
	v_fma_mix_f32 v7, v7, s21, v25 op_sel:[1,0,0] op_sel_hi:[1,0,0]
	v_rndne_f32_e32 v25, v2
	v_sub_f32_e32 v2, v2, v25
	v_add_f32_e32 v2, v2, v7
	v_exp_f32_e32 v2, v2
	v_cvt_i32_f32_e32 v7, v25
	v_ldexp_f32 v2, v2, v7
	v_cndmask_b32_e32 v2, 0, v2, vcc
	v_cmp_ngt_f32_e32 vcc, s23, v1
	s_nop 1
	v_cndmask_b32_e32 v2, v20, v2, vcc
	v_add_f32_e32 v2, 1.0, v2
	v_rcp_f32_e32 v25, v2
	v_cvt_f32_f16_e32 v2, v3
	v_cvt_f32_f16_sdwa v3, v3 dst_sel:DWORD dst_unused:UNUSED_PAD src0_sel:WORD_1
	v_pk_mul_f32 v[0:1], v[24:25], v[0:1]
	s_nop 0
	;;#ASMSTART
	v_pk_mul_f32 v[0:1], v[0:1], v[2:3]
	v_pk_mul_f32 v[0:1], v[0:1], v[18:19]
	;;#ASMEND
	s_load_dword s18, s[0:1], 0xc
	v_cvt_i32_f32_e32 v3, v0
	v_cvt_i32_f32_sdwa v7, v1 dst_sel:BYTE_1 dst_unused:UNUSED_PAD src0_sel:DWORD
	v_or_b32_sdwa v0, v8, v12 dst_sel:DWORD dst_unused:UNUSED_PAD src0_sel:BYTE_0 src1_sel:DWORD
	v_or_b32_sdwa v1, v9, v13 dst_sel:WORD_1 dst_unused:UNUSED_PAD src0_sel:BYTE_0 src1_sel:DWORD
	v_or_b32_sdwa v2, v11, v15 dst_sel:WORD_1 dst_unused:UNUSED_PAD src0_sel:BYTE_0 src1_sel:DWORD
	v_or_b32_sdwa v0, v0, v1 dst_sel:DWORD dst_unused:UNUSED_PAD src0_sel:WORD_0 src1_sel:DWORD
	v_or_b32_sdwa v1, v10, v14 dst_sel:DWORD dst_unused:UNUSED_PAD src0_sel:BYTE_0 src1_sel:DWORD
	v_or_b32_sdwa v1, v1, v2 dst_sel:DWORD dst_unused:UNUSED_PAD src0_sel:WORD_0 src1_sel:DWORD
	v_or_b32_sdwa v2, v4, v21 dst_sel:DWORD dst_unused:UNUSED_PAD src0_sel:BYTE_0 src1_sel:DWORD
	v_or_b32_sdwa v4, v5, v22 dst_sel:WORD_1 dst_unused:UNUSED_PAD src0_sel:BYTE_0 src1_sel:DWORD
	v_or_b32_sdwa v3, v3, v7 dst_sel:WORD_1 dst_unused:UNUSED_PAD src0_sel:BYTE_0 src1_sel:DWORD
	v_or_b32_sdwa v2, v2, v4 dst_sel:DWORD dst_unused:UNUSED_PAD src0_sel:WORD_0 src1_sel:DWORD
	v_or_b32_sdwa v4, v6, v23 dst_sel:DWORD dst_unused:UNUSED_PAD src0_sel:BYTE_0 src1_sel:DWORD
	s_waitcnt lgkmcnt(0)
	s_and_b32 s18, s18, 0xffff
	v_or_b32_sdwa v3, v4, v3 dst_sel:DWORD dst_unused:UNUSED_PAD src0_sel:WORD_0 src1_sel:DWORD
	s_lshl_b32 s18, s18, 4
	buffer_store_dwordx4 v[0:3], v16, s[12:15], 0 offen
	v_lshl_add_u64 v[16:17], s[18:19], 0, v[16:17]
	v_cmp_le_i64_e32 vcc, s[16:17], v[16:17]
	s_or_b64 s[2:3], vcc, s[2:3]
	s_andn2_b64 exec, exec, s[2:3]
	s_cbranch_execnz .LBB502_2
.LBB502_3:
	s_endpgm
	.section	.rodata,"a",@progbits
	.p2align	6, 0x0
	.amdhsa_kernel _ZN5aiter25scaled_act_and_mul_kernelIDF16_aTnPFfRKT_EXadL_ZNS_11silu_kernelIDF16_EEfS3_EELi16EEEvPT0_PS2_if
		.amdhsa_group_segment_fixed_size 0
		.amdhsa_private_segment_fixed_size 0
		.amdhsa_kernarg_size 280
		.amdhsa_user_sgpr_count 2
		.amdhsa_user_sgpr_dispatch_ptr 0
		.amdhsa_user_sgpr_queue_ptr 0
		.amdhsa_user_sgpr_kernarg_segment_ptr 1
		.amdhsa_user_sgpr_dispatch_id 0
		.amdhsa_user_sgpr_kernarg_preload_length 0
		.amdhsa_user_sgpr_kernarg_preload_offset 0
		.amdhsa_user_sgpr_private_segment_size 0
		.amdhsa_uses_dynamic_stack 0
		.amdhsa_enable_private_segment 0
		.amdhsa_system_sgpr_workgroup_id_x 1
		.amdhsa_system_sgpr_workgroup_id_y 0
		.amdhsa_system_sgpr_workgroup_id_z 0
		.amdhsa_system_sgpr_workgroup_info 0
		.amdhsa_system_vgpr_workitem_id 0
		.amdhsa_next_free_vgpr 26
		.amdhsa_next_free_sgpr 24
		.amdhsa_accum_offset 28
		.amdhsa_reserve_vcc 1
		.amdhsa_float_round_mode_32 0
		.amdhsa_float_round_mode_16_64 0
		.amdhsa_float_denorm_mode_32 3
		.amdhsa_float_denorm_mode_16_64 3
		.amdhsa_dx10_clamp 1
		.amdhsa_ieee_mode 1
		.amdhsa_fp16_overflow 0
		.amdhsa_tg_split 0
		.amdhsa_exception_fp_ieee_invalid_op 0
		.amdhsa_exception_fp_denorm_src 0
		.amdhsa_exception_fp_ieee_div_zero 0
		.amdhsa_exception_fp_ieee_overflow 0
		.amdhsa_exception_fp_ieee_underflow 0
		.amdhsa_exception_fp_ieee_inexact 0
		.amdhsa_exception_int_div_zero 0
	.end_amdhsa_kernel
	.section	.text._ZN5aiter25scaled_act_and_mul_kernelIDF16_aTnPFfRKT_EXadL_ZNS_11silu_kernelIDF16_EEfS3_EELi16EEEvPT0_PS2_if,"axG",@progbits,_ZN5aiter25scaled_act_and_mul_kernelIDF16_aTnPFfRKT_EXadL_ZNS_11silu_kernelIDF16_EEfS3_EELi16EEEvPT0_PS2_if,comdat
.Lfunc_end502:
	.size	_ZN5aiter25scaled_act_and_mul_kernelIDF16_aTnPFfRKT_EXadL_ZNS_11silu_kernelIDF16_EEfS3_EELi16EEEvPT0_PS2_if, .Lfunc_end502-_ZN5aiter25scaled_act_and_mul_kernelIDF16_aTnPFfRKT_EXadL_ZNS_11silu_kernelIDF16_EEfS3_EELi16EEEvPT0_PS2_if
                                        ; -- End function
	.section	.AMDGPU.csdata,"",@progbits
; Kernel info:
; codeLenInByte = 2304
; NumSgprs: 30
; NumVgprs: 26
; NumAgprs: 0
; TotalNumVgprs: 26
; ScratchSize: 0
; MemoryBound: 0
; FloatMode: 240
; IeeeMode: 1
; LDSByteSize: 0 bytes/workgroup (compile time only)
; SGPRBlocks: 3
; VGPRBlocks: 3
; NumSGPRsForWavesPerEU: 30
; NumVGPRsForWavesPerEU: 26
; AccumOffset: 28
; Occupancy: 8
; WaveLimiterHint : 0
; COMPUTE_PGM_RSRC2:SCRATCH_EN: 0
; COMPUTE_PGM_RSRC2:USER_SGPR: 2
; COMPUTE_PGM_RSRC2:TRAP_HANDLER: 0
; COMPUTE_PGM_RSRC2:TGID_X_EN: 1
; COMPUTE_PGM_RSRC2:TGID_Y_EN: 0
; COMPUTE_PGM_RSRC2:TGID_Z_EN: 0
; COMPUTE_PGM_RSRC2:TIDIG_COMP_CNT: 0
; COMPUTE_PGM_RSRC3_GFX90A:ACCUM_OFFSET: 6
; COMPUTE_PGM_RSRC3_GFX90A:TG_SPLIT: 0
	.section	.text._ZN5aiter25scaled_act_and_mul_kernelIDF16_aTnPFfRKT_EXadL_ZNS_11silu_kernelIDF16_EEfS3_EELi8EEEvPT0_PS2_if,"axG",@progbits,_ZN5aiter25scaled_act_and_mul_kernelIDF16_aTnPFfRKT_EXadL_ZNS_11silu_kernelIDF16_EEfS3_EELi8EEEvPT0_PS2_if,comdat
	.protected	_ZN5aiter25scaled_act_and_mul_kernelIDF16_aTnPFfRKT_EXadL_ZNS_11silu_kernelIDF16_EEfS3_EELi8EEEvPT0_PS2_if ; -- Begin function _ZN5aiter25scaled_act_and_mul_kernelIDF16_aTnPFfRKT_EXadL_ZNS_11silu_kernelIDF16_EEfS3_EELi8EEEvPT0_PS2_if
	.globl	_ZN5aiter25scaled_act_and_mul_kernelIDF16_aTnPFfRKT_EXadL_ZNS_11silu_kernelIDF16_EEfS3_EELi8EEEvPT0_PS2_if
	.p2align	8
	.type	_ZN5aiter25scaled_act_and_mul_kernelIDF16_aTnPFfRKT_EXadL_ZNS_11silu_kernelIDF16_EEfS3_EELi8EEEvPT0_PS2_if,@function
_ZN5aiter25scaled_act_and_mul_kernelIDF16_aTnPFfRKT_EXadL_ZNS_11silu_kernelIDF16_EEfS3_EELi8EEEvPT0_PS2_if: ; @_ZN5aiter25scaled_act_and_mul_kernelIDF16_aTnPFfRKT_EXadL_ZNS_11silu_kernelIDF16_EEfS3_EELi8EEEvPT0_PS2_if
; %bb.0:
	s_load_dwordx2 s[4:5], s[0:1], 0x10
	v_lshlrev_b32_e32 v8, 3, v0
	s_waitcnt lgkmcnt(0)
	v_cmp_gt_i32_e32 vcc, s4, v8
	s_and_saveexec_b64 s[6:7], vcc
	s_cbranch_execz .LBB503_3
; %bb.1:
	s_load_dwordx4 s[8:11], s[0:1], 0x0
	s_ashr_i32 s15, s4, 31
	s_mul_hi_u32 s3, s4, s2
	s_mul_i32 s6, s15, s2
	s_add_i32 s3, s3, s6
	s_mul_i32 s2, s4, s2
	s_lshl_b64 s[6:7], s[2:3], 2
	s_mov_b32 s14, s4
	s_waitcnt lgkmcnt(0)
	s_add_u32 s16, s10, s6
	s_addc_u32 s10, s11, s7
	s_lshl_b64 s[6:7], s[14:15], 1
	s_add_u32 s20, s16, s6
	s_addc_u32 s6, s10, s7
	s_add_i32 s7, s4, 1
	s_lshr_b32 s11, s7, 31
	s_add_i32 s7, s7, s11
	s_lshl_b32 s7, s7, 1
	s_and_b32 s18, s7, -4
	s_and_b32 s17, s10, 0xffff
	s_and_b32 s21, s6, 0xffff
	s_add_u32 s24, s8, s2
	s_addc_u32 s2, s9, s3
	s_add_i32 s3, s4, 3
	s_ashr_i32 s4, s3, 31
	s_lshr_b32 s4, s4, 30
	s_add_i32 s3, s3, s4
	s_and_b32 s26, s3, -4
	s_and_b32 s25, s2, 0xffff
	s_mov_b32 s19, 0x20000
	s_mov_b32 s4, s5
	s_add_u32 s28, s0, 24
	s_mov_b32 s27, s19
	v_mov_b32_e32 v9, 0
	s_addc_u32 s29, s1, 0
	s_mov_b64 s[30:31], 0
	s_mov_b32 s35, 0
	s_mov_b32 s33, 0xbfb8aa3b
	;; [unrolled: 1-line block ×5, first 2 shown]
	v_mov_b32_e32 v24, 0x7f800000
	v_mov_b64_e32 v[10:11], s[4:5]
	s_mov_b32 s22, s18
	s_mov_b32 s23, s19
.LBB503_2:                              ; =>This Inner Loop Header: Depth=1
	v_lshlrev_b32_e32 v12, 1, v8
	buffer_load_dwordx4 v[0:3], v12, s[16:19], 0 offen sc0 nt
	buffer_load_dwordx4 v[4:7], v12, s[20:23], 0 offen sc0 nt
	s_waitcnt vmcnt(1)
	v_cvt_f32_f16_e32 v12, v0
	v_cvt_f32_f16_sdwa v13, v0 dst_sel:DWORD dst_unused:UNUSED_PAD src0_sel:WORD_1
	v_cvt_f32_f16_e32 v16, v1
	v_cvt_f32_f16_sdwa v17, v1 dst_sel:DWORD dst_unused:UNUSED_PAD src0_sel:WORD_1
	;; [unrolled: 2-line block ×4, first 2 shown]
	v_mul_f32_e32 v25, 0xbfb8aa3b, v12
	v_mul_f32_e32 v26, 0xbfb8aa3b, v13
	;; [unrolled: 1-line block ×8, first 2 shown]
	v_fma_mix_f32 v33, v0, s33, -v25 op_sel_hi:[1,0,0]
	v_rndne_f32_e32 v34, v25
	v_fma_mix_f32 v35, v0, s33, -v26 op_sel:[1,0,0] op_sel_hi:[1,0,0]
	v_rndne_f32_e32 v36, v26
	v_fma_mix_f32 v37, v1, s33, -v27 op_sel_hi:[1,0,0]
	v_rndne_f32_e32 v38, v27
	v_fma_mix_f32 v39, v1, s33, -v28 op_sel:[1,0,0] op_sel_hi:[1,0,0]
	v_rndne_f32_e32 v40, v28
	;; [unrolled: 4-line block ×4, first 2 shown]
	v_fma_mix_f32 v33, v0, s36, v33 op_sel_hi:[1,0,0]
	v_sub_f32_e32 v25, v25, v34
	v_fma_mix_f32 v0, v0, s36, v35 op_sel:[1,0,0] op_sel_hi:[1,0,0]
	v_sub_f32_e32 v26, v26, v36
	v_cvt_i32_f32_e32 v35, v36
	v_fma_mix_f32 v36, v1, s36, v37 op_sel_hi:[1,0,0]
	v_sub_f32_e32 v27, v27, v38
	v_fma_mix_f32 v1, v1, s36, v39 op_sel:[1,0,0] op_sel_hi:[1,0,0]
	v_sub_f32_e32 v28, v28, v40
	v_cvt_i32_f32_e32 v37, v38
	v_cvt_i32_f32_e32 v38, v40
	v_fma_mix_f32 v39, v2, s36, v41 op_sel_hi:[1,0,0]
	v_sub_f32_e32 v29, v29, v42
	v_cvt_i32_f32_e32 v40, v42
	v_fma_mix_f32 v2, v2, s36, v43 op_sel:[1,0,0] op_sel_hi:[1,0,0]
	v_sub_f32_e32 v30, v30, v44
	v_fma_mix_f32 v42, v3, s36, v45 op_sel_hi:[1,0,0]
	v_sub_f32_e32 v31, v31, v46
	v_fma_mix_f32 v3, v3, s36, v47 op_sel:[1,0,0] op_sel_hi:[1,0,0]
	v_sub_f32_e32 v32, v32, v48
	v_add_f32_e32 v25, v25, v33
	v_add_f32_e32 v0, v26, v0
	;; [unrolled: 1-line block ×4, first 2 shown]
	v_cvt_i32_f32_e32 v34, v34
	v_add_f32_e32 v27, v29, v39
	v_add_f32_e32 v2, v30, v2
	;; [unrolled: 1-line block ×4, first 2 shown]
	v_exp_f32_e32 v25, v25
	v_exp_f32_e32 v0, v0
	;; [unrolled: 1-line block ×4, first 2 shown]
	v_cvt_i32_f32_e32 v41, v44
	v_cvt_i32_f32_e32 v43, v46
	;; [unrolled: 1-line block ×3, first 2 shown]
	v_exp_f32_e32 v27, v27
	v_exp_f32_e32 v2, v2
	;; [unrolled: 1-line block ×4, first 2 shown]
	v_ldexp_f32 v25, v25, v34
	v_ldexp_f32 v0, v0, v35
	v_cmp_nlt_f32_e32 vcc, s37, v13
	v_ldexp_f32 v26, v26, v37
	v_cmp_nlt_f32_e64 s[0:1], s37, v16
	v_ldexp_f32 v1, v1, v38
	v_cmp_nlt_f32_e64 s[2:3], s37, v17
	v_cmp_nlt_f32_e64 s[12:13], s37, v12
	v_ldexp_f32 v27, v27, v40
	v_cmp_nlt_f32_e64 s[4:5], s37, v18
	v_ldexp_f32 v2, v2, v41
	;; [unrolled: 2-line block ×4, first 2 shown]
	v_cmp_nlt_f32_e64 s[10:11], s37, v23
	v_cndmask_b32_e64 v25, 0, v25, s[12:13]
	v_cndmask_b32_e32 v0, 0, v0, vcc
	v_cmp_ngt_f32_e32 vcc, s38, v13
	v_cndmask_b32_e64 v26, 0, v26, s[0:1]
	v_cmp_ngt_f32_e64 s[0:1], s38, v16
	v_cndmask_b32_e64 v1, 0, v1, s[2:3]
	v_cmp_ngt_f32_e64 s[2:3], s38, v17
	v_cmp_ngt_f32_e64 s[12:13], s38, v12
	v_cndmask_b32_e64 v27, 0, v27, s[4:5]
	v_cmp_ngt_f32_e64 s[4:5], s38, v18
	v_cndmask_b32_e64 v2, 0, v2, s[6:7]
	v_cmp_ngt_f32_e64 s[6:7], s38, v19
	v_cndmask_b32_e64 v28, 0, v28, s[8:9]
	v_cmp_ngt_f32_e64 s[8:9], s38, v22
	v_cndmask_b32_e64 v3, 0, v3, s[10:11]
	v_cmp_ngt_f32_e64 s[10:11], s38, v23
	v_cndmask_b32_e64 v25, v24, v25, s[12:13]
	v_cndmask_b32_e32 v0, v24, v0, vcc
	v_cndmask_b32_e64 v26, v24, v26, s[0:1]
	v_cndmask_b32_e64 v1, v24, v1, s[2:3]
	;; [unrolled: 1-line block ×6, first 2 shown]
	v_add_f32_e32 v25, 1.0, v25
	v_add_f32_e32 v29, 1.0, v0
	;; [unrolled: 1-line block ×8, first 2 shown]
	v_rcp_f32_e32 v0, v25
	v_rcp_f32_e32 v1, v29
	;; [unrolled: 1-line block ×8, first 2 shown]
	s_waitcnt vmcnt(0)
	v_cvt_f32_f16_e32 v14, v4
	v_cvt_f32_f16_sdwa v15, v4 dst_sel:DWORD dst_unused:UNUSED_PAD src0_sel:WORD_1
	v_cvt_f32_f16_e32 v4, v5
	v_cvt_f32_f16_sdwa v5, v5 dst_sel:DWORD dst_unused:UNUSED_PAD src0_sel:WORD_1
	;; [unrolled: 2-line block ×4, first 2 shown]
	v_pk_mul_f32 v[0:1], v[0:1], v[12:13]
	v_pk_mul_f32 v[2:3], v[2:3], v[16:17]
	;; [unrolled: 1-line block ×4, first 2 shown]
	;;#ASMSTART
	v_pk_mul_f32 v[0:1], v[0:1], v[14:15]
	v_pk_mul_f32 v[0:1], v[0:1], v[10:11]
	;;#ASMEND
	;;#ASMSTART
	v_pk_mul_f32 v[2:3], v[2:3], v[4:5]
	v_pk_mul_f32 v[2:3], v[2:3], v[10:11]
	;;#ASMEND
	;;#ASMSTART
	v_pk_mul_f32 v[4:5], v[12:13], v[20:21]
	v_pk_mul_f32 v[4:5], v[4:5], v[10:11]
	;;#ASMEND
	s_nop 0
	;;#ASMSTART
	v_pk_mul_f32 v[6:7], v[16:17], v[6:7]
	v_pk_mul_f32 v[6:7], v[6:7], v[10:11]
	;;#ASMEND
	s_load_dword s0, s[28:29], 0xc
	v_cvt_i32_f32_e32 v0, v0
	v_cvt_i32_f32_sdwa v1, v1 dst_sel:BYTE_1 dst_unused:UNUSED_PAD src0_sel:DWORD
	v_cvt_i32_f32_e32 v2, v2
	v_cvt_i32_f32_sdwa v3, v3 dst_sel:BYTE_1 dst_unused:UNUSED_PAD src0_sel:DWORD
	;; [unrolled: 2-line block ×4, first 2 shown]
	v_or_b32_sdwa v0, v0, v1 dst_sel:DWORD dst_unused:UNUSED_PAD src0_sel:BYTE_0 src1_sel:DWORD
	v_or_b32_sdwa v1, v2, v3 dst_sel:WORD_1 dst_unused:UNUSED_PAD src0_sel:BYTE_0 src1_sel:DWORD
	v_or_b32_sdwa v2, v4, v5 dst_sel:DWORD dst_unused:UNUSED_PAD src0_sel:BYTE_0 src1_sel:DWORD
	v_or_b32_sdwa v3, v6, v7 dst_sel:WORD_1 dst_unused:UNUSED_PAD src0_sel:BYTE_0 src1_sel:DWORD
	s_waitcnt lgkmcnt(0)
	s_and_b32 s0, s0, 0xffff
	v_or_b32_sdwa v0, v0, v1 dst_sel:DWORD dst_unused:UNUSED_PAD src0_sel:WORD_0 src1_sel:DWORD
	v_or_b32_sdwa v1, v2, v3 dst_sel:DWORD dst_unused:UNUSED_PAD src0_sel:WORD_0 src1_sel:DWORD
	s_lshl_b32 s34, s0, 3
	buffer_store_dwordx2 v[0:1], v8, s[24:27], 0 offen
	v_lshl_add_u64 v[8:9], s[34:35], 0, v[8:9]
	v_cmp_le_i64_e32 vcc, s[14:15], v[8:9]
	s_or_b64 s[30:31], vcc, s[30:31]
	s_andn2_b64 exec, exec, s[30:31]
	s_cbranch_execnz .LBB503_2
.LBB503_3:
	s_endpgm
	.section	.rodata,"a",@progbits
	.p2align	6, 0x0
	.amdhsa_kernel _ZN5aiter25scaled_act_and_mul_kernelIDF16_aTnPFfRKT_EXadL_ZNS_11silu_kernelIDF16_EEfS3_EELi8EEEvPT0_PS2_if
		.amdhsa_group_segment_fixed_size 0
		.amdhsa_private_segment_fixed_size 0
		.amdhsa_kernarg_size 280
		.amdhsa_user_sgpr_count 2
		.amdhsa_user_sgpr_dispatch_ptr 0
		.amdhsa_user_sgpr_queue_ptr 0
		.amdhsa_user_sgpr_kernarg_segment_ptr 1
		.amdhsa_user_sgpr_dispatch_id 0
		.amdhsa_user_sgpr_kernarg_preload_length 0
		.amdhsa_user_sgpr_kernarg_preload_offset 0
		.amdhsa_user_sgpr_private_segment_size 0
		.amdhsa_uses_dynamic_stack 0
		.amdhsa_enable_private_segment 0
		.amdhsa_system_sgpr_workgroup_id_x 1
		.amdhsa_system_sgpr_workgroup_id_y 0
		.amdhsa_system_sgpr_workgroup_id_z 0
		.amdhsa_system_sgpr_workgroup_info 0
		.amdhsa_system_vgpr_workitem_id 0
		.amdhsa_next_free_vgpr 49
		.amdhsa_next_free_sgpr 39
		.amdhsa_accum_offset 52
		.amdhsa_reserve_vcc 1
		.amdhsa_float_round_mode_32 0
		.amdhsa_float_round_mode_16_64 0
		.amdhsa_float_denorm_mode_32 3
		.amdhsa_float_denorm_mode_16_64 3
		.amdhsa_dx10_clamp 1
		.amdhsa_ieee_mode 1
		.amdhsa_fp16_overflow 0
		.amdhsa_tg_split 0
		.amdhsa_exception_fp_ieee_invalid_op 0
		.amdhsa_exception_fp_denorm_src 0
		.amdhsa_exception_fp_ieee_div_zero 0
		.amdhsa_exception_fp_ieee_overflow 0
		.amdhsa_exception_fp_ieee_underflow 0
		.amdhsa_exception_fp_ieee_inexact 0
		.amdhsa_exception_int_div_zero 0
	.end_amdhsa_kernel
	.section	.text._ZN5aiter25scaled_act_and_mul_kernelIDF16_aTnPFfRKT_EXadL_ZNS_11silu_kernelIDF16_EEfS3_EELi8EEEvPT0_PS2_if,"axG",@progbits,_ZN5aiter25scaled_act_and_mul_kernelIDF16_aTnPFfRKT_EXadL_ZNS_11silu_kernelIDF16_EEfS3_EELi8EEEvPT0_PS2_if,comdat
.Lfunc_end503:
	.size	_ZN5aiter25scaled_act_and_mul_kernelIDF16_aTnPFfRKT_EXadL_ZNS_11silu_kernelIDF16_EEfS3_EELi8EEEvPT0_PS2_if, .Lfunc_end503-_ZN5aiter25scaled_act_and_mul_kernelIDF16_aTnPFfRKT_EXadL_ZNS_11silu_kernelIDF16_EEfS3_EELi8EEEvPT0_PS2_if
                                        ; -- End function
	.section	.AMDGPU.csdata,"",@progbits
; Kernel info:
; codeLenInByte = 1348
; NumSgprs: 45
; NumVgprs: 49
; NumAgprs: 0
; TotalNumVgprs: 49
; ScratchSize: 0
; MemoryBound: 0
; FloatMode: 240
; IeeeMode: 1
; LDSByteSize: 0 bytes/workgroup (compile time only)
; SGPRBlocks: 5
; VGPRBlocks: 6
; NumSGPRsForWavesPerEU: 45
; NumVGPRsForWavesPerEU: 49
; AccumOffset: 52
; Occupancy: 8
; WaveLimiterHint : 0
; COMPUTE_PGM_RSRC2:SCRATCH_EN: 0
; COMPUTE_PGM_RSRC2:USER_SGPR: 2
; COMPUTE_PGM_RSRC2:TRAP_HANDLER: 0
; COMPUTE_PGM_RSRC2:TGID_X_EN: 1
; COMPUTE_PGM_RSRC2:TGID_Y_EN: 0
; COMPUTE_PGM_RSRC2:TGID_Z_EN: 0
; COMPUTE_PGM_RSRC2:TIDIG_COMP_CNT: 0
; COMPUTE_PGM_RSRC3_GFX90A:ACCUM_OFFSET: 12
; COMPUTE_PGM_RSRC3_GFX90A:TG_SPLIT: 0
	.section	.text._ZN5aiter25scaled_act_and_mul_kernelIDF16_aTnPFfRKT_EXadL_ZNS_11silu_kernelIDF16_EEfS3_EELi4EEEvPT0_PS2_if,"axG",@progbits,_ZN5aiter25scaled_act_and_mul_kernelIDF16_aTnPFfRKT_EXadL_ZNS_11silu_kernelIDF16_EEfS3_EELi4EEEvPT0_PS2_if,comdat
	.protected	_ZN5aiter25scaled_act_and_mul_kernelIDF16_aTnPFfRKT_EXadL_ZNS_11silu_kernelIDF16_EEfS3_EELi4EEEvPT0_PS2_if ; -- Begin function _ZN5aiter25scaled_act_and_mul_kernelIDF16_aTnPFfRKT_EXadL_ZNS_11silu_kernelIDF16_EEfS3_EELi4EEEvPT0_PS2_if
	.globl	_ZN5aiter25scaled_act_and_mul_kernelIDF16_aTnPFfRKT_EXadL_ZNS_11silu_kernelIDF16_EEfS3_EELi4EEEvPT0_PS2_if
	.p2align	8
	.type	_ZN5aiter25scaled_act_and_mul_kernelIDF16_aTnPFfRKT_EXadL_ZNS_11silu_kernelIDF16_EEfS3_EELi4EEEvPT0_PS2_if,@function
_ZN5aiter25scaled_act_and_mul_kernelIDF16_aTnPFfRKT_EXadL_ZNS_11silu_kernelIDF16_EEfS3_EELi4EEEvPT0_PS2_if: ; @_ZN5aiter25scaled_act_and_mul_kernelIDF16_aTnPFfRKT_EXadL_ZNS_11silu_kernelIDF16_EEfS3_EELi4EEEvPT0_PS2_if
; %bb.0:
	s_load_dwordx2 s[4:5], s[0:1], 0x10
	v_lshlrev_b32_e32 v0, 2, v0
	s_waitcnt lgkmcnt(0)
	v_cmp_gt_i32_e32 vcc, s4, v0
	s_and_saveexec_b64 s[6:7], vcc
	s_cbranch_execz .LBB504_3
; %bb.1:
	s_load_dwordx4 s[16:19], s[0:1], 0x0
	s_ashr_i32 s7, s4, 31
	s_mul_hi_u32 s3, s4, s2
	s_mul_i32 s8, s7, s2
	s_add_i32 s3, s3, s8
	s_mul_i32 s2, s4, s2
	s_lshl_b64 s[8:9], s[2:3], 2
	s_mov_b32 s6, s4
	s_waitcnt lgkmcnt(0)
	s_add_u32 s8, s18, s8
	s_addc_u32 s9, s19, s9
	s_lshl_b64 s[10:11], s[6:7], 1
	s_add_u32 s12, s8, s10
	s_addc_u32 s13, s9, s11
	s_add_i32 s10, s4, 1
	s_lshr_b32 s11, s10, 31
	s_add_i32 s10, s10, s11
	s_lshl_b32 s10, s10, 1
	s_and_b32 s10, s10, -4
	s_and_b32 s9, s9, 0xffff
	s_and_b32 s13, s13, 0xffff
	s_add_u32 s16, s16, s2
	s_addc_u32 s2, s17, s3
	s_add_i32 s3, s4, 3
	s_ashr_i32 s4, s3, 31
	s_lshr_b32 s4, s4, 30
	s_add_i32 s3, s3, s4
	s_and_b32 s18, s3, -4
	s_and_b32 s17, s2, 0xffff
	s_mov_b32 s11, 0x20000
	s_mov_b32 s4, s5
	s_add_u32 s20, s0, 24
	s_mov_b32 s19, s11
	v_mov_b32_e32 v1, 0
	s_addc_u32 s21, s1, 0
	s_mov_b64 s[22:23], 0
	s_mov_b32 s25, 0
	s_mov_b32 s26, 0xbfb8aa3b
	;; [unrolled: 1-line block ×5, first 2 shown]
	v_mov_b32_e32 v6, 0x7f800000
	v_mov_b64_e32 v[2:3], s[4:5]
	s_mov_b32 s14, s10
	s_mov_b32 s15, s11
.LBB504_2:                              ; =>This Inner Loop Header: Depth=1
	v_lshlrev_b32_e32 v4, 1, v0
	buffer_load_dwordx2 v[8:9], v4, s[8:11], 0 offen sc0 nt
	buffer_load_dwordx2 v[10:11], v4, s[12:15], 0 offen sc0 nt
	s_waitcnt vmcnt(1)
	v_cvt_f32_f16_e32 v4, v8
	v_cvt_f32_f16_sdwa v5, v8 dst_sel:DWORD dst_unused:UNUSED_PAD src0_sel:WORD_1
	v_cvt_f32_f16_e32 v14, v9
	v_cvt_f32_f16_sdwa v15, v9 dst_sel:DWORD dst_unused:UNUSED_PAD src0_sel:WORD_1
	v_mul_f32_e32 v7, 0xbfb8aa3b, v4
	v_mul_f32_e32 v16, 0xbfb8aa3b, v5
	;; [unrolled: 1-line block ×4, first 2 shown]
	v_fma_mix_f32 v19, v8, s26, -v7 op_sel_hi:[1,0,0]
	v_rndne_f32_e32 v20, v7
	v_fma_mix_f32 v21, v8, s26, -v16 op_sel:[1,0,0] op_sel_hi:[1,0,0]
	v_rndne_f32_e32 v22, v16
	v_fma_mix_f32 v23, v9, s26, -v17 op_sel_hi:[1,0,0]
	v_rndne_f32_e32 v24, v17
	v_fma_mix_f32 v25, v9, s26, -v18 op_sel:[1,0,0] op_sel_hi:[1,0,0]
	v_rndne_f32_e32 v26, v18
	v_fma_mix_f32 v19, v8, s27, v19 op_sel_hi:[1,0,0]
	v_sub_f32_e32 v7, v7, v20
	v_fma_mix_f32 v8, v8, s27, v21 op_sel:[1,0,0] op_sel_hi:[1,0,0]
	v_sub_f32_e32 v16, v16, v22
	v_cvt_i32_f32_e32 v21, v22
	v_fma_mix_f32 v22, v9, s27, v23 op_sel_hi:[1,0,0]
	v_sub_f32_e32 v17, v17, v24
	v_fma_mix_f32 v9, v9, s27, v25 op_sel:[1,0,0] op_sel_hi:[1,0,0]
	v_sub_f32_e32 v18, v18, v26
	v_add_f32_e32 v7, v7, v19
	v_add_f32_e32 v8, v16, v8
	;; [unrolled: 1-line block ×4, first 2 shown]
	v_cvt_i32_f32_e32 v20, v20
	v_cvt_i32_f32_e32 v23, v24
	;; [unrolled: 1-line block ×3, first 2 shown]
	v_exp_f32_e32 v7, v7
	v_exp_f32_e32 v8, v8
	;; [unrolled: 1-line block ×4, first 2 shown]
	v_ldexp_f32 v7, v7, v20
	v_ldexp_f32 v8, v8, v21
	v_cmp_nlt_f32_e32 vcc, s28, v5
	v_ldexp_f32 v16, v16, v23
	v_cmp_nlt_f32_e64 s[0:1], s28, v14
	v_ldexp_f32 v9, v9, v24
	v_cmp_nlt_f32_e64 s[2:3], s28, v15
	v_cmp_nlt_f32_e64 s[4:5], s28, v4
	v_cndmask_b32_e32 v8, 0, v8, vcc
	v_cmp_ngt_f32_e32 vcc, s29, v5
	v_cndmask_b32_e64 v7, 0, v7, s[4:5]
	v_cndmask_b32_e64 v16, 0, v16, s[0:1]
	v_cmp_ngt_f32_e64 s[0:1], s29, v14
	v_cndmask_b32_e64 v9, 0, v9, s[2:3]
	v_cmp_ngt_f32_e64 s[2:3], s29, v15
	v_cmp_ngt_f32_e64 s[4:5], s29, v4
	v_cndmask_b32_e32 v8, v6, v8, vcc
	v_cndmask_b32_e64 v16, v6, v16, s[0:1]
	v_cndmask_b32_e64 v7, v6, v7, s[4:5]
	;; [unrolled: 1-line block ×3, first 2 shown]
	v_add_f32_e32 v7, 1.0, v7
	v_add_f32_e32 v17, 1.0, v8
	;; [unrolled: 1-line block ×4, first 2 shown]
	v_rcp_f32_e32 v8, v7
	v_rcp_f32_e32 v9, v17
	;; [unrolled: 1-line block ×4, first 2 shown]
	s_waitcnt vmcnt(0)
	v_cvt_f32_f16_e32 v12, v10
	v_pk_mul_f32 v[4:5], v[8:9], v[4:5]
	v_cvt_f32_f16_sdwa v13, v10 dst_sel:DWORD dst_unused:UNUSED_PAD src0_sel:WORD_1
	v_pk_mul_f32 v[8:9], v[16:17], v[14:15]
	v_cvt_f32_f16_e32 v10, v11
	v_cvt_f32_f16_sdwa v11, v11 dst_sel:DWORD dst_unused:UNUSED_PAD src0_sel:WORD_1
	;;#ASMSTART
	v_pk_mul_f32 v[4:5], v[4:5], v[12:13]
	v_pk_mul_f32 v[4:5], v[4:5], v[2:3]
	;;#ASMEND
	;;#ASMSTART
	v_pk_mul_f32 v[8:9], v[8:9], v[10:11]
	v_pk_mul_f32 v[8:9], v[8:9], v[2:3]
	;;#ASMEND
	s_load_dword s0, s[20:21], 0xc
	v_cvt_i32_f32_e32 v4, v4
	v_cvt_i32_f32_sdwa v5, v5 dst_sel:BYTE_1 dst_unused:UNUSED_PAD src0_sel:DWORD
	v_cvt_i32_f32_e32 v7, v8
	v_cvt_i32_f32_sdwa v8, v9 dst_sel:BYTE_1 dst_unused:UNUSED_PAD src0_sel:DWORD
	s_waitcnt lgkmcnt(0)
	s_and_b32 s0, s0, 0xffff
	v_or_b32_sdwa v4, v4, v5 dst_sel:DWORD dst_unused:UNUSED_PAD src0_sel:BYTE_0 src1_sel:DWORD
	s_lshl_b32 s24, s0, 2
	v_or_b32_sdwa v5, v7, v8 dst_sel:WORD_1 dst_unused:UNUSED_PAD src0_sel:BYTE_0 src1_sel:DWORD
	s_nop 0
	v_or_b32_sdwa v4, v4, v5 dst_sel:DWORD dst_unused:UNUSED_PAD src0_sel:WORD_0 src1_sel:DWORD
	buffer_store_dword v4, v0, s[16:19], 0 offen
	v_lshl_add_u64 v[0:1], s[24:25], 0, v[0:1]
	v_cmp_le_i64_e32 vcc, s[6:7], v[0:1]
	s_or_b64 s[22:23], vcc, s[22:23]
	s_andn2_b64 exec, exec, s[22:23]
	s_cbranch_execnz .LBB504_2
.LBB504_3:
	s_endpgm
	.section	.rodata,"a",@progbits
	.p2align	6, 0x0
	.amdhsa_kernel _ZN5aiter25scaled_act_and_mul_kernelIDF16_aTnPFfRKT_EXadL_ZNS_11silu_kernelIDF16_EEfS3_EELi4EEEvPT0_PS2_if
		.amdhsa_group_segment_fixed_size 0
		.amdhsa_private_segment_fixed_size 0
		.amdhsa_kernarg_size 280
		.amdhsa_user_sgpr_count 2
		.amdhsa_user_sgpr_dispatch_ptr 0
		.amdhsa_user_sgpr_queue_ptr 0
		.amdhsa_user_sgpr_kernarg_segment_ptr 1
		.amdhsa_user_sgpr_dispatch_id 0
		.amdhsa_user_sgpr_kernarg_preload_length 0
		.amdhsa_user_sgpr_kernarg_preload_offset 0
		.amdhsa_user_sgpr_private_segment_size 0
		.amdhsa_uses_dynamic_stack 0
		.amdhsa_enable_private_segment 0
		.amdhsa_system_sgpr_workgroup_id_x 1
		.amdhsa_system_sgpr_workgroup_id_y 0
		.amdhsa_system_sgpr_workgroup_id_z 0
		.amdhsa_system_sgpr_workgroup_info 0
		.amdhsa_system_vgpr_workitem_id 0
		.amdhsa_next_free_vgpr 27
		.amdhsa_next_free_sgpr 30
		.amdhsa_accum_offset 28
		.amdhsa_reserve_vcc 1
		.amdhsa_float_round_mode_32 0
		.amdhsa_float_round_mode_16_64 0
		.amdhsa_float_denorm_mode_32 3
		.amdhsa_float_denorm_mode_16_64 3
		.amdhsa_dx10_clamp 1
		.amdhsa_ieee_mode 1
		.amdhsa_fp16_overflow 0
		.amdhsa_tg_split 0
		.amdhsa_exception_fp_ieee_invalid_op 0
		.amdhsa_exception_fp_denorm_src 0
		.amdhsa_exception_fp_ieee_div_zero 0
		.amdhsa_exception_fp_ieee_overflow 0
		.amdhsa_exception_fp_ieee_underflow 0
		.amdhsa_exception_fp_ieee_inexact 0
		.amdhsa_exception_int_div_zero 0
	.end_amdhsa_kernel
	.section	.text._ZN5aiter25scaled_act_and_mul_kernelIDF16_aTnPFfRKT_EXadL_ZNS_11silu_kernelIDF16_EEfS3_EELi4EEEvPT0_PS2_if,"axG",@progbits,_ZN5aiter25scaled_act_and_mul_kernelIDF16_aTnPFfRKT_EXadL_ZNS_11silu_kernelIDF16_EEfS3_EELi4EEEvPT0_PS2_if,comdat
.Lfunc_end504:
	.size	_ZN5aiter25scaled_act_and_mul_kernelIDF16_aTnPFfRKT_EXadL_ZNS_11silu_kernelIDF16_EEfS3_EELi4EEEvPT0_PS2_if, .Lfunc_end504-_ZN5aiter25scaled_act_and_mul_kernelIDF16_aTnPFfRKT_EXadL_ZNS_11silu_kernelIDF16_EEfS3_EELi4EEEvPT0_PS2_if
                                        ; -- End function
	.section	.AMDGPU.csdata,"",@progbits
; Kernel info:
; codeLenInByte = 836
; NumSgprs: 36
; NumVgprs: 27
; NumAgprs: 0
; TotalNumVgprs: 27
; ScratchSize: 0
; MemoryBound: 0
; FloatMode: 240
; IeeeMode: 1
; LDSByteSize: 0 bytes/workgroup (compile time only)
; SGPRBlocks: 4
; VGPRBlocks: 3
; NumSGPRsForWavesPerEU: 36
; NumVGPRsForWavesPerEU: 27
; AccumOffset: 28
; Occupancy: 8
; WaveLimiterHint : 0
; COMPUTE_PGM_RSRC2:SCRATCH_EN: 0
; COMPUTE_PGM_RSRC2:USER_SGPR: 2
; COMPUTE_PGM_RSRC2:TRAP_HANDLER: 0
; COMPUTE_PGM_RSRC2:TGID_X_EN: 1
; COMPUTE_PGM_RSRC2:TGID_Y_EN: 0
; COMPUTE_PGM_RSRC2:TGID_Z_EN: 0
; COMPUTE_PGM_RSRC2:TIDIG_COMP_CNT: 0
; COMPUTE_PGM_RSRC3_GFX90A:ACCUM_OFFSET: 6
; COMPUTE_PGM_RSRC3_GFX90A:TG_SPLIT: 0
	.section	.text._ZN5aiter25scaled_act_and_mul_kernelIDF16_aTnPFfRKT_EXadL_ZNS_11silu_kernelIDF16_EEfS3_EELi2EEEvPT0_PS2_if,"axG",@progbits,_ZN5aiter25scaled_act_and_mul_kernelIDF16_aTnPFfRKT_EXadL_ZNS_11silu_kernelIDF16_EEfS3_EELi2EEEvPT0_PS2_if,comdat
	.protected	_ZN5aiter25scaled_act_and_mul_kernelIDF16_aTnPFfRKT_EXadL_ZNS_11silu_kernelIDF16_EEfS3_EELi2EEEvPT0_PS2_if ; -- Begin function _ZN5aiter25scaled_act_and_mul_kernelIDF16_aTnPFfRKT_EXadL_ZNS_11silu_kernelIDF16_EEfS3_EELi2EEEvPT0_PS2_if
	.globl	_ZN5aiter25scaled_act_and_mul_kernelIDF16_aTnPFfRKT_EXadL_ZNS_11silu_kernelIDF16_EEfS3_EELi2EEEvPT0_PS2_if
	.p2align	8
	.type	_ZN5aiter25scaled_act_and_mul_kernelIDF16_aTnPFfRKT_EXadL_ZNS_11silu_kernelIDF16_EEfS3_EELi2EEEvPT0_PS2_if,@function
_ZN5aiter25scaled_act_and_mul_kernelIDF16_aTnPFfRKT_EXadL_ZNS_11silu_kernelIDF16_EEfS3_EELi2EEEvPT0_PS2_if: ; @_ZN5aiter25scaled_act_and_mul_kernelIDF16_aTnPFfRKT_EXadL_ZNS_11silu_kernelIDF16_EEfS3_EELi2EEEvPT0_PS2_if
; %bb.0:
	s_load_dwordx2 s[10:11], s[0:1], 0x10
	v_lshlrev_b32_e32 v0, 1, v0
	s_waitcnt lgkmcnt(0)
	v_cmp_gt_i32_e32 vcc, s10, v0
	s_and_saveexec_b64 s[4:5], vcc
	s_cbranch_execz .LBB505_3
; %bb.1:
	s_load_dwordx4 s[12:15], s[0:1], 0x0
	s_ashr_i32 s17, s10, 31
	s_mul_hi_u32 s3, s10, s2
	s_mul_i32 s4, s17, s2
	s_add_i32 s3, s3, s4
	s_mul_i32 s2, s10, s2
	s_lshl_b64 s[4:5], s[2:3], 2
	s_mov_b32 s16, s10
	s_waitcnt lgkmcnt(0)
	s_add_u32 s4, s14, s4
	s_addc_u32 s5, s15, s5
	s_lshl_b64 s[6:7], s[16:17], 1
	s_add_u32 s8, s4, s6
	s_addc_u32 s9, s5, s7
	s_add_i32 s6, s10, 1
	s_lshr_b32 s7, s6, 31
	s_add_i32 s6, s6, s7
	s_lshl_b32 s6, s6, 1
	s_and_b32 s6, s6, -4
	s_and_b32 s5, s5, 0xffff
	s_and_b32 s9, s9, 0xffff
	s_add_u32 s12, s12, s2
	s_addc_u32 s2, s13, s3
	s_add_i32 s3, s10, 3
	s_ashr_i32 s10, s3, 31
	s_lshr_b32 s10, s10, 30
	s_add_i32 s3, s3, s10
	s_and_b32 s14, s3, -4
	s_and_b32 s13, s2, 0xffff
	s_mov_b32 s7, 0x20000
	s_mov_b32 s10, s11
	s_add_u32 s2, s0, 24
	s_mov_b32 s15, s7
	v_mov_b32_e32 v1, 0
	s_addc_u32 s3, s1, 0
	s_mov_b64 s[18:19], 0
	s_mov_b32 s21, 0
	s_mov_b32 s22, 0xbfb8aa3b
	;; [unrolled: 1-line block ×5, first 2 shown]
	v_mov_b32_e32 v4, 0x7f800000
	v_mov_b64_e32 v[2:3], s[10:11]
	s_mov_b32 s10, s6
	s_mov_b32 s11, s7
.LBB505_2:                              ; =>This Inner Loop Header: Depth=1
	v_lshlrev_b32_e32 v5, 1, v0
	buffer_load_dword v10, v5, s[4:7], 0 offen sc0 nt
	buffer_load_dword v9, v5, s[8:11], 0 offen sc0 nt
	s_waitcnt vmcnt(1)
	v_cvt_f32_f16_sdwa v7, v10 dst_sel:DWORD dst_unused:UNUSED_PAD src0_sel:WORD_1
	v_cvt_f32_f16_e32 v6, v10
	s_waitcnt vmcnt(0)
	v_cvt_f32_f16_e32 v8, v9
	v_cvt_f32_f16_sdwa v9, v9 dst_sel:DWORD dst_unused:UNUSED_PAD src0_sel:WORD_1
	v_mul_f32_e32 v5, 0xbfb8aa3b, v7
	v_mul_f32_e32 v11, 0xbfb8aa3b, v6
	v_fma_mix_f32 v12, v10, s22, -v5 op_sel:[1,0,0] op_sel_hi:[1,0,0]
	v_rndne_f32_e32 v13, v5
	v_fma_mix_f32 v14, v10, s22, -v11 op_sel_hi:[1,0,0]
	v_rndne_f32_e32 v15, v11
	v_fma_mix_f32 v12, v10, s23, v12 op_sel:[1,0,0] op_sel_hi:[1,0,0]
	v_sub_f32_e32 v5, v5, v13
	v_fma_mix_f32 v10, v10, s23, v14 op_sel_hi:[1,0,0]
	v_sub_f32_e32 v11, v11, v15
	v_add_f32_e32 v5, v5, v12
	v_add_f32_e32 v10, v11, v10
	v_cvt_i32_f32_e32 v13, v13
	v_cvt_i32_f32_e32 v14, v15
	v_exp_f32_e32 v5, v5
	v_exp_f32_e32 v10, v10
	v_cmp_nlt_f32_e32 vcc, s24, v6
	v_cmp_nlt_f32_e64 s[0:1], s24, v7
	v_ldexp_f32 v5, v5, v13
	v_ldexp_f32 v10, v10, v14
	v_cndmask_b32_e64 v5, 0, v5, s[0:1]
	v_cndmask_b32_e32 v10, 0, v10, vcc
	v_cmp_ngt_f32_e32 vcc, s25, v6
	v_cmp_ngt_f32_e64 s[0:1], s25, v7
	s_nop 0
	v_cndmask_b32_e32 v10, v4, v10, vcc
	v_cndmask_b32_e64 v5, v4, v5, s[0:1]
	v_add_f32_e32 v5, 1.0, v5
	v_add_f32_e32 v10, 1.0, v10
	v_rcp_f32_e32 v11, v5
	v_rcp_f32_e32 v10, v10
	s_nop 0
	v_pk_mul_f32 v[6:7], v[10:11], v[6:7]
	s_nop 0
	;;#ASMSTART
	v_pk_mul_f32 v[6:7], v[6:7], v[8:9]
	v_pk_mul_f32 v[6:7], v[6:7], v[2:3]
	;;#ASMEND
	s_load_dword s0, s[2:3], 0xc
	v_cvt_i32_f32_e32 v5, v6
	v_cvt_i32_f32_sdwa v6, v7 dst_sel:BYTE_1 dst_unused:UNUSED_PAD src0_sel:DWORD
	s_waitcnt lgkmcnt(0)
	s_and_b32 s0, s0, 0xffff
	v_or_b32_sdwa v5, v5, v6 dst_sel:DWORD dst_unused:UNUSED_PAD src0_sel:BYTE_0 src1_sel:DWORD
	s_lshl_b32 s20, s0, 1
	buffer_store_short v5, v0, s[12:15], 0 offen
	v_lshl_add_u64 v[0:1], s[20:21], 0, v[0:1]
	v_cmp_le_i64_e32 vcc, s[16:17], v[0:1]
	s_or_b64 s[18:19], vcc, s[18:19]
	s_andn2_b64 exec, exec, s[18:19]
	s_cbranch_execnz .LBB505_2
.LBB505_3:
	s_endpgm
	.section	.rodata,"a",@progbits
	.p2align	6, 0x0
	.amdhsa_kernel _ZN5aiter25scaled_act_and_mul_kernelIDF16_aTnPFfRKT_EXadL_ZNS_11silu_kernelIDF16_EEfS3_EELi2EEEvPT0_PS2_if
		.amdhsa_group_segment_fixed_size 0
		.amdhsa_private_segment_fixed_size 0
		.amdhsa_kernarg_size 280
		.amdhsa_user_sgpr_count 2
		.amdhsa_user_sgpr_dispatch_ptr 0
		.amdhsa_user_sgpr_queue_ptr 0
		.amdhsa_user_sgpr_kernarg_segment_ptr 1
		.amdhsa_user_sgpr_dispatch_id 0
		.amdhsa_user_sgpr_kernarg_preload_length 0
		.amdhsa_user_sgpr_kernarg_preload_offset 0
		.amdhsa_user_sgpr_private_segment_size 0
		.amdhsa_uses_dynamic_stack 0
		.amdhsa_enable_private_segment 0
		.amdhsa_system_sgpr_workgroup_id_x 1
		.amdhsa_system_sgpr_workgroup_id_y 0
		.amdhsa_system_sgpr_workgroup_id_z 0
		.amdhsa_system_sgpr_workgroup_info 0
		.amdhsa_system_vgpr_workitem_id 0
		.amdhsa_next_free_vgpr 16
		.amdhsa_next_free_sgpr 26
		.amdhsa_accum_offset 16
		.amdhsa_reserve_vcc 1
		.amdhsa_float_round_mode_32 0
		.amdhsa_float_round_mode_16_64 0
		.amdhsa_float_denorm_mode_32 3
		.amdhsa_float_denorm_mode_16_64 3
		.amdhsa_dx10_clamp 1
		.amdhsa_ieee_mode 1
		.amdhsa_fp16_overflow 0
		.amdhsa_tg_split 0
		.amdhsa_exception_fp_ieee_invalid_op 0
		.amdhsa_exception_fp_denorm_src 0
		.amdhsa_exception_fp_ieee_div_zero 0
		.amdhsa_exception_fp_ieee_overflow 0
		.amdhsa_exception_fp_ieee_underflow 0
		.amdhsa_exception_fp_ieee_inexact 0
		.amdhsa_exception_int_div_zero 0
	.end_amdhsa_kernel
	.section	.text._ZN5aiter25scaled_act_and_mul_kernelIDF16_aTnPFfRKT_EXadL_ZNS_11silu_kernelIDF16_EEfS3_EELi2EEEvPT0_PS2_if,"axG",@progbits,_ZN5aiter25scaled_act_and_mul_kernelIDF16_aTnPFfRKT_EXadL_ZNS_11silu_kernelIDF16_EEfS3_EELi2EEEvPT0_PS2_if,comdat
.Lfunc_end505:
	.size	_ZN5aiter25scaled_act_and_mul_kernelIDF16_aTnPFfRKT_EXadL_ZNS_11silu_kernelIDF16_EEfS3_EELi2EEEvPT0_PS2_if, .Lfunc_end505-_ZN5aiter25scaled_act_and_mul_kernelIDF16_aTnPFfRKT_EXadL_ZNS_11silu_kernelIDF16_EEfS3_EELi2EEEvPT0_PS2_if
                                        ; -- End function
	.section	.AMDGPU.csdata,"",@progbits
; Kernel info:
; codeLenInByte = 584
; NumSgprs: 32
; NumVgprs: 16
; NumAgprs: 0
; TotalNumVgprs: 16
; ScratchSize: 0
; MemoryBound: 0
; FloatMode: 240
; IeeeMode: 1
; LDSByteSize: 0 bytes/workgroup (compile time only)
; SGPRBlocks: 3
; VGPRBlocks: 1
; NumSGPRsForWavesPerEU: 32
; NumVGPRsForWavesPerEU: 16
; AccumOffset: 16
; Occupancy: 8
; WaveLimiterHint : 0
; COMPUTE_PGM_RSRC2:SCRATCH_EN: 0
; COMPUTE_PGM_RSRC2:USER_SGPR: 2
; COMPUTE_PGM_RSRC2:TRAP_HANDLER: 0
; COMPUTE_PGM_RSRC2:TGID_X_EN: 1
; COMPUTE_PGM_RSRC2:TGID_Y_EN: 0
; COMPUTE_PGM_RSRC2:TGID_Z_EN: 0
; COMPUTE_PGM_RSRC2:TIDIG_COMP_CNT: 0
; COMPUTE_PGM_RSRC3_GFX90A:ACCUM_OFFSET: 3
; COMPUTE_PGM_RSRC3_GFX90A:TG_SPLIT: 0
	.section	.text._ZN5aiter25scaled_act_and_mul_kernelIDF16_aTnPFfRKT_EXadL_ZNS_11silu_kernelIDF16_EEfS3_EELi1EEEvPT0_PS2_if,"axG",@progbits,_ZN5aiter25scaled_act_and_mul_kernelIDF16_aTnPFfRKT_EXadL_ZNS_11silu_kernelIDF16_EEfS3_EELi1EEEvPT0_PS2_if,comdat
	.protected	_ZN5aiter25scaled_act_and_mul_kernelIDF16_aTnPFfRKT_EXadL_ZNS_11silu_kernelIDF16_EEfS3_EELi1EEEvPT0_PS2_if ; -- Begin function _ZN5aiter25scaled_act_and_mul_kernelIDF16_aTnPFfRKT_EXadL_ZNS_11silu_kernelIDF16_EEfS3_EELi1EEEvPT0_PS2_if
	.globl	_ZN5aiter25scaled_act_and_mul_kernelIDF16_aTnPFfRKT_EXadL_ZNS_11silu_kernelIDF16_EEfS3_EELi1EEEvPT0_PS2_if
	.p2align	8
	.type	_ZN5aiter25scaled_act_and_mul_kernelIDF16_aTnPFfRKT_EXadL_ZNS_11silu_kernelIDF16_EEfS3_EELi1EEEvPT0_PS2_if,@function
_ZN5aiter25scaled_act_and_mul_kernelIDF16_aTnPFfRKT_EXadL_ZNS_11silu_kernelIDF16_EEfS3_EELi1EEEvPT0_PS2_if: ; @_ZN5aiter25scaled_act_and_mul_kernelIDF16_aTnPFfRKT_EXadL_ZNS_11silu_kernelIDF16_EEfS3_EELi1EEEvPT0_PS2_if
; %bb.0:
	s_load_dwordx2 s[12:13], s[0:1], 0x10
	s_waitcnt lgkmcnt(0)
	v_cmp_gt_i32_e32 vcc, s12, v0
	s_and_saveexec_b64 s[4:5], vcc
	s_cbranch_execz .LBB506_3
; %bb.1:
	s_load_dwordx4 s[8:11], s[0:1], 0x0
	s_load_dword s16, s[0:1], 0x24
	s_ashr_i32 s15, s12, 31
	s_mul_hi_u32 s3, s12, s2
	s_mul_i32 s4, s15, s2
	s_add_i32 s7, s3, s4
	s_mul_i32 s6, s12, s2
	s_lshl_b64 s[2:3], s[6:7], 2
	s_mov_b32 s14, s12
	s_waitcnt lgkmcnt(0)
	s_add_u32 s0, s10, s2
	s_addc_u32 s1, s11, s3
	s_lshl_b64 s[2:3], s[14:15], 1
	s_add_u32 s4, s0, s2
	s_addc_u32 s5, s1, s3
	s_add_i32 s2, s12, 1
	s_lshr_b32 s3, s2, 31
	s_add_i32 s2, s2, s3
	s_lshl_b32 s2, s2, 1
	s_and_b32 s2, s2, -4
	s_and_b32 s1, s1, 0xffff
	s_and_b32 s5, s5, 0xffff
	s_add_u32 s8, s8, s6
	s_addc_u32 s6, s9, s7
	s_add_i32 s7, s12, 3
	s_ashr_i32 s9, s7, 31
	s_lshr_b32 s9, s9, 30
	s_mov_b32 s3, 0x20000
	s_add_i32 s7, s7, s9
	s_and_b32 s16, s16, 0xffff
	s_and_b32 s10, s7, -4
	s_and_b32 s9, s6, 0xffff
	s_mov_b32 s11, s3
	s_mov_b32 s17, 0
	v_mov_b32_e32 v1, 0
	v_lshlrev_b32_e32 v2, 1, v0
	s_lshl_b32 s12, s16, 1
	s_mov_b64 s[18:19], 0
	s_mov_b32 s6, s2
	s_mov_b32 s7, s3
	;; [unrolled: 1-line block ×6, first 2 shown]
	v_mov_b32_e32 v3, 0x7f800000
.LBB506_2:                              ; =>This Inner Loop Header: Depth=1
	buffer_load_ushort v4, v2, s[0:3], 0 offen sc0 nt
	buffer_load_ushort v5, v2, s[4:7], 0 offen sc0 nt
	v_add_u32_e32 v2, s12, v2
	s_waitcnt vmcnt(1)
	v_cvt_f32_f16_e32 v6, v4
	s_waitcnt vmcnt(0)
	v_cvt_f32_f16_e32 v5, v5
	v_mul_f32_e32 v7, 0xbfb8aa3b, v6
	v_fma_mix_f32 v8, v4, s20, -v7 op_sel_hi:[1,0,0]
	v_rndne_f32_e32 v9, v7
	v_fma_mix_f32 v4, v4, s21, v8 op_sel_hi:[1,0,0]
	v_sub_f32_e32 v7, v7, v9
	v_add_f32_e32 v4, v7, v4
	v_cvt_i32_f32_e32 v8, v9
	v_exp_f32_e32 v4, v4
	v_cmp_nlt_f32_e32 vcc, s22, v6
	v_ldexp_f32 v4, v4, v8
	s_nop 0
	v_cndmask_b32_e32 v4, 0, v4, vcc
	v_cmp_ngt_f32_e32 vcc, s23, v6
	s_nop 1
	v_cndmask_b32_e32 v4, v3, v4, vcc
	v_add_f32_e32 v4, 1.0, v4
	v_rcp_f32_e32 v4, v4
	s_nop 0
	v_mul_f32_e32 v4, v4, v6
	v_mul_f32_e32 v4, v4, v5
	;; [unrolled: 1-line block ×3, first 2 shown]
	v_cvt_i32_f32_e32 v4, v4
	buffer_store_byte v4, v0, s[8:11], 0 offen
	v_lshl_add_u64 v[0:1], v[0:1], 0, s[16:17]
	v_cmp_le_i64_e32 vcc, s[14:15], v[0:1]
	s_or_b64 s[18:19], vcc, s[18:19]
	s_andn2_b64 exec, exec, s[18:19]
	s_cbranch_execnz .LBB506_2
.LBB506_3:
	s_endpgm
	.section	.rodata,"a",@progbits
	.p2align	6, 0x0
	.amdhsa_kernel _ZN5aiter25scaled_act_and_mul_kernelIDF16_aTnPFfRKT_EXadL_ZNS_11silu_kernelIDF16_EEfS3_EELi1EEEvPT0_PS2_if
		.amdhsa_group_segment_fixed_size 0
		.amdhsa_private_segment_fixed_size 0
		.amdhsa_kernarg_size 280
		.amdhsa_user_sgpr_count 2
		.amdhsa_user_sgpr_dispatch_ptr 0
		.amdhsa_user_sgpr_queue_ptr 0
		.amdhsa_user_sgpr_kernarg_segment_ptr 1
		.amdhsa_user_sgpr_dispatch_id 0
		.amdhsa_user_sgpr_kernarg_preload_length 0
		.amdhsa_user_sgpr_kernarg_preload_offset 0
		.amdhsa_user_sgpr_private_segment_size 0
		.amdhsa_uses_dynamic_stack 0
		.amdhsa_enable_private_segment 0
		.amdhsa_system_sgpr_workgroup_id_x 1
		.amdhsa_system_sgpr_workgroup_id_y 0
		.amdhsa_system_sgpr_workgroup_id_z 0
		.amdhsa_system_sgpr_workgroup_info 0
		.amdhsa_system_vgpr_workitem_id 0
		.amdhsa_next_free_vgpr 10
		.amdhsa_next_free_sgpr 24
		.amdhsa_accum_offset 12
		.amdhsa_reserve_vcc 1
		.amdhsa_float_round_mode_32 0
		.amdhsa_float_round_mode_16_64 0
		.amdhsa_float_denorm_mode_32 3
		.amdhsa_float_denorm_mode_16_64 3
		.amdhsa_dx10_clamp 1
		.amdhsa_ieee_mode 1
		.amdhsa_fp16_overflow 0
		.amdhsa_tg_split 0
		.amdhsa_exception_fp_ieee_invalid_op 0
		.amdhsa_exception_fp_denorm_src 0
		.amdhsa_exception_fp_ieee_div_zero 0
		.amdhsa_exception_fp_ieee_overflow 0
		.amdhsa_exception_fp_ieee_underflow 0
		.amdhsa_exception_fp_ieee_inexact 0
		.amdhsa_exception_int_div_zero 0
	.end_amdhsa_kernel
	.section	.text._ZN5aiter25scaled_act_and_mul_kernelIDF16_aTnPFfRKT_EXadL_ZNS_11silu_kernelIDF16_EEfS3_EELi1EEEvPT0_PS2_if,"axG",@progbits,_ZN5aiter25scaled_act_and_mul_kernelIDF16_aTnPFfRKT_EXadL_ZNS_11silu_kernelIDF16_EEfS3_EELi1EEEvPT0_PS2_if,comdat
.Lfunc_end506:
	.size	_ZN5aiter25scaled_act_and_mul_kernelIDF16_aTnPFfRKT_EXadL_ZNS_11silu_kernelIDF16_EEfS3_EELi1EEEvPT0_PS2_if, .Lfunc_end506-_ZN5aiter25scaled_act_and_mul_kernelIDF16_aTnPFfRKT_EXadL_ZNS_11silu_kernelIDF16_EEfS3_EELi1EEEvPT0_PS2_if
                                        ; -- End function
	.section	.AMDGPU.csdata,"",@progbits
; Kernel info:
; codeLenInByte = 428
; NumSgprs: 30
; NumVgprs: 10
; NumAgprs: 0
; TotalNumVgprs: 10
; ScratchSize: 0
; MemoryBound: 0
; FloatMode: 240
; IeeeMode: 1
; LDSByteSize: 0 bytes/workgroup (compile time only)
; SGPRBlocks: 3
; VGPRBlocks: 1
; NumSGPRsForWavesPerEU: 30
; NumVGPRsForWavesPerEU: 10
; AccumOffset: 12
; Occupancy: 8
; WaveLimiterHint : 0
; COMPUTE_PGM_RSRC2:SCRATCH_EN: 0
; COMPUTE_PGM_RSRC2:USER_SGPR: 2
; COMPUTE_PGM_RSRC2:TRAP_HANDLER: 0
; COMPUTE_PGM_RSRC2:TGID_X_EN: 1
; COMPUTE_PGM_RSRC2:TGID_Y_EN: 0
; COMPUTE_PGM_RSRC2:TGID_Z_EN: 0
; COMPUTE_PGM_RSRC2:TIDIG_COMP_CNT: 0
; COMPUTE_PGM_RSRC3_GFX90A:ACCUM_OFFSET: 2
; COMPUTE_PGM_RSRC3_GFX90A:TG_SPLIT: 0
	.section	.text._ZN5aiter25scaled_act_and_mul_kernelItDB8_TnPFfRKT_EXadL_ZNS_11silu_kernelItEEfS4_EELi16EEEvPT0_PS3_if,"axG",@progbits,_ZN5aiter25scaled_act_and_mul_kernelItDB8_TnPFfRKT_EXadL_ZNS_11silu_kernelItEEfS4_EELi16EEEvPT0_PS3_if,comdat
	.protected	_ZN5aiter25scaled_act_and_mul_kernelItDB8_TnPFfRKT_EXadL_ZNS_11silu_kernelItEEfS4_EELi16EEEvPT0_PS3_if ; -- Begin function _ZN5aiter25scaled_act_and_mul_kernelItDB8_TnPFfRKT_EXadL_ZNS_11silu_kernelItEEfS4_EELi16EEEvPT0_PS3_if
	.globl	_ZN5aiter25scaled_act_and_mul_kernelItDB8_TnPFfRKT_EXadL_ZNS_11silu_kernelItEEfS4_EELi16EEEvPT0_PS3_if
	.p2align	8
	.type	_ZN5aiter25scaled_act_and_mul_kernelItDB8_TnPFfRKT_EXadL_ZNS_11silu_kernelItEEfS4_EELi16EEEvPT0_PS3_if,@function
_ZN5aiter25scaled_act_and_mul_kernelItDB8_TnPFfRKT_EXadL_ZNS_11silu_kernelItEEfS4_EELi16EEEvPT0_PS3_if: ; @_ZN5aiter25scaled_act_and_mul_kernelItDB8_TnPFfRKT_EXadL_ZNS_11silu_kernelItEEfS4_EELi16EEEvPT0_PS3_if
; %bb.0:
	s_load_dwordx2 s[10:11], s[0:1], 0x10
	v_lshlrev_b32_e32 v16, 4, v0
	s_waitcnt lgkmcnt(0)
	v_cmp_gt_i32_e32 vcc, s10, v16
	s_and_saveexec_b64 s[4:5], vcc
	s_cbranch_execz .LBB507_3
; %bb.1:
	s_load_dwordx4 s[12:15], s[0:1], 0x0
	s_ashr_i32 s17, s10, 31
	s_mul_hi_u32 s3, s10, s2
	s_mul_i32 s4, s17, s2
	s_add_i32 s3, s3, s4
	s_mul_i32 s2, s10, s2
	s_lshl_b64 s[4:5], s[2:3], 2
	s_mov_b32 s16, s10
	s_waitcnt lgkmcnt(0)
	s_add_u32 s4, s14, s4
	s_addc_u32 s5, s15, s5
	s_lshl_b64 s[6:7], s[16:17], 1
	s_add_u32 s8, s4, s6
	s_addc_u32 s9, s5, s7
	s_add_i32 s6, s10, 1
	s_lshr_b32 s7, s6, 31
	s_add_i32 s6, s6, s7
	s_lshl_b32 s6, s6, 1
	s_and_b32 s6, s6, -4
	s_and_b32 s5, s5, 0xffff
	s_and_b32 s9, s9, 0xffff
	s_add_u32 s12, s12, s2
	s_addc_u32 s2, s13, s3
	s_add_i32 s3, s10, 3
	s_ashr_i32 s10, s3, 31
	s_lshr_b32 s10, s10, 30
	s_add_i32 s3, s3, s10
	s_and_b32 s14, s3, -4
	s_and_b32 s13, s2, 0xffff
	s_mov_b32 s7, 0x20000
	s_mov_b32 s10, s11
	s_add_u32 s0, s0, 24
	s_mov_b32 s15, s7
	v_mov_b32_e32 v17, 0
	s_addc_u32 s1, s1, 0
	s_mov_b64 s[2:3], 0
	s_mov_b32 s19, 0
	s_mov_b32 s20, 0xbfb8aa3b
	s_mov_b32 s21, 0x42ce8ed0
	s_mov_b32 s22, 0xc2b17218
	v_mov_b32_e32 v20, 0x7f800000
	v_mov_b64_e32 v[18:19], s[10:11]
	s_mov_b32 s10, s6
	s_mov_b32 s11, s7
.LBB507_2:                              ; =>This Inner Loop Header: Depth=1
	v_lshlrev_b32_e32 v21, 1, v16
	buffer_load_dwordx4 v[12:15], v21, s[4:7], 0 offen sc0 nt
	buffer_load_dwordx4 v[4:7], v21, s[4:7], 16 offen sc0 nt
	;; [unrolled: 1-line block ×4, first 2 shown]
	s_waitcnt vmcnt(3)
	v_lshlrev_b32_e32 v22, 16, v12
	v_and_b32_e32 v23, 0xffff0000, v12
	v_mul_f32_e32 v12, 0xbfb8aa3b, v22
	v_fma_f32 v21, v22, s20, -v12
	v_rndne_f32_e32 v24, v12
	v_fmac_f32_e32 v21, 0xb2a5705f, v22
	v_sub_f32_e32 v12, v12, v24
	v_add_f32_e32 v12, v12, v21
	v_exp_f32_e32 v12, v12
	v_cvt_i32_f32_e32 v21, v24
	v_cmp_nlt_f32_e32 vcc, s21, v22
	v_ldexp_f32 v12, v12, v21
	s_nop 0
	v_cndmask_b32_e32 v12, 0, v12, vcc
	v_cmp_ngt_f32_e32 vcc, s22, v22
	s_nop 1
	v_cndmask_b32_e32 v12, v20, v12, vcc
	v_add_f32_e32 v12, 1.0, v12
	v_rcp_f32_e32 v24, v12
	v_mul_f32_e32 v12, 0xbfb8aa3b, v23
	v_fma_f32 v21, v23, s20, -v12
	v_rndne_f32_e32 v25, v12
	v_fmac_f32_e32 v21, 0xb2a5705f, v23
	v_sub_f32_e32 v12, v12, v25
	v_add_f32_e32 v12, v12, v21
	v_exp_f32_e32 v12, v12
	v_cvt_i32_f32_e32 v21, v25
	v_cmp_nlt_f32_e32 vcc, s21, v23
	v_ldexp_f32 v12, v12, v21
	s_nop 0
	v_cndmask_b32_e32 v12, 0, v12, vcc
	v_cmp_ngt_f32_e32 vcc, s22, v23
	s_nop 1
	v_cndmask_b32_e32 v12, v20, v12, vcc
	v_add_f32_e32 v12, 1.0, v12
	v_rcp_f32_e32 v25, v12
	s_nop 0
	v_pk_mul_f32 v[22:23], v[24:25], v[22:23]
	s_waitcnt vmcnt(1)
	v_and_b32_e32 v25, 0xffff0000, v8
	v_lshlrev_b32_e32 v24, 16, v8
	;;#ASMSTART
	v_pk_mul_f32 v[22:23], v[22:23], v[24:25]
	v_pk_mul_f32 v[22:23], v[22:23], v[18:19]
	;;#ASMEND
	s_nop 0
	v_cvt_pk_fp8_f32 v8, v22, 0
	v_lshlrev_b32_e32 v22, 16, v13
	v_cvt_pk_fp8_f32 v12, v23, 0
	v_and_b32_e32 v23, 0xffff0000, v13
	v_mul_f32_e32 v13, 0xbfb8aa3b, v22
	v_fma_f32 v21, v22, s20, -v13
	v_rndne_f32_e32 v24, v13
	v_fmac_f32_e32 v21, 0xb2a5705f, v22
	v_sub_f32_e32 v13, v13, v24
	v_add_f32_e32 v13, v13, v21
	v_exp_f32_e32 v13, v13
	v_cvt_i32_f32_e32 v21, v24
	v_cmp_nlt_f32_e32 vcc, s21, v22
	v_ldexp_f32 v13, v13, v21
	s_nop 0
	v_cndmask_b32_e32 v13, 0, v13, vcc
	v_cmp_ngt_f32_e32 vcc, s22, v22
	s_nop 1
	v_cndmask_b32_e32 v13, v20, v13, vcc
	v_add_f32_e32 v13, 1.0, v13
	v_rcp_f32_e32 v24, v13
	v_mul_f32_e32 v13, 0xbfb8aa3b, v23
	v_fma_f32 v21, v23, s20, -v13
	v_rndne_f32_e32 v25, v13
	v_fmac_f32_e32 v21, 0xb2a5705f, v23
	v_sub_f32_e32 v13, v13, v25
	v_add_f32_e32 v13, v13, v21
	v_exp_f32_e32 v13, v13
	v_cvt_i32_f32_e32 v21, v25
	v_cmp_nlt_f32_e32 vcc, s21, v23
	v_ldexp_f32 v13, v13, v21
	s_nop 0
	v_cndmask_b32_e32 v13, 0, v13, vcc
	v_cmp_ngt_f32_e32 vcc, s22, v23
	s_nop 1
	v_cndmask_b32_e32 v13, v20, v13, vcc
	v_add_f32_e32 v13, 1.0, v13
	v_rcp_f32_e32 v25, v13
	s_nop 0
	v_pk_mul_f32 v[22:23], v[24:25], v[22:23]
	v_and_b32_e32 v25, 0xffff0000, v9
	v_lshlrev_b32_e32 v24, 16, v9
	;;#ASMSTART
	v_pk_mul_f32 v[22:23], v[22:23], v[24:25]
	v_pk_mul_f32 v[22:23], v[22:23], v[18:19]
	;;#ASMEND
	s_nop 0
	v_cvt_pk_fp8_f32 v9, v22, 0
	v_lshlrev_b32_e32 v22, 16, v14
	v_cvt_pk_fp8_f32 v13, v23, 0
	v_and_b32_e32 v23, 0xffff0000, v14
	v_mul_f32_e32 v14, 0xbfb8aa3b, v22
	v_fma_f32 v21, v22, s20, -v14
	v_rndne_f32_e32 v24, v14
	v_fmac_f32_e32 v21, 0xb2a5705f, v22
	v_sub_f32_e32 v14, v14, v24
	v_add_f32_e32 v14, v14, v21
	v_exp_f32_e32 v14, v14
	v_cvt_i32_f32_e32 v21, v24
	v_cmp_nlt_f32_e32 vcc, s21, v22
	v_ldexp_f32 v14, v14, v21
	s_nop 0
	v_cndmask_b32_e32 v14, 0, v14, vcc
	v_cmp_ngt_f32_e32 vcc, s22, v22
	s_nop 1
	v_cndmask_b32_e32 v14, v20, v14, vcc
	v_add_f32_e32 v14, 1.0, v14
	v_rcp_f32_e32 v24, v14
	v_mul_f32_e32 v14, 0xbfb8aa3b, v23
	v_fma_f32 v21, v23, s20, -v14
	v_rndne_f32_e32 v25, v14
	v_fmac_f32_e32 v21, 0xb2a5705f, v23
	v_sub_f32_e32 v14, v14, v25
	v_add_f32_e32 v14, v14, v21
	v_exp_f32_e32 v14, v14
	v_cvt_i32_f32_e32 v21, v25
	v_cmp_nlt_f32_e32 vcc, s21, v23
	v_ldexp_f32 v14, v14, v21
	s_nop 0
	v_cndmask_b32_e32 v14, 0, v14, vcc
	v_cmp_ngt_f32_e32 vcc, s22, v23
	s_nop 1
	v_cndmask_b32_e32 v14, v20, v14, vcc
	v_add_f32_e32 v14, 1.0, v14
	v_rcp_f32_e32 v25, v14
	s_nop 0
	v_pk_mul_f32 v[22:23], v[24:25], v[22:23]
	;; [unrolled: 47-line block ×4, first 2 shown]
	s_waitcnt vmcnt(0)
	v_lshlrev_b32_e32 v24, 16, v0
	v_and_b32_e32 v25, 0xffff0000, v0
	;;#ASMSTART
	v_pk_mul_f32 v[22:23], v[22:23], v[24:25]
	v_pk_mul_f32 v[22:23], v[22:23], v[18:19]
	;;#ASMEND
	v_lshlrev_b32_e32 v24, 16, v5
	v_mul_f32_e32 v0, 0xbfb8aa3b, v24
	v_and_b32_e32 v25, 0xffff0000, v5
	v_fma_f32 v4, v24, s20, -v0
	v_rndne_f32_e32 v5, v0
	v_fmac_f32_e32 v4, 0xb2a5705f, v24
	v_sub_f32_e32 v0, v0, v5
	v_add_f32_e32 v0, v0, v4
	v_exp_f32_e32 v0, v0
	v_cvt_i32_f32_e32 v4, v5
	v_cmp_nlt_f32_e32 vcc, s21, v24
	v_cvt_pk_fp8_f32 v21, v22, 0
	v_cvt_pk_fp8_f32 v22, v23, 0
	v_ldexp_f32 v0, v0, v4
	v_cndmask_b32_e32 v0, 0, v0, vcc
	v_cmp_ngt_f32_e32 vcc, s22, v24
	s_nop 1
	v_cndmask_b32_e32 v0, v20, v0, vcc
	v_add_f32_e32 v0, 1.0, v0
	v_rcp_f32_e32 v4, v0
	v_mul_f32_e32 v0, 0xbfb8aa3b, v25
	v_fma_f32 v5, v25, s20, -v0
	v_rndne_f32_e32 v23, v0
	v_fmac_f32_e32 v5, 0xb2a5705f, v25
	v_sub_f32_e32 v0, v0, v23
	v_add_f32_e32 v0, v0, v5
	v_exp_f32_e32 v0, v0
	v_cvt_i32_f32_e32 v5, v23
	v_cmp_nlt_f32_e32 vcc, s21, v25
	v_ldexp_f32 v0, v0, v5
	s_nop 0
	v_cndmask_b32_e32 v0, 0, v0, vcc
	v_cmp_ngt_f32_e32 vcc, s22, v25
	s_nop 1
	v_cndmask_b32_e32 v0, v20, v0, vcc
	v_add_f32_e32 v0, 1.0, v0
	v_rcp_f32_e32 v5, v0
	s_nop 0
	v_pk_mul_f32 v[4:5], v[4:5], v[24:25]
	v_and_b32_e32 v25, 0xffff0000, v1
	v_lshlrev_b32_e32 v24, 16, v1
	;;#ASMSTART
	v_pk_mul_f32 v[0:1], v[4:5], v[24:25]
	v_pk_mul_f32 v[0:1], v[0:1], v[18:19]
	;;#ASMEND
	s_nop 0
	v_cvt_pk_fp8_f32 v23, v0, 0
	v_lshlrev_b32_e32 v0, 16, v6
	v_mul_f32_e32 v4, 0xbfb8aa3b, v0
	v_cvt_pk_fp8_f32 v24, v1, 0
	v_and_b32_e32 v1, 0xffff0000, v6
	v_fma_f32 v5, v0, s20, -v4
	v_rndne_f32_e32 v6, v4
	v_fmac_f32_e32 v5, 0xb2a5705f, v0
	v_sub_f32_e32 v4, v4, v6
	v_add_f32_e32 v4, v4, v5
	v_exp_f32_e32 v4, v4
	v_cvt_i32_f32_e32 v5, v6
	v_cmp_nlt_f32_e32 vcc, s21, v0
	v_ldexp_f32 v4, v4, v5
	v_mul_f32_e32 v5, 0xbfb8aa3b, v1
	v_fma_f32 v6, v1, s20, -v5
	v_rndne_f32_e32 v25, v5
	v_fmac_f32_e32 v6, 0xb2a5705f, v1
	v_sub_f32_e32 v5, v5, v25
	v_add_f32_e32 v5, v5, v6
	v_exp_f32_e32 v5, v5
	v_cvt_i32_f32_e32 v6, v25
	v_cndmask_b32_e32 v4, 0, v4, vcc
	v_cmp_ngt_f32_e32 vcc, s22, v0
	v_ldexp_f32 v5, v5, v6
	s_nop 0
	v_cndmask_b32_e32 v4, v20, v4, vcc
	v_cmp_nlt_f32_e32 vcc, s21, v1
	v_add_f32_e32 v4, 1.0, v4
	v_rcp_f32_e32 v4, v4
	v_cndmask_b32_e32 v5, 0, v5, vcc
	v_cmp_ngt_f32_e32 vcc, s22, v1
	s_nop 1
	v_cndmask_b32_e32 v5, v20, v5, vcc
	v_add_f32_e32 v5, 1.0, v5
	v_rcp_f32_e32 v5, v5
	s_nop 0
	v_pk_mul_f32 v[0:1], v[4:5], v[0:1]
	v_and_b32_e32 v5, 0xffff0000, v2
	v_lshlrev_b32_e32 v4, 16, v2
	;;#ASMSTART
	v_pk_mul_f32 v[0:1], v[0:1], v[4:5]
	v_pk_mul_f32 v[0:1], v[0:1], v[18:19]
	;;#ASMEND
	s_nop 0
	v_cvt_pk_fp8_f32 v2, v0, 0
	v_lshlrev_b32_e32 v0, 16, v7
	v_mul_f32_e32 v4, 0xbfb8aa3b, v0
	v_cvt_pk_fp8_f32 v6, v1, 0
	v_and_b32_e32 v1, 0xffff0000, v7
	v_fma_f32 v5, v0, s20, -v4
	v_rndne_f32_e32 v7, v4
	v_fmac_f32_e32 v5, 0xb2a5705f, v0
	v_sub_f32_e32 v4, v4, v7
	v_add_f32_e32 v4, v4, v5
	v_exp_f32_e32 v4, v4
	v_cvt_i32_f32_e32 v5, v7
	v_cmp_nlt_f32_e32 vcc, s21, v0
	v_ldexp_f32 v4, v4, v5
	v_mul_f32_e32 v5, 0xbfb8aa3b, v1
	v_fma_f32 v7, v1, s20, -v5
	v_rndne_f32_e32 v25, v5
	v_fmac_f32_e32 v7, 0xb2a5705f, v1
	v_sub_f32_e32 v5, v5, v25
	v_add_f32_e32 v5, v5, v7
	v_exp_f32_e32 v5, v5
	v_cvt_i32_f32_e32 v7, v25
	v_cndmask_b32_e32 v4, 0, v4, vcc
	v_cmp_ngt_f32_e32 vcc, s22, v0
	v_ldexp_f32 v5, v5, v7
	s_nop 0
	v_cndmask_b32_e32 v4, v20, v4, vcc
	v_cmp_nlt_f32_e32 vcc, s21, v1
	v_add_f32_e32 v4, 1.0, v4
	v_rcp_f32_e32 v4, v4
	v_cndmask_b32_e32 v5, 0, v5, vcc
	v_cmp_ngt_f32_e32 vcc, s22, v1
	s_nop 1
	v_cndmask_b32_e32 v5, v20, v5, vcc
	v_add_f32_e32 v5, 1.0, v5
	v_rcp_f32_e32 v5, v5
	s_nop 0
	v_pk_mul_f32 v[0:1], v[4:5], v[0:1]
	v_lshlrev_b32_e32 v4, 16, v3
	v_and_b32_e32 v5, 0xffff0000, v3
	;;#ASMSTART
	v_pk_mul_f32 v[0:1], v[0:1], v[4:5]
	v_pk_mul_f32 v[0:1], v[0:1], v[18:19]
	;;#ASMEND
	v_lshlrev_b16_e32 v3, 8, v12
	v_lshlrev_b16_e32 v4, 8, v13
	v_or_b32_sdwa v3, v8, v3 dst_sel:DWORD dst_unused:UNUSED_PAD src0_sel:BYTE_0 src1_sel:DWORD
	v_or_b32_sdwa v4, v9, v4 dst_sel:WORD_1 dst_unused:UNUSED_PAD src0_sel:BYTE_0 src1_sel:DWORD
	v_cvt_pk_fp8_f32 v1, v1, 0
	v_or_b32_sdwa v8, v3, v4 dst_sel:DWORD dst_unused:UNUSED_PAD src0_sel:WORD_0 src1_sel:DWORD
	v_lshlrev_b16_e32 v3, 8, v14
	v_lshlrev_b16_e32 v4, 8, v15
	s_load_dword s18, s[0:1], 0xc
	v_cvt_pk_fp8_f32 v0, v0, 0
	v_or_b32_sdwa v3, v10, v3 dst_sel:DWORD dst_unused:UNUSED_PAD src0_sel:BYTE_0 src1_sel:DWORD
	v_or_b32_sdwa v4, v11, v4 dst_sel:WORD_1 dst_unused:UNUSED_PAD src0_sel:BYTE_0 src1_sel:DWORD
	v_lshlrev_b16_e32 v1, 8, v1
	v_or_b32_sdwa v9, v3, v4 dst_sel:DWORD dst_unused:UNUSED_PAD src0_sel:WORD_0 src1_sel:DWORD
	v_lshlrev_b16_e32 v3, 8, v22
	v_lshlrev_b16_e32 v4, 8, v24
	v_or_b32_sdwa v3, v21, v3 dst_sel:DWORD dst_unused:UNUSED_PAD src0_sel:BYTE_0 src1_sel:DWORD
	v_or_b32_sdwa v4, v23, v4 dst_sel:WORD_1 dst_unused:UNUSED_PAD src0_sel:BYTE_0 src1_sel:DWORD
	v_or_b32_sdwa v0, v0, v1 dst_sel:WORD_1 dst_unused:UNUSED_PAD src0_sel:BYTE_0 src1_sel:DWORD
	v_or_b32_sdwa v10, v3, v4 dst_sel:DWORD dst_unused:UNUSED_PAD src0_sel:WORD_0 src1_sel:DWORD
	v_lshlrev_b16_e32 v3, 8, v6
	v_or_b32_sdwa v2, v2, v3 dst_sel:DWORD dst_unused:UNUSED_PAD src0_sel:BYTE_0 src1_sel:DWORD
	s_waitcnt lgkmcnt(0)
	s_and_b32 s18, s18, 0xffff
	v_or_b32_sdwa v11, v2, v0 dst_sel:DWORD dst_unused:UNUSED_PAD src0_sel:WORD_0 src1_sel:DWORD
	s_lshl_b32 s18, s18, 4
	buffer_store_dwordx4 v[8:11], v16, s[12:15], 0 offen
	v_lshl_add_u64 v[16:17], s[18:19], 0, v[16:17]
	v_cmp_le_i64_e32 vcc, s[16:17], v[16:17]
	s_or_b64 s[2:3], vcc, s[2:3]
	s_andn2_b64 exec, exec, s[2:3]
	s_cbranch_execnz .LBB507_2
.LBB507_3:
	s_endpgm
	.section	.rodata,"a",@progbits
	.p2align	6, 0x0
	.amdhsa_kernel _ZN5aiter25scaled_act_and_mul_kernelItDB8_TnPFfRKT_EXadL_ZNS_11silu_kernelItEEfS4_EELi16EEEvPT0_PS3_if
		.amdhsa_group_segment_fixed_size 0
		.amdhsa_private_segment_fixed_size 0
		.amdhsa_kernarg_size 280
		.amdhsa_user_sgpr_count 2
		.amdhsa_user_sgpr_dispatch_ptr 0
		.amdhsa_user_sgpr_queue_ptr 0
		.amdhsa_user_sgpr_kernarg_segment_ptr 1
		.amdhsa_user_sgpr_dispatch_id 0
		.amdhsa_user_sgpr_kernarg_preload_length 0
		.amdhsa_user_sgpr_kernarg_preload_offset 0
		.amdhsa_user_sgpr_private_segment_size 0
		.amdhsa_uses_dynamic_stack 0
		.amdhsa_enable_private_segment 0
		.amdhsa_system_sgpr_workgroup_id_x 1
		.amdhsa_system_sgpr_workgroup_id_y 0
		.amdhsa_system_sgpr_workgroup_id_z 0
		.amdhsa_system_sgpr_workgroup_info 0
		.amdhsa_system_vgpr_workitem_id 0
		.amdhsa_next_free_vgpr 26
		.amdhsa_next_free_sgpr 23
		.amdhsa_accum_offset 28
		.amdhsa_reserve_vcc 1
		.amdhsa_float_round_mode_32 0
		.amdhsa_float_round_mode_16_64 0
		.amdhsa_float_denorm_mode_32 3
		.amdhsa_float_denorm_mode_16_64 3
		.amdhsa_dx10_clamp 1
		.amdhsa_ieee_mode 1
		.amdhsa_fp16_overflow 0
		.amdhsa_tg_split 0
		.amdhsa_exception_fp_ieee_invalid_op 0
		.amdhsa_exception_fp_denorm_src 0
		.amdhsa_exception_fp_ieee_div_zero 0
		.amdhsa_exception_fp_ieee_overflow 0
		.amdhsa_exception_fp_ieee_underflow 0
		.amdhsa_exception_fp_ieee_inexact 0
		.amdhsa_exception_int_div_zero 0
	.end_amdhsa_kernel
	.section	.text._ZN5aiter25scaled_act_and_mul_kernelItDB8_TnPFfRKT_EXadL_ZNS_11silu_kernelItEEfS4_EELi16EEEvPT0_PS3_if,"axG",@progbits,_ZN5aiter25scaled_act_and_mul_kernelItDB8_TnPFfRKT_EXadL_ZNS_11silu_kernelItEEfS4_EELi16EEEvPT0_PS3_if,comdat
.Lfunc_end507:
	.size	_ZN5aiter25scaled_act_and_mul_kernelItDB8_TnPFfRKT_EXadL_ZNS_11silu_kernelItEEfS4_EELi16EEEvPT0_PS3_if, .Lfunc_end507-_ZN5aiter25scaled_act_and_mul_kernelItDB8_TnPFfRKT_EXadL_ZNS_11silu_kernelItEEfS4_EELi16EEEvPT0_PS3_if
                                        ; -- End function
	.section	.AMDGPU.csdata,"",@progbits
; Kernel info:
; codeLenInByte = 2368
; NumSgprs: 29
; NumVgprs: 26
; NumAgprs: 0
; TotalNumVgprs: 26
; ScratchSize: 0
; MemoryBound: 0
; FloatMode: 240
; IeeeMode: 1
; LDSByteSize: 0 bytes/workgroup (compile time only)
; SGPRBlocks: 3
; VGPRBlocks: 3
; NumSGPRsForWavesPerEU: 29
; NumVGPRsForWavesPerEU: 26
; AccumOffset: 28
; Occupancy: 8
; WaveLimiterHint : 0
; COMPUTE_PGM_RSRC2:SCRATCH_EN: 0
; COMPUTE_PGM_RSRC2:USER_SGPR: 2
; COMPUTE_PGM_RSRC2:TRAP_HANDLER: 0
; COMPUTE_PGM_RSRC2:TGID_X_EN: 1
; COMPUTE_PGM_RSRC2:TGID_Y_EN: 0
; COMPUTE_PGM_RSRC2:TGID_Z_EN: 0
; COMPUTE_PGM_RSRC2:TIDIG_COMP_CNT: 0
; COMPUTE_PGM_RSRC3_GFX90A:ACCUM_OFFSET: 6
; COMPUTE_PGM_RSRC3_GFX90A:TG_SPLIT: 0
	.section	.text._ZN5aiter25scaled_act_and_mul_kernelItDB8_TnPFfRKT_EXadL_ZNS_11silu_kernelItEEfS4_EELi8EEEvPT0_PS3_if,"axG",@progbits,_ZN5aiter25scaled_act_and_mul_kernelItDB8_TnPFfRKT_EXadL_ZNS_11silu_kernelItEEfS4_EELi8EEEvPT0_PS3_if,comdat
	.protected	_ZN5aiter25scaled_act_and_mul_kernelItDB8_TnPFfRKT_EXadL_ZNS_11silu_kernelItEEfS4_EELi8EEEvPT0_PS3_if ; -- Begin function _ZN5aiter25scaled_act_and_mul_kernelItDB8_TnPFfRKT_EXadL_ZNS_11silu_kernelItEEfS4_EELi8EEEvPT0_PS3_if
	.globl	_ZN5aiter25scaled_act_and_mul_kernelItDB8_TnPFfRKT_EXadL_ZNS_11silu_kernelItEEfS4_EELi8EEEvPT0_PS3_if
	.p2align	8
	.type	_ZN5aiter25scaled_act_and_mul_kernelItDB8_TnPFfRKT_EXadL_ZNS_11silu_kernelItEEfS4_EELi8EEEvPT0_PS3_if,@function
_ZN5aiter25scaled_act_and_mul_kernelItDB8_TnPFfRKT_EXadL_ZNS_11silu_kernelItEEfS4_EELi8EEEvPT0_PS3_if: ; @_ZN5aiter25scaled_act_and_mul_kernelItDB8_TnPFfRKT_EXadL_ZNS_11silu_kernelItEEfS4_EELi8EEEvPT0_PS3_if
; %bb.0:
	s_load_dwordx2 s[4:5], s[0:1], 0x10
	v_lshlrev_b32_e32 v8, 3, v0
	s_waitcnt lgkmcnt(0)
	v_cmp_gt_i32_e32 vcc, s4, v8
	s_and_saveexec_b64 s[6:7], vcc
	s_cbranch_execz .LBB508_3
; %bb.1:
	s_load_dwordx4 s[8:11], s[0:1], 0x0
	s_ashr_i32 s15, s4, 31
	s_mul_hi_u32 s3, s4, s2
	s_mul_i32 s6, s15, s2
	s_add_i32 s3, s3, s6
	s_mul_i32 s2, s4, s2
	s_lshl_b64 s[6:7], s[2:3], 2
	s_mov_b32 s14, s4
	s_waitcnt lgkmcnt(0)
	s_add_u32 s16, s10, s6
	s_addc_u32 s10, s11, s7
	s_lshl_b64 s[6:7], s[14:15], 1
	s_add_u32 s20, s16, s6
	s_addc_u32 s6, s10, s7
	s_add_i32 s7, s4, 1
	s_lshr_b32 s11, s7, 31
	s_add_i32 s7, s7, s11
	s_lshl_b32 s7, s7, 1
	s_and_b32 s18, s7, -4
	s_and_b32 s17, s10, 0xffff
	s_and_b32 s21, s6, 0xffff
	s_add_u32 s24, s8, s2
	s_addc_u32 s2, s9, s3
	s_add_i32 s3, s4, 3
	s_ashr_i32 s4, s3, 31
	s_lshr_b32 s4, s4, 30
	s_add_i32 s3, s3, s4
	s_and_b32 s26, s3, -4
	s_and_b32 s25, s2, 0xffff
	s_mov_b32 s19, 0x20000
	s_mov_b32 s4, s5
	s_add_u32 s28, s0, 24
	s_mov_b32 s27, s19
	v_mov_b32_e32 v9, 0
	s_addc_u32 s29, s1, 0
	s_mov_b64 s[30:31], 0
	s_mov_b32 s35, 0
	s_mov_b32 s33, 0xbfb8aa3b
	;; [unrolled: 1-line block ×4, first 2 shown]
	v_mov_b32_e32 v22, 0x7f800000
	v_mov_b64_e32 v[10:11], s[4:5]
	s_mov_b32 s22, s18
	s_mov_b32 s23, s19
.LBB508_2:                              ; =>This Inner Loop Header: Depth=1
	v_lshlrev_b32_e32 v12, 1, v8
	buffer_load_dwordx4 v[4:7], v12, s[16:19], 0 offen sc0 nt
	buffer_load_dwordx4 v[0:3], v12, s[20:23], 0 offen sc0 nt
	s_waitcnt vmcnt(1)
	v_and_b32_e32 v13, 0xffff0000, v4
	v_lshlrev_b32_e32 v12, 16, v4
	s_waitcnt vmcnt(0)
	v_and_b32_e32 v15, 0xffff0000, v0
	v_lshlrev_b32_e32 v14, 16, v0
	v_and_b32_e32 v17, 0xffff0000, v5
	v_lshlrev_b32_e32 v16, 16, v5
	;; [unrolled: 2-line block ×7, first 2 shown]
	v_mul_f32_e32 v2, 0xbfb8aa3b, v12
	v_mul_f32_e32 v3, 0xbfb8aa3b, v13
	;; [unrolled: 1-line block ×8, first 2 shown]
	v_fma_f32 v29, v12, s33, -v2
	v_rndne_f32_e32 v30, v2
	v_fma_f32 v31, v13, s33, -v3
	v_rndne_f32_e32 v32, v3
	;; [unrolled: 2-line block ×8, first 2 shown]
	v_fmac_f32_e32 v29, 0xb2a5705f, v12
	v_sub_f32_e32 v2, v2, v30
	v_fmac_f32_e32 v31, 0xb2a5705f, v13
	v_sub_f32_e32 v3, v3, v32
	;; [unrolled: 2-line block ×8, first 2 shown]
	v_add_f32_e32 v2, v2, v29
	v_add_f32_e32 v3, v3, v31
	;; [unrolled: 1-line block ×4, first 2 shown]
	v_cvt_i32_f32_e32 v30, v30
	v_cvt_i32_f32_e32 v32, v32
	;; [unrolled: 1-line block ×4, first 2 shown]
	v_add_f32_e32 v23, v23, v33
	v_add_f32_e32 v24, v24, v35
	;; [unrolled: 1-line block ×4, first 2 shown]
	v_exp_f32_e32 v2, v2
	v_exp_f32_e32 v3, v3
	;; [unrolled: 1-line block ×4, first 2 shown]
	v_cvt_i32_f32_e32 v34, v34
	v_cvt_i32_f32_e32 v36, v36
	;; [unrolled: 1-line block ×4, first 2 shown]
	v_exp_f32_e32 v23, v23
	v_exp_f32_e32 v24, v24
	;; [unrolled: 1-line block ×4, first 2 shown]
	v_ldexp_f32 v2, v2, v30
	v_ldexp_f32 v3, v3, v32
	v_cmp_nlt_f32_e32 vcc, s36, v13
	v_ldexp_f32 v25, v25, v38
	v_cmp_nlt_f32_e64 s[4:5], s36, v0
	v_ldexp_f32 v26, v26, v40
	v_cmp_nlt_f32_e64 s[6:7], s36, v1
	v_cmp_nlt_f32_e64 s[12:13], s36, v12
	v_ldexp_f32 v23, v23, v34
	v_cmp_nlt_f32_e64 s[0:1], s36, v16
	v_ldexp_f32 v24, v24, v36
	;; [unrolled: 2-line block ×4, first 2 shown]
	v_cmp_nlt_f32_e64 s[10:11], s36, v21
	v_cndmask_b32_e64 v2, 0, v2, s[12:13]
	v_cndmask_b32_e32 v3, 0, v3, vcc
	v_cmp_ngt_f32_e32 vcc, s37, v13
	v_cndmask_b32_e64 v25, 0, v25, s[4:5]
	v_cmp_ngt_f32_e64 s[4:5], s37, v0
	v_cndmask_b32_e64 v26, 0, v26, s[6:7]
	v_cmp_ngt_f32_e64 s[6:7], s37, v1
	v_cmp_ngt_f32_e64 s[12:13], s37, v12
	v_cndmask_b32_e64 v23, 0, v23, s[0:1]
	v_cmp_ngt_f32_e64 s[0:1], s37, v16
	v_cndmask_b32_e64 v24, 0, v24, s[2:3]
	;; [unrolled: 2-line block ×5, first 2 shown]
	v_cndmask_b32_e32 v3, v22, v3, vcc
	v_cndmask_b32_e64 v25, v22, v25, s[4:5]
	v_cndmask_b32_e64 v26, v22, v26, s[6:7]
	;; [unrolled: 1-line block ×6, first 2 shown]
	v_add_f32_e32 v2, 1.0, v2
	v_add_f32_e32 v3, 1.0, v3
	;; [unrolled: 1-line block ×8, first 2 shown]
	v_rcp_f32_e32 v2, v2
	v_rcp_f32_e32 v3, v3
	;; [unrolled: 1-line block ×8, first 2 shown]
	v_pk_mul_f32 v[2:3], v[2:3], v[12:13]
	v_pk_mul_f32 v[0:1], v[26:27], v[0:1]
	v_pk_mul_f32 v[12:13], v[24:25], v[16:17]
	v_pk_mul_f32 v[16:17], v[28:29], v[20:21]
	;;#ASMSTART
	v_pk_mul_f32 v[2:3], v[2:3], v[14:15]
	v_pk_mul_f32 v[2:3], v[2:3], v[10:11]
	;;#ASMEND
	;;#ASMSTART
	v_pk_mul_f32 v[4:5], v[12:13], v[4:5]
	v_pk_mul_f32 v[4:5], v[4:5], v[10:11]
	;;#ASMEND
	;; [unrolled: 4-line block ×3, first 2 shown]
	s_nop 0
	;;#ASMSTART
	v_pk_mul_f32 v[6:7], v[16:17], v[6:7]
	v_pk_mul_f32 v[6:7], v[6:7], v[10:11]
	;;#ASMEND
	s_load_dword s0, s[28:29], 0xc
	v_cvt_pk_fp8_f32 v3, v3, 0
	v_cvt_pk_fp8_f32 v5, v5, 0
	;; [unrolled: 1-line block ×8, first 2 shown]
	v_lshlrev_b16_e32 v3, 8, v3
	v_lshlrev_b16_e32 v5, 8, v5
	;; [unrolled: 1-line block ×4, first 2 shown]
	s_waitcnt lgkmcnt(0)
	s_and_b32 s0, s0, 0xffff
	v_or_b32_sdwa v2, v2, v3 dst_sel:DWORD dst_unused:UNUSED_PAD src0_sel:BYTE_0 src1_sel:DWORD
	v_or_b32_sdwa v3, v4, v5 dst_sel:WORD_1 dst_unused:UNUSED_PAD src0_sel:BYTE_0 src1_sel:DWORD
	v_or_b32_sdwa v1, v0, v1 dst_sel:DWORD dst_unused:UNUSED_PAD src0_sel:BYTE_0 src1_sel:DWORD
	v_or_b32_sdwa v4, v6, v7 dst_sel:WORD_1 dst_unused:UNUSED_PAD src0_sel:BYTE_0 src1_sel:DWORD
	s_lshl_b32 s34, s0, 3
	v_or_b32_sdwa v0, v2, v3 dst_sel:DWORD dst_unused:UNUSED_PAD src0_sel:WORD_0 src1_sel:DWORD
	v_or_b32_sdwa v1, v1, v4 dst_sel:DWORD dst_unused:UNUSED_PAD src0_sel:WORD_0 src1_sel:DWORD
	buffer_store_dwordx2 v[0:1], v8, s[24:27], 0 offen
	v_lshl_add_u64 v[8:9], s[34:35], 0, v[8:9]
	v_cmp_le_i64_e32 vcc, s[14:15], v[8:9]
	s_or_b64 s[30:31], vcc, s[30:31]
	s_andn2_b64 exec, exec, s[30:31]
	s_cbranch_execnz .LBB508_2
.LBB508_3:
	s_endpgm
	.section	.rodata,"a",@progbits
	.p2align	6, 0x0
	.amdhsa_kernel _ZN5aiter25scaled_act_and_mul_kernelItDB8_TnPFfRKT_EXadL_ZNS_11silu_kernelItEEfS4_EELi8EEEvPT0_PS3_if
		.amdhsa_group_segment_fixed_size 0
		.amdhsa_private_segment_fixed_size 0
		.amdhsa_kernarg_size 280
		.amdhsa_user_sgpr_count 2
		.amdhsa_user_sgpr_dispatch_ptr 0
		.amdhsa_user_sgpr_queue_ptr 0
		.amdhsa_user_sgpr_kernarg_segment_ptr 1
		.amdhsa_user_sgpr_dispatch_id 0
		.amdhsa_user_sgpr_kernarg_preload_length 0
		.amdhsa_user_sgpr_kernarg_preload_offset 0
		.amdhsa_user_sgpr_private_segment_size 0
		.amdhsa_uses_dynamic_stack 0
		.amdhsa_enable_private_segment 0
		.amdhsa_system_sgpr_workgroup_id_x 1
		.amdhsa_system_sgpr_workgroup_id_y 0
		.amdhsa_system_sgpr_workgroup_id_z 0
		.amdhsa_system_sgpr_workgroup_info 0
		.amdhsa_system_vgpr_workitem_id 0
		.amdhsa_next_free_vgpr 45
		.amdhsa_next_free_sgpr 38
		.amdhsa_accum_offset 48
		.amdhsa_reserve_vcc 1
		.amdhsa_float_round_mode_32 0
		.amdhsa_float_round_mode_16_64 0
		.amdhsa_float_denorm_mode_32 3
		.amdhsa_float_denorm_mode_16_64 3
		.amdhsa_dx10_clamp 1
		.amdhsa_ieee_mode 1
		.amdhsa_fp16_overflow 0
		.amdhsa_tg_split 0
		.amdhsa_exception_fp_ieee_invalid_op 0
		.amdhsa_exception_fp_denorm_src 0
		.amdhsa_exception_fp_ieee_div_zero 0
		.amdhsa_exception_fp_ieee_overflow 0
		.amdhsa_exception_fp_ieee_underflow 0
		.amdhsa_exception_fp_ieee_inexact 0
		.amdhsa_exception_int_div_zero 0
	.end_amdhsa_kernel
	.section	.text._ZN5aiter25scaled_act_and_mul_kernelItDB8_TnPFfRKT_EXadL_ZNS_11silu_kernelItEEfS4_EELi8EEEvPT0_PS3_if,"axG",@progbits,_ZN5aiter25scaled_act_and_mul_kernelItDB8_TnPFfRKT_EXadL_ZNS_11silu_kernelItEEfS4_EELi8EEEvPT0_PS3_if,comdat
.Lfunc_end508:
	.size	_ZN5aiter25scaled_act_and_mul_kernelItDB8_TnPFfRKT_EXadL_ZNS_11silu_kernelItEEfS4_EELi8EEEvPT0_PS3_if, .Lfunc_end508-_ZN5aiter25scaled_act_and_mul_kernelItDB8_TnPFfRKT_EXadL_ZNS_11silu_kernelItEEfS4_EELi8EEEvPT0_PS3_if
                                        ; -- End function
	.section	.AMDGPU.csdata,"",@progbits
; Kernel info:
; codeLenInByte = 1372
; NumSgprs: 44
; NumVgprs: 45
; NumAgprs: 0
; TotalNumVgprs: 45
; ScratchSize: 0
; MemoryBound: 0
; FloatMode: 240
; IeeeMode: 1
; LDSByteSize: 0 bytes/workgroup (compile time only)
; SGPRBlocks: 5
; VGPRBlocks: 5
; NumSGPRsForWavesPerEU: 44
; NumVGPRsForWavesPerEU: 45
; AccumOffset: 48
; Occupancy: 8
; WaveLimiterHint : 0
; COMPUTE_PGM_RSRC2:SCRATCH_EN: 0
; COMPUTE_PGM_RSRC2:USER_SGPR: 2
; COMPUTE_PGM_RSRC2:TRAP_HANDLER: 0
; COMPUTE_PGM_RSRC2:TGID_X_EN: 1
; COMPUTE_PGM_RSRC2:TGID_Y_EN: 0
; COMPUTE_PGM_RSRC2:TGID_Z_EN: 0
; COMPUTE_PGM_RSRC2:TIDIG_COMP_CNT: 0
; COMPUTE_PGM_RSRC3_GFX90A:ACCUM_OFFSET: 11
; COMPUTE_PGM_RSRC3_GFX90A:TG_SPLIT: 0
	.section	.text._ZN5aiter25scaled_act_and_mul_kernelItDB8_TnPFfRKT_EXadL_ZNS_11silu_kernelItEEfS4_EELi4EEEvPT0_PS3_if,"axG",@progbits,_ZN5aiter25scaled_act_and_mul_kernelItDB8_TnPFfRKT_EXadL_ZNS_11silu_kernelItEEfS4_EELi4EEEvPT0_PS3_if,comdat
	.protected	_ZN5aiter25scaled_act_and_mul_kernelItDB8_TnPFfRKT_EXadL_ZNS_11silu_kernelItEEfS4_EELi4EEEvPT0_PS3_if ; -- Begin function _ZN5aiter25scaled_act_and_mul_kernelItDB8_TnPFfRKT_EXadL_ZNS_11silu_kernelItEEfS4_EELi4EEEvPT0_PS3_if
	.globl	_ZN5aiter25scaled_act_and_mul_kernelItDB8_TnPFfRKT_EXadL_ZNS_11silu_kernelItEEfS4_EELi4EEEvPT0_PS3_if
	.p2align	8
	.type	_ZN5aiter25scaled_act_and_mul_kernelItDB8_TnPFfRKT_EXadL_ZNS_11silu_kernelItEEfS4_EELi4EEEvPT0_PS3_if,@function
_ZN5aiter25scaled_act_and_mul_kernelItDB8_TnPFfRKT_EXadL_ZNS_11silu_kernelItEEfS4_EELi4EEEvPT0_PS3_if: ; @_ZN5aiter25scaled_act_and_mul_kernelItDB8_TnPFfRKT_EXadL_ZNS_11silu_kernelItEEfS4_EELi4EEEvPT0_PS3_if
; %bb.0:
	s_load_dwordx2 s[4:5], s[0:1], 0x10
	v_lshlrev_b32_e32 v0, 2, v0
	s_waitcnt lgkmcnt(0)
	v_cmp_gt_i32_e32 vcc, s4, v0
	s_and_saveexec_b64 s[6:7], vcc
	s_cbranch_execz .LBB509_3
; %bb.1:
	s_load_dwordx4 s[16:19], s[0:1], 0x0
	s_ashr_i32 s7, s4, 31
	s_mul_hi_u32 s3, s4, s2
	s_mul_i32 s8, s7, s2
	s_add_i32 s3, s3, s8
	s_mul_i32 s2, s4, s2
	s_lshl_b64 s[8:9], s[2:3], 2
	s_mov_b32 s6, s4
	s_waitcnt lgkmcnt(0)
	s_add_u32 s8, s18, s8
	s_addc_u32 s9, s19, s9
	s_lshl_b64 s[10:11], s[6:7], 1
	s_add_u32 s12, s8, s10
	s_addc_u32 s13, s9, s11
	s_add_i32 s10, s4, 1
	s_lshr_b32 s11, s10, 31
	s_add_i32 s10, s10, s11
	s_lshl_b32 s10, s10, 1
	s_and_b32 s10, s10, -4
	s_and_b32 s9, s9, 0xffff
	s_and_b32 s13, s13, 0xffff
	s_add_u32 s16, s16, s2
	s_addc_u32 s2, s17, s3
	s_add_i32 s3, s4, 3
	s_ashr_i32 s4, s3, 31
	s_lshr_b32 s4, s4, 30
	s_add_i32 s3, s3, s4
	s_and_b32 s18, s3, -4
	s_and_b32 s17, s2, 0xffff
	s_mov_b32 s11, 0x20000
	s_mov_b32 s4, s5
	s_add_u32 s20, s0, 24
	s_mov_b32 s19, s11
	v_mov_b32_e32 v1, 0
	s_addc_u32 s21, s1, 0
	s_mov_b64 s[22:23], 0
	s_mov_b32 s25, 0
	s_mov_b32 s26, 0xbfb8aa3b
	;; [unrolled: 1-line block ×4, first 2 shown]
	v_mov_b32_e32 v6, 0x7f800000
	v_mov_b64_e32 v[2:3], s[4:5]
	s_mov_b32 s14, s10
	s_mov_b32 s15, s11
.LBB509_2:                              ; =>This Inner Loop Header: Depth=1
	v_lshlrev_b32_e32 v4, 1, v0
	buffer_load_dwordx2 v[8:9], v4, s[8:11], 0 offen sc0 nt
	buffer_load_dwordx2 v[10:11], v4, s[12:15], 0 offen sc0 nt
	s_waitcnt vmcnt(1)
	v_and_b32_e32 v5, 0xffff0000, v8
	v_lshlrev_b32_e32 v4, 16, v8
	s_waitcnt vmcnt(0)
	v_and_b32_e32 v13, 0xffff0000, v10
	v_lshlrev_b32_e32 v12, 16, v10
	v_lshlrev_b32_e32 v14, 16, v9
	v_mul_f32_e32 v7, 0xbfb8aa3b, v4
	v_mul_f32_e32 v10, 0xbfb8aa3b, v5
	v_and_b32_e32 v15, 0xffff0000, v9
	v_and_b32_e32 v9, 0xffff0000, v11
	v_lshlrev_b32_e32 v8, 16, v11
	v_mul_f32_e32 v11, 0xbfb8aa3b, v14
	v_fma_f32 v17, v4, s26, -v7
	v_rndne_f32_e32 v18, v7
	v_fma_f32 v19, v5, s26, -v10
	v_rndne_f32_e32 v20, v10
	v_mul_f32_e32 v16, 0xbfb8aa3b, v15
	v_fma_f32 v21, v14, s26, -v11
	v_rndne_f32_e32 v22, v11
	v_fmac_f32_e32 v17, 0xb2a5705f, v4
	v_sub_f32_e32 v7, v7, v18
	v_fmac_f32_e32 v19, 0xb2a5705f, v5
	v_sub_f32_e32 v10, v10, v20
	v_fma_f32 v23, v15, s26, -v16
	v_rndne_f32_e32 v24, v16
	v_fmac_f32_e32 v21, 0xb2a5705f, v14
	v_sub_f32_e32 v11, v11, v22
	v_add_f32_e32 v7, v7, v17
	v_add_f32_e32 v10, v10, v19
	v_cvt_i32_f32_e32 v18, v18
	v_cvt_i32_f32_e32 v20, v20
	v_fmac_f32_e32 v23, 0xb2a5705f, v15
	v_sub_f32_e32 v16, v16, v24
	v_add_f32_e32 v11, v11, v21
	v_exp_f32_e32 v7, v7
	v_exp_f32_e32 v10, v10
	v_cvt_i32_f32_e32 v22, v22
	v_add_f32_e32 v16, v16, v23
	v_exp_f32_e32 v11, v11
	v_cvt_i32_f32_e32 v24, v24
	v_exp_f32_e32 v16, v16
	v_ldexp_f32 v7, v7, v18
	v_ldexp_f32 v10, v10, v20
	v_cmp_nlt_f32_e32 vcc, s27, v5
	v_cmp_nlt_f32_e64 s[4:5], s27, v4
	v_ldexp_f32 v11, v11, v22
	v_cmp_nlt_f32_e64 s[0:1], s27, v14
	v_cndmask_b32_e64 v7, 0, v7, s[4:5]
	v_cndmask_b32_e32 v10, 0, v10, vcc
	v_cmp_ngt_f32_e32 vcc, s28, v5
	v_cmp_ngt_f32_e64 s[4:5], s28, v4
	v_ldexp_f32 v16, v16, v24
	v_cmp_nlt_f32_e64 s[2:3], s27, v15
	v_cndmask_b32_e64 v11, 0, v11, s[0:1]
	v_cmp_ngt_f32_e64 s[0:1], s28, v14
	v_cndmask_b32_e64 v7, v6, v7, s[4:5]
	v_cndmask_b32_e32 v10, v6, v10, vcc
	v_cndmask_b32_e64 v16, 0, v16, s[2:3]
	v_cmp_ngt_f32_e64 s[2:3], s28, v15
	v_cndmask_b32_e64 v11, v6, v11, s[0:1]
	v_add_f32_e32 v7, 1.0, v7
	v_add_f32_e32 v17, 1.0, v10
	v_cndmask_b32_e64 v16, v6, v16, s[2:3]
	v_add_f32_e32 v18, 1.0, v11
	v_rcp_f32_e32 v10, v7
	v_rcp_f32_e32 v11, v17
	v_add_f32_e32 v19, 1.0, v16
	v_rcp_f32_e32 v16, v18
	v_rcp_f32_e32 v17, v19
	v_pk_mul_f32 v[4:5], v[10:11], v[4:5]
	v_pk_mul_f32 v[10:11], v[16:17], v[14:15]
	;;#ASMSTART
	v_pk_mul_f32 v[4:5], v[4:5], v[12:13]
	v_pk_mul_f32 v[4:5], v[4:5], v[2:3]
	;;#ASMEND
	s_nop 0
	;;#ASMSTART
	v_pk_mul_f32 v[8:9], v[10:11], v[8:9]
	v_pk_mul_f32 v[8:9], v[8:9], v[2:3]
	;;#ASMEND
	s_load_dword s0, s[20:21], 0xc
	v_cvt_pk_fp8_f32 v5, v5, 0
	v_cvt_pk_fp8_f32 v7, v9, 0
	;; [unrolled: 1-line block ×4, first 2 shown]
	v_lshlrev_b16_e32 v5, 8, v5
	v_lshlrev_b16_e32 v7, 8, v7
	s_waitcnt lgkmcnt(0)
	s_and_b32 s0, s0, 0xffff
	v_or_b32_sdwa v4, v4, v5 dst_sel:DWORD dst_unused:UNUSED_PAD src0_sel:BYTE_0 src1_sel:DWORD
	v_or_b32_sdwa v5, v8, v7 dst_sel:WORD_1 dst_unused:UNUSED_PAD src0_sel:BYTE_0 src1_sel:DWORD
	s_lshl_b32 s24, s0, 2
	v_or_b32_sdwa v4, v4, v5 dst_sel:DWORD dst_unused:UNUSED_PAD src0_sel:WORD_0 src1_sel:DWORD
	buffer_store_dword v4, v0, s[16:19], 0 offen
	v_lshl_add_u64 v[0:1], s[24:25], 0, v[0:1]
	v_cmp_le_i64_e32 vcc, s[6:7], v[0:1]
	s_or_b64 s[22:23], vcc, s[22:23]
	s_andn2_b64 exec, exec, s[22:23]
	s_cbranch_execnz .LBB509_2
.LBB509_3:
	s_endpgm
	.section	.rodata,"a",@progbits
	.p2align	6, 0x0
	.amdhsa_kernel _ZN5aiter25scaled_act_and_mul_kernelItDB8_TnPFfRKT_EXadL_ZNS_11silu_kernelItEEfS4_EELi4EEEvPT0_PS3_if
		.amdhsa_group_segment_fixed_size 0
		.amdhsa_private_segment_fixed_size 0
		.amdhsa_kernarg_size 280
		.amdhsa_user_sgpr_count 2
		.amdhsa_user_sgpr_dispatch_ptr 0
		.amdhsa_user_sgpr_queue_ptr 0
		.amdhsa_user_sgpr_kernarg_segment_ptr 1
		.amdhsa_user_sgpr_dispatch_id 0
		.amdhsa_user_sgpr_kernarg_preload_length 0
		.amdhsa_user_sgpr_kernarg_preload_offset 0
		.amdhsa_user_sgpr_private_segment_size 0
		.amdhsa_uses_dynamic_stack 0
		.amdhsa_enable_private_segment 0
		.amdhsa_system_sgpr_workgroup_id_x 1
		.amdhsa_system_sgpr_workgroup_id_y 0
		.amdhsa_system_sgpr_workgroup_id_z 0
		.amdhsa_system_sgpr_workgroup_info 0
		.amdhsa_system_vgpr_workitem_id 0
		.amdhsa_next_free_vgpr 25
		.amdhsa_next_free_sgpr 29
		.amdhsa_accum_offset 28
		.amdhsa_reserve_vcc 1
		.amdhsa_float_round_mode_32 0
		.amdhsa_float_round_mode_16_64 0
		.amdhsa_float_denorm_mode_32 3
		.amdhsa_float_denorm_mode_16_64 3
		.amdhsa_dx10_clamp 1
		.amdhsa_ieee_mode 1
		.amdhsa_fp16_overflow 0
		.amdhsa_tg_split 0
		.amdhsa_exception_fp_ieee_invalid_op 0
		.amdhsa_exception_fp_denorm_src 0
		.amdhsa_exception_fp_ieee_div_zero 0
		.amdhsa_exception_fp_ieee_overflow 0
		.amdhsa_exception_fp_ieee_underflow 0
		.amdhsa_exception_fp_ieee_inexact 0
		.amdhsa_exception_int_div_zero 0
	.end_amdhsa_kernel
	.section	.text._ZN5aiter25scaled_act_and_mul_kernelItDB8_TnPFfRKT_EXadL_ZNS_11silu_kernelItEEfS4_EELi4EEEvPT0_PS3_if,"axG",@progbits,_ZN5aiter25scaled_act_and_mul_kernelItDB8_TnPFfRKT_EXadL_ZNS_11silu_kernelItEEfS4_EELi4EEEvPT0_PS3_if,comdat
.Lfunc_end509:
	.size	_ZN5aiter25scaled_act_and_mul_kernelItDB8_TnPFfRKT_EXadL_ZNS_11silu_kernelItEEfS4_EELi4EEEvPT0_PS3_if, .Lfunc_end509-_ZN5aiter25scaled_act_and_mul_kernelItDB8_TnPFfRKT_EXadL_ZNS_11silu_kernelItEEfS4_EELi4EEEvPT0_PS3_if
                                        ; -- End function
	.section	.AMDGPU.csdata,"",@progbits
; Kernel info:
; codeLenInByte = 844
; NumSgprs: 35
; NumVgprs: 25
; NumAgprs: 0
; TotalNumVgprs: 25
; ScratchSize: 0
; MemoryBound: 0
; FloatMode: 240
; IeeeMode: 1
; LDSByteSize: 0 bytes/workgroup (compile time only)
; SGPRBlocks: 4
; VGPRBlocks: 3
; NumSGPRsForWavesPerEU: 35
; NumVGPRsForWavesPerEU: 25
; AccumOffset: 28
; Occupancy: 8
; WaveLimiterHint : 0
; COMPUTE_PGM_RSRC2:SCRATCH_EN: 0
; COMPUTE_PGM_RSRC2:USER_SGPR: 2
; COMPUTE_PGM_RSRC2:TRAP_HANDLER: 0
; COMPUTE_PGM_RSRC2:TGID_X_EN: 1
; COMPUTE_PGM_RSRC2:TGID_Y_EN: 0
; COMPUTE_PGM_RSRC2:TGID_Z_EN: 0
; COMPUTE_PGM_RSRC2:TIDIG_COMP_CNT: 0
; COMPUTE_PGM_RSRC3_GFX90A:ACCUM_OFFSET: 6
; COMPUTE_PGM_RSRC3_GFX90A:TG_SPLIT: 0
	.section	.text._ZN5aiter25scaled_act_and_mul_kernelItDB8_TnPFfRKT_EXadL_ZNS_11silu_kernelItEEfS4_EELi2EEEvPT0_PS3_if,"axG",@progbits,_ZN5aiter25scaled_act_and_mul_kernelItDB8_TnPFfRKT_EXadL_ZNS_11silu_kernelItEEfS4_EELi2EEEvPT0_PS3_if,comdat
	.protected	_ZN5aiter25scaled_act_and_mul_kernelItDB8_TnPFfRKT_EXadL_ZNS_11silu_kernelItEEfS4_EELi2EEEvPT0_PS3_if ; -- Begin function _ZN5aiter25scaled_act_and_mul_kernelItDB8_TnPFfRKT_EXadL_ZNS_11silu_kernelItEEfS4_EELi2EEEvPT0_PS3_if
	.globl	_ZN5aiter25scaled_act_and_mul_kernelItDB8_TnPFfRKT_EXadL_ZNS_11silu_kernelItEEfS4_EELi2EEEvPT0_PS3_if
	.p2align	8
	.type	_ZN5aiter25scaled_act_and_mul_kernelItDB8_TnPFfRKT_EXadL_ZNS_11silu_kernelItEEfS4_EELi2EEEvPT0_PS3_if,@function
_ZN5aiter25scaled_act_and_mul_kernelItDB8_TnPFfRKT_EXadL_ZNS_11silu_kernelItEEfS4_EELi2EEEvPT0_PS3_if: ; @_ZN5aiter25scaled_act_and_mul_kernelItDB8_TnPFfRKT_EXadL_ZNS_11silu_kernelItEEfS4_EELi2EEEvPT0_PS3_if
; %bb.0:
	s_load_dwordx2 s[10:11], s[0:1], 0x10
	v_lshlrev_b32_e32 v0, 1, v0
	s_waitcnt lgkmcnt(0)
	v_cmp_gt_i32_e32 vcc, s10, v0
	s_and_saveexec_b64 s[4:5], vcc
	s_cbranch_execz .LBB510_3
; %bb.1:
	s_load_dwordx4 s[12:15], s[0:1], 0x0
	s_ashr_i32 s17, s10, 31
	s_mul_hi_u32 s3, s10, s2
	s_mul_i32 s4, s17, s2
	s_add_i32 s3, s3, s4
	s_mul_i32 s2, s10, s2
	s_lshl_b64 s[4:5], s[2:3], 2
	s_mov_b32 s16, s10
	s_waitcnt lgkmcnt(0)
	s_add_u32 s4, s14, s4
	s_addc_u32 s5, s15, s5
	s_lshl_b64 s[6:7], s[16:17], 1
	s_add_u32 s8, s4, s6
	s_addc_u32 s9, s5, s7
	s_add_i32 s6, s10, 1
	s_lshr_b32 s7, s6, 31
	s_add_i32 s6, s6, s7
	s_lshl_b32 s6, s6, 1
	s_and_b32 s6, s6, -4
	s_and_b32 s5, s5, 0xffff
	s_and_b32 s9, s9, 0xffff
	s_add_u32 s12, s12, s2
	s_addc_u32 s2, s13, s3
	s_add_i32 s3, s10, 3
	s_ashr_i32 s10, s3, 31
	s_lshr_b32 s10, s10, 30
	s_add_i32 s3, s3, s10
	s_and_b32 s14, s3, -4
	s_and_b32 s13, s2, 0xffff
	s_mov_b32 s7, 0x20000
	s_mov_b32 s10, s11
	s_add_u32 s2, s0, 24
	s_mov_b32 s15, s7
	v_mov_b32_e32 v1, 0
	s_addc_u32 s3, s1, 0
	s_mov_b64 s[18:19], 0
	s_mov_b32 s21, 0
	s_mov_b32 s22, 0xbfb8aa3b
	;; [unrolled: 1-line block ×4, first 2 shown]
	v_mov_b32_e32 v4, 0x7f800000
	v_mov_b64_e32 v[2:3], s[10:11]
	s_mov_b32 s10, s6
	s_mov_b32 s11, s7
.LBB510_2:                              ; =>This Inner Loop Header: Depth=1
	v_lshlrev_b32_e32 v5, 1, v0
	buffer_load_dword v6, v5, s[4:7], 0 offen sc0 nt
	buffer_load_dword v8, v5, s[8:11], 0 offen sc0 nt
	s_waitcnt vmcnt(1)
	v_and_b32_e32 v7, 0xffff0000, v6
	v_lshlrev_b32_e32 v6, 16, v6
	v_mul_f32_e32 v5, 0xbfb8aa3b, v7
	v_mul_f32_e32 v10, 0xbfb8aa3b, v6
	v_fma_f32 v11, v7, s22, -v5
	v_rndne_f32_e32 v12, v5
	v_fma_f32 v13, v6, s22, -v10
	v_rndne_f32_e32 v14, v10
	v_fmac_f32_e32 v11, 0xb2a5705f, v7
	v_sub_f32_e32 v5, v5, v12
	v_fmac_f32_e32 v13, 0xb2a5705f, v6
	v_sub_f32_e32 v10, v10, v14
	v_add_f32_e32 v5, v5, v11
	v_add_f32_e32 v10, v10, v13
	v_cvt_i32_f32_e32 v12, v12
	v_cvt_i32_f32_e32 v14, v14
	v_exp_f32_e32 v5, v5
	v_exp_f32_e32 v10, v10
	v_cmp_nlt_f32_e32 vcc, s23, v6
	v_cmp_nlt_f32_e64 s[0:1], s23, v7
	v_ldexp_f32 v5, v5, v12
	v_ldexp_f32 v10, v10, v14
	v_cndmask_b32_e64 v5, 0, v5, s[0:1]
	v_cndmask_b32_e32 v10, 0, v10, vcc
	v_cmp_ngt_f32_e32 vcc, s24, v6
	v_cmp_ngt_f32_e64 s[0:1], s24, v7
	s_waitcnt vmcnt(0)
	v_and_b32_e32 v9, 0xffff0000, v8
	v_cndmask_b32_e32 v10, v4, v10, vcc
	v_cndmask_b32_e64 v5, v4, v5, s[0:1]
	v_add_f32_e32 v5, 1.0, v5
	v_add_f32_e32 v10, 1.0, v10
	v_rcp_f32_e32 v11, v5
	v_rcp_f32_e32 v10, v10
	v_lshlrev_b32_e32 v8, 16, v8
	v_pk_mul_f32 v[6:7], v[10:11], v[6:7]
	s_nop 0
	;;#ASMSTART
	v_pk_mul_f32 v[6:7], v[6:7], v[8:9]
	v_pk_mul_f32 v[6:7], v[6:7], v[2:3]
	;;#ASMEND
	s_load_dword s0, s[2:3], 0xc
	v_cvt_pk_fp8_f32 v5, v7, 0
	v_cvt_pk_fp8_f32 v6, v6, 0
	v_lshlrev_b16_e32 v5, 8, v5
	s_waitcnt lgkmcnt(0)
	s_and_b32 s0, s0, 0xffff
	v_or_b32_sdwa v5, v6, v5 dst_sel:DWORD dst_unused:UNUSED_PAD src0_sel:BYTE_0 src1_sel:DWORD
	s_lshl_b32 s20, s0, 1
	buffer_store_short v5, v0, s[12:15], 0 offen
	v_lshl_add_u64 v[0:1], s[20:21], 0, v[0:1]
	v_cmp_le_i64_e32 vcc, s[16:17], v[0:1]
	s_or_b64 s[18:19], vcc, s[18:19]
	s_andn2_b64 exec, exec, s[18:19]
	s_cbranch_execnz .LBB510_2
.LBB510_3:
	s_endpgm
	.section	.rodata,"a",@progbits
	.p2align	6, 0x0
	.amdhsa_kernel _ZN5aiter25scaled_act_and_mul_kernelItDB8_TnPFfRKT_EXadL_ZNS_11silu_kernelItEEfS4_EELi2EEEvPT0_PS3_if
		.amdhsa_group_segment_fixed_size 0
		.amdhsa_private_segment_fixed_size 0
		.amdhsa_kernarg_size 280
		.amdhsa_user_sgpr_count 2
		.amdhsa_user_sgpr_dispatch_ptr 0
		.amdhsa_user_sgpr_queue_ptr 0
		.amdhsa_user_sgpr_kernarg_segment_ptr 1
		.amdhsa_user_sgpr_dispatch_id 0
		.amdhsa_user_sgpr_kernarg_preload_length 0
		.amdhsa_user_sgpr_kernarg_preload_offset 0
		.amdhsa_user_sgpr_private_segment_size 0
		.amdhsa_uses_dynamic_stack 0
		.amdhsa_enable_private_segment 0
		.amdhsa_system_sgpr_workgroup_id_x 1
		.amdhsa_system_sgpr_workgroup_id_y 0
		.amdhsa_system_sgpr_workgroup_id_z 0
		.amdhsa_system_sgpr_workgroup_info 0
		.amdhsa_system_vgpr_workitem_id 0
		.amdhsa_next_free_vgpr 15
		.amdhsa_next_free_sgpr 25
		.amdhsa_accum_offset 16
		.amdhsa_reserve_vcc 1
		.amdhsa_float_round_mode_32 0
		.amdhsa_float_round_mode_16_64 0
		.amdhsa_float_denorm_mode_32 3
		.amdhsa_float_denorm_mode_16_64 3
		.amdhsa_dx10_clamp 1
		.amdhsa_ieee_mode 1
		.amdhsa_fp16_overflow 0
		.amdhsa_tg_split 0
		.amdhsa_exception_fp_ieee_invalid_op 0
		.amdhsa_exception_fp_denorm_src 0
		.amdhsa_exception_fp_ieee_div_zero 0
		.amdhsa_exception_fp_ieee_overflow 0
		.amdhsa_exception_fp_ieee_underflow 0
		.amdhsa_exception_fp_ieee_inexact 0
		.amdhsa_exception_int_div_zero 0
	.end_amdhsa_kernel
	.section	.text._ZN5aiter25scaled_act_and_mul_kernelItDB8_TnPFfRKT_EXadL_ZNS_11silu_kernelItEEfS4_EELi2EEEvPT0_PS3_if,"axG",@progbits,_ZN5aiter25scaled_act_and_mul_kernelItDB8_TnPFfRKT_EXadL_ZNS_11silu_kernelItEEfS4_EELi2EEEvPT0_PS3_if,comdat
.Lfunc_end510:
	.size	_ZN5aiter25scaled_act_and_mul_kernelItDB8_TnPFfRKT_EXadL_ZNS_11silu_kernelItEEfS4_EELi2EEEvPT0_PS3_if, .Lfunc_end510-_ZN5aiter25scaled_act_and_mul_kernelItDB8_TnPFfRKT_EXadL_ZNS_11silu_kernelItEEfS4_EELi2EEEvPT0_PS3_if
                                        ; -- End function
	.section	.AMDGPU.csdata,"",@progbits
; Kernel info:
; codeLenInByte = 576
; NumSgprs: 31
; NumVgprs: 15
; NumAgprs: 0
; TotalNumVgprs: 15
; ScratchSize: 0
; MemoryBound: 0
; FloatMode: 240
; IeeeMode: 1
; LDSByteSize: 0 bytes/workgroup (compile time only)
; SGPRBlocks: 3
; VGPRBlocks: 1
; NumSGPRsForWavesPerEU: 31
; NumVGPRsForWavesPerEU: 15
; AccumOffset: 16
; Occupancy: 8
; WaveLimiterHint : 0
; COMPUTE_PGM_RSRC2:SCRATCH_EN: 0
; COMPUTE_PGM_RSRC2:USER_SGPR: 2
; COMPUTE_PGM_RSRC2:TRAP_HANDLER: 0
; COMPUTE_PGM_RSRC2:TGID_X_EN: 1
; COMPUTE_PGM_RSRC2:TGID_Y_EN: 0
; COMPUTE_PGM_RSRC2:TGID_Z_EN: 0
; COMPUTE_PGM_RSRC2:TIDIG_COMP_CNT: 0
; COMPUTE_PGM_RSRC3_GFX90A:ACCUM_OFFSET: 3
; COMPUTE_PGM_RSRC3_GFX90A:TG_SPLIT: 0
	.section	.text._ZN5aiter25scaled_act_and_mul_kernelItDB8_TnPFfRKT_EXadL_ZNS_11silu_kernelItEEfS4_EELi1EEEvPT0_PS3_if,"axG",@progbits,_ZN5aiter25scaled_act_and_mul_kernelItDB8_TnPFfRKT_EXadL_ZNS_11silu_kernelItEEfS4_EELi1EEEvPT0_PS3_if,comdat
	.protected	_ZN5aiter25scaled_act_and_mul_kernelItDB8_TnPFfRKT_EXadL_ZNS_11silu_kernelItEEfS4_EELi1EEEvPT0_PS3_if ; -- Begin function _ZN5aiter25scaled_act_and_mul_kernelItDB8_TnPFfRKT_EXadL_ZNS_11silu_kernelItEEfS4_EELi1EEEvPT0_PS3_if
	.globl	_ZN5aiter25scaled_act_and_mul_kernelItDB8_TnPFfRKT_EXadL_ZNS_11silu_kernelItEEfS4_EELi1EEEvPT0_PS3_if
	.p2align	8
	.type	_ZN5aiter25scaled_act_and_mul_kernelItDB8_TnPFfRKT_EXadL_ZNS_11silu_kernelItEEfS4_EELi1EEEvPT0_PS3_if,@function
_ZN5aiter25scaled_act_and_mul_kernelItDB8_TnPFfRKT_EXadL_ZNS_11silu_kernelItEEfS4_EELi1EEEvPT0_PS3_if: ; @_ZN5aiter25scaled_act_and_mul_kernelItDB8_TnPFfRKT_EXadL_ZNS_11silu_kernelItEEfS4_EELi1EEEvPT0_PS3_if
; %bb.0:
	s_load_dwordx2 s[12:13], s[0:1], 0x10
	s_waitcnt lgkmcnt(0)
	v_cmp_gt_i32_e32 vcc, s12, v0
	s_and_saveexec_b64 s[4:5], vcc
	s_cbranch_execz .LBB511_3
; %bb.1:
	s_load_dwordx4 s[8:11], s[0:1], 0x0
	s_load_dword s16, s[0:1], 0x24
	s_ashr_i32 s15, s12, 31
	s_mul_hi_u32 s3, s12, s2
	s_mul_i32 s4, s15, s2
	s_add_i32 s7, s3, s4
	s_mul_i32 s6, s12, s2
	s_lshl_b64 s[2:3], s[6:7], 2
	s_mov_b32 s14, s12
	s_waitcnt lgkmcnt(0)
	s_add_u32 s0, s10, s2
	s_addc_u32 s1, s11, s3
	s_lshl_b64 s[2:3], s[14:15], 1
	s_add_u32 s4, s0, s2
	s_addc_u32 s5, s1, s3
	s_add_i32 s2, s12, 1
	s_lshr_b32 s3, s2, 31
	s_add_i32 s2, s2, s3
	s_lshl_b32 s2, s2, 1
	s_and_b32 s2, s2, -4
	s_and_b32 s1, s1, 0xffff
	s_and_b32 s5, s5, 0xffff
	s_add_u32 s8, s8, s6
	s_addc_u32 s6, s9, s7
	s_add_i32 s7, s12, 3
	s_ashr_i32 s9, s7, 31
	s_lshr_b32 s9, s9, 30
	s_mov_b32 s3, 0x20000
	s_add_i32 s7, s7, s9
	s_and_b32 s16, s16, 0xffff
	s_and_b32 s10, s7, -4
	s_and_b32 s9, s6, 0xffff
	s_mov_b32 s11, s3
	s_mov_b32 s17, 0
	v_mov_b32_e32 v1, 0
	v_lshlrev_b32_e32 v2, 1, v0
	s_lshl_b32 s12, s16, 1
	s_mov_b64 s[18:19], 0
	s_mov_b32 s6, s2
	s_mov_b32 s7, s3
	;; [unrolled: 1-line block ×5, first 2 shown]
	v_mov_b32_e32 v3, 0x7f800000
.LBB511_2:                              ; =>This Inner Loop Header: Depth=1
	buffer_load_ushort v4, v2, s[0:3], 0 offen sc0 nt
	buffer_load_ushort v5, v2, s[4:7], 0 offen sc0 nt
	v_add_u32_e32 v2, s12, v2
	s_waitcnt vmcnt(1)
	v_lshlrev_b32_e32 v4, 16, v4
	v_mul_f32_e32 v6, 0xbfb8aa3b, v4
	v_fma_f32 v7, v4, s20, -v6
	v_rndne_f32_e32 v8, v6
	v_fmac_f32_e32 v7, 0xb2a5705f, v4
	v_sub_f32_e32 v6, v6, v8
	v_add_f32_e32 v6, v6, v7
	v_cvt_i32_f32_e32 v8, v8
	v_exp_f32_e32 v6, v6
	v_cmp_nlt_f32_e32 vcc, s21, v4
	s_waitcnt vmcnt(0)
	v_lshlrev_b32_e32 v5, 16, v5
	v_ldexp_f32 v6, v6, v8
	v_cndmask_b32_e32 v6, 0, v6, vcc
	v_cmp_ngt_f32_e32 vcc, s22, v4
	s_nop 1
	v_cndmask_b32_e32 v6, v3, v6, vcc
	v_add_f32_e32 v6, 1.0, v6
	v_rcp_f32_e32 v6, v6
	s_nop 0
	v_mul_f32_e32 v4, v6, v4
	v_mul_f32_e32 v4, v4, v5
	;; [unrolled: 1-line block ×3, first 2 shown]
	v_cvt_pk_fp8_f32 v4, v4, 0
	buffer_store_byte v4, v0, s[8:11], 0 offen
	v_lshl_add_u64 v[0:1], v[0:1], 0, s[16:17]
	v_cmp_le_i64_e32 vcc, s[14:15], v[0:1]
	s_or_b64 s[18:19], vcc, s[18:19]
	s_andn2_b64 exec, exec, s[18:19]
	s_cbranch_execnz .LBB511_2
.LBB511_3:
	s_endpgm
	.section	.rodata,"a",@progbits
	.p2align	6, 0x0
	.amdhsa_kernel _ZN5aiter25scaled_act_and_mul_kernelItDB8_TnPFfRKT_EXadL_ZNS_11silu_kernelItEEfS4_EELi1EEEvPT0_PS3_if
		.amdhsa_group_segment_fixed_size 0
		.amdhsa_private_segment_fixed_size 0
		.amdhsa_kernarg_size 280
		.amdhsa_user_sgpr_count 2
		.amdhsa_user_sgpr_dispatch_ptr 0
		.amdhsa_user_sgpr_queue_ptr 0
		.amdhsa_user_sgpr_kernarg_segment_ptr 1
		.amdhsa_user_sgpr_dispatch_id 0
		.amdhsa_user_sgpr_kernarg_preload_length 0
		.amdhsa_user_sgpr_kernarg_preload_offset 0
		.amdhsa_user_sgpr_private_segment_size 0
		.amdhsa_uses_dynamic_stack 0
		.amdhsa_enable_private_segment 0
		.amdhsa_system_sgpr_workgroup_id_x 1
		.amdhsa_system_sgpr_workgroup_id_y 0
		.amdhsa_system_sgpr_workgroup_id_z 0
		.amdhsa_system_sgpr_workgroup_info 0
		.amdhsa_system_vgpr_workitem_id 0
		.amdhsa_next_free_vgpr 9
		.amdhsa_next_free_sgpr 23
		.amdhsa_accum_offset 12
		.amdhsa_reserve_vcc 1
		.amdhsa_float_round_mode_32 0
		.amdhsa_float_round_mode_16_64 0
		.amdhsa_float_denorm_mode_32 3
		.amdhsa_float_denorm_mode_16_64 3
		.amdhsa_dx10_clamp 1
		.amdhsa_ieee_mode 1
		.amdhsa_fp16_overflow 0
		.amdhsa_tg_split 0
		.amdhsa_exception_fp_ieee_invalid_op 0
		.amdhsa_exception_fp_denorm_src 0
		.amdhsa_exception_fp_ieee_div_zero 0
		.amdhsa_exception_fp_ieee_overflow 0
		.amdhsa_exception_fp_ieee_underflow 0
		.amdhsa_exception_fp_ieee_inexact 0
		.amdhsa_exception_int_div_zero 0
	.end_amdhsa_kernel
	.section	.text._ZN5aiter25scaled_act_and_mul_kernelItDB8_TnPFfRKT_EXadL_ZNS_11silu_kernelItEEfS4_EELi1EEEvPT0_PS3_if,"axG",@progbits,_ZN5aiter25scaled_act_and_mul_kernelItDB8_TnPFfRKT_EXadL_ZNS_11silu_kernelItEEfS4_EELi1EEEvPT0_PS3_if,comdat
.Lfunc_end511:
	.size	_ZN5aiter25scaled_act_and_mul_kernelItDB8_TnPFfRKT_EXadL_ZNS_11silu_kernelItEEfS4_EELi1EEEvPT0_PS3_if, .Lfunc_end511-_ZN5aiter25scaled_act_and_mul_kernelItDB8_TnPFfRKT_EXadL_ZNS_11silu_kernelItEEfS4_EELi1EEEvPT0_PS3_if
                                        ; -- End function
	.section	.AMDGPU.csdata,"",@progbits
; Kernel info:
; codeLenInByte = 420
; NumSgprs: 29
; NumVgprs: 9
; NumAgprs: 0
; TotalNumVgprs: 9
; ScratchSize: 0
; MemoryBound: 0
; FloatMode: 240
; IeeeMode: 1
; LDSByteSize: 0 bytes/workgroup (compile time only)
; SGPRBlocks: 3
; VGPRBlocks: 1
; NumSGPRsForWavesPerEU: 29
; NumVGPRsForWavesPerEU: 9
; AccumOffset: 12
; Occupancy: 8
; WaveLimiterHint : 0
; COMPUTE_PGM_RSRC2:SCRATCH_EN: 0
; COMPUTE_PGM_RSRC2:USER_SGPR: 2
; COMPUTE_PGM_RSRC2:TRAP_HANDLER: 0
; COMPUTE_PGM_RSRC2:TGID_X_EN: 1
; COMPUTE_PGM_RSRC2:TGID_Y_EN: 0
; COMPUTE_PGM_RSRC2:TGID_Z_EN: 0
; COMPUTE_PGM_RSRC2:TIDIG_COMP_CNT: 0
; COMPUTE_PGM_RSRC3_GFX90A:ACCUM_OFFSET: 2
; COMPUTE_PGM_RSRC3_GFX90A:TG_SPLIT: 0
	.section	.text._ZN5aiter25scaled_act_and_mul_kernelItaTnPFfRKT_EXadL_ZNS_11silu_kernelItEEfS3_EELi16EEEvPT0_PS2_if,"axG",@progbits,_ZN5aiter25scaled_act_and_mul_kernelItaTnPFfRKT_EXadL_ZNS_11silu_kernelItEEfS3_EELi16EEEvPT0_PS2_if,comdat
	.protected	_ZN5aiter25scaled_act_and_mul_kernelItaTnPFfRKT_EXadL_ZNS_11silu_kernelItEEfS3_EELi16EEEvPT0_PS2_if ; -- Begin function _ZN5aiter25scaled_act_and_mul_kernelItaTnPFfRKT_EXadL_ZNS_11silu_kernelItEEfS3_EELi16EEEvPT0_PS2_if
	.globl	_ZN5aiter25scaled_act_and_mul_kernelItaTnPFfRKT_EXadL_ZNS_11silu_kernelItEEfS3_EELi16EEEvPT0_PS2_if
	.p2align	8
	.type	_ZN5aiter25scaled_act_and_mul_kernelItaTnPFfRKT_EXadL_ZNS_11silu_kernelItEEfS3_EELi16EEEvPT0_PS2_if,@function
_ZN5aiter25scaled_act_and_mul_kernelItaTnPFfRKT_EXadL_ZNS_11silu_kernelItEEfS3_EELi16EEEvPT0_PS2_if: ; @_ZN5aiter25scaled_act_and_mul_kernelItaTnPFfRKT_EXadL_ZNS_11silu_kernelItEEfS3_EELi16EEEvPT0_PS2_if
; %bb.0:
	s_load_dwordx2 s[10:11], s[0:1], 0x10
	v_lshlrev_b32_e32 v16, 4, v0
	s_waitcnt lgkmcnt(0)
	v_cmp_gt_i32_e32 vcc, s10, v16
	s_and_saveexec_b64 s[4:5], vcc
	s_cbranch_execz .LBB512_3
; %bb.1:
	s_load_dwordx4 s[12:15], s[0:1], 0x0
	s_ashr_i32 s17, s10, 31
	s_mul_hi_u32 s3, s10, s2
	s_mul_i32 s4, s17, s2
	s_add_i32 s3, s3, s4
	s_mul_i32 s2, s10, s2
	s_lshl_b64 s[4:5], s[2:3], 2
	s_mov_b32 s16, s10
	s_waitcnt lgkmcnt(0)
	s_add_u32 s4, s14, s4
	s_addc_u32 s5, s15, s5
	s_lshl_b64 s[6:7], s[16:17], 1
	s_add_u32 s8, s4, s6
	s_addc_u32 s9, s5, s7
	s_add_i32 s6, s10, 1
	s_lshr_b32 s7, s6, 31
	s_add_i32 s6, s6, s7
	s_lshl_b32 s6, s6, 1
	s_and_b32 s6, s6, -4
	s_and_b32 s5, s5, 0xffff
	s_and_b32 s9, s9, 0xffff
	s_add_u32 s12, s12, s2
	s_addc_u32 s2, s13, s3
	s_add_i32 s3, s10, 3
	s_ashr_i32 s10, s3, 31
	s_lshr_b32 s10, s10, 30
	s_add_i32 s3, s3, s10
	s_and_b32 s14, s3, -4
	s_and_b32 s13, s2, 0xffff
	s_mov_b32 s7, 0x20000
	s_mov_b32 s10, s11
	s_add_u32 s0, s0, 24
	s_mov_b32 s15, s7
	v_mov_b32_e32 v17, 0
	s_addc_u32 s1, s1, 0
	s_mov_b64 s[2:3], 0
	s_mov_b32 s19, 0
	s_mov_b32 s20, 0xbfb8aa3b
	;; [unrolled: 1-line block ×4, first 2 shown]
	v_mov_b32_e32 v20, 0x7f800000
	v_mov_b64_e32 v[18:19], s[10:11]
	s_mov_b32 s10, s6
	s_mov_b32 s11, s7
.LBB512_2:                              ; =>This Inner Loop Header: Depth=1
	v_lshlrev_b32_e32 v21, 1, v16
	buffer_load_dwordx4 v[12:15], v21, s[4:7], 0 offen sc0 nt
	buffer_load_dwordx4 v[4:7], v21, s[4:7], 16 offen sc0 nt
	buffer_load_dwordx4 v[8:11], v21, s[8:11], 0 offen sc0 nt
	buffer_load_dwordx4 v[0:3], v21, s[8:11], 16 offen sc0 nt
	s_waitcnt vmcnt(3)
	v_lshlrev_b32_e32 v22, 16, v12
	v_and_b32_e32 v23, 0xffff0000, v12
	v_mul_f32_e32 v12, 0xbfb8aa3b, v22
	v_fma_f32 v21, v22, s20, -v12
	v_rndne_f32_e32 v24, v12
	v_fmac_f32_e32 v21, 0xb2a5705f, v22
	v_sub_f32_e32 v12, v12, v24
	v_add_f32_e32 v12, v12, v21
	v_exp_f32_e32 v12, v12
	v_cvt_i32_f32_e32 v21, v24
	v_cmp_nlt_f32_e32 vcc, s21, v22
	v_ldexp_f32 v12, v12, v21
	s_nop 0
	v_cndmask_b32_e32 v12, 0, v12, vcc
	v_cmp_ngt_f32_e32 vcc, s22, v22
	s_nop 1
	v_cndmask_b32_e32 v12, v20, v12, vcc
	v_add_f32_e32 v12, 1.0, v12
	v_rcp_f32_e32 v24, v12
	v_mul_f32_e32 v12, 0xbfb8aa3b, v23
	v_fma_f32 v21, v23, s20, -v12
	v_rndne_f32_e32 v25, v12
	v_fmac_f32_e32 v21, 0xb2a5705f, v23
	v_sub_f32_e32 v12, v12, v25
	v_add_f32_e32 v12, v12, v21
	v_exp_f32_e32 v12, v12
	v_cvt_i32_f32_e32 v21, v25
	v_cmp_nlt_f32_e32 vcc, s21, v23
	v_ldexp_f32 v12, v12, v21
	s_nop 0
	v_cndmask_b32_e32 v12, 0, v12, vcc
	v_cmp_ngt_f32_e32 vcc, s22, v23
	s_nop 1
	v_cndmask_b32_e32 v12, v20, v12, vcc
	v_add_f32_e32 v12, 1.0, v12
	v_rcp_f32_e32 v25, v12
	s_nop 0
	v_pk_mul_f32 v[22:23], v[24:25], v[22:23]
	s_waitcnt vmcnt(1)
	v_and_b32_e32 v25, 0xffff0000, v8
	v_lshlrev_b32_e32 v24, 16, v8
	;;#ASMSTART
	v_pk_mul_f32 v[22:23], v[22:23], v[24:25]
	v_pk_mul_f32 v[22:23], v[22:23], v[18:19]
	;;#ASMEND
	s_nop 0
	v_cvt_i32_f32_e32 v8, v22
	v_lshlrev_b32_e32 v22, 16, v13
	v_cvt_i32_f32_sdwa v12, v23 dst_sel:BYTE_1 dst_unused:UNUSED_PAD src0_sel:DWORD
	v_and_b32_e32 v23, 0xffff0000, v13
	v_mul_f32_e32 v13, 0xbfb8aa3b, v22
	v_fma_f32 v21, v22, s20, -v13
	v_rndne_f32_e32 v24, v13
	v_fmac_f32_e32 v21, 0xb2a5705f, v22
	v_sub_f32_e32 v13, v13, v24
	v_add_f32_e32 v13, v13, v21
	v_exp_f32_e32 v13, v13
	v_cvt_i32_f32_e32 v21, v24
	v_cmp_nlt_f32_e32 vcc, s21, v22
	v_ldexp_f32 v13, v13, v21
	s_nop 0
	v_cndmask_b32_e32 v13, 0, v13, vcc
	v_cmp_ngt_f32_e32 vcc, s22, v22
	s_nop 1
	v_cndmask_b32_e32 v13, v20, v13, vcc
	v_add_f32_e32 v13, 1.0, v13
	v_rcp_f32_e32 v24, v13
	v_mul_f32_e32 v13, 0xbfb8aa3b, v23
	v_fma_f32 v21, v23, s20, -v13
	v_rndne_f32_e32 v25, v13
	v_fmac_f32_e32 v21, 0xb2a5705f, v23
	v_sub_f32_e32 v13, v13, v25
	v_add_f32_e32 v13, v13, v21
	v_exp_f32_e32 v13, v13
	v_cvt_i32_f32_e32 v21, v25
	v_cmp_nlt_f32_e32 vcc, s21, v23
	v_ldexp_f32 v13, v13, v21
	s_nop 0
	v_cndmask_b32_e32 v13, 0, v13, vcc
	v_cmp_ngt_f32_e32 vcc, s22, v23
	s_nop 1
	v_cndmask_b32_e32 v13, v20, v13, vcc
	v_add_f32_e32 v13, 1.0, v13
	v_rcp_f32_e32 v25, v13
	s_nop 0
	v_pk_mul_f32 v[22:23], v[24:25], v[22:23]
	v_and_b32_e32 v25, 0xffff0000, v9
	v_lshlrev_b32_e32 v24, 16, v9
	;;#ASMSTART
	v_pk_mul_f32 v[22:23], v[22:23], v[24:25]
	v_pk_mul_f32 v[22:23], v[22:23], v[18:19]
	;;#ASMEND
	s_nop 0
	v_cvt_i32_f32_e32 v9, v22
	v_lshlrev_b32_e32 v22, 16, v14
	v_cvt_i32_f32_sdwa v13, v23 dst_sel:BYTE_1 dst_unused:UNUSED_PAD src0_sel:DWORD
	v_and_b32_e32 v23, 0xffff0000, v14
	v_mul_f32_e32 v14, 0xbfb8aa3b, v22
	v_fma_f32 v21, v22, s20, -v14
	v_rndne_f32_e32 v24, v14
	v_fmac_f32_e32 v21, 0xb2a5705f, v22
	v_sub_f32_e32 v14, v14, v24
	v_add_f32_e32 v14, v14, v21
	v_exp_f32_e32 v14, v14
	v_cvt_i32_f32_e32 v21, v24
	v_cmp_nlt_f32_e32 vcc, s21, v22
	v_ldexp_f32 v14, v14, v21
	s_nop 0
	v_cndmask_b32_e32 v14, 0, v14, vcc
	v_cmp_ngt_f32_e32 vcc, s22, v22
	s_nop 1
	v_cndmask_b32_e32 v14, v20, v14, vcc
	v_add_f32_e32 v14, 1.0, v14
	v_rcp_f32_e32 v24, v14
	v_mul_f32_e32 v14, 0xbfb8aa3b, v23
	v_fma_f32 v21, v23, s20, -v14
	v_rndne_f32_e32 v25, v14
	v_fmac_f32_e32 v21, 0xb2a5705f, v23
	v_sub_f32_e32 v14, v14, v25
	v_add_f32_e32 v14, v14, v21
	v_exp_f32_e32 v14, v14
	v_cvt_i32_f32_e32 v21, v25
	v_cmp_nlt_f32_e32 vcc, s21, v23
	v_ldexp_f32 v14, v14, v21
	s_nop 0
	v_cndmask_b32_e32 v14, 0, v14, vcc
	v_cmp_ngt_f32_e32 vcc, s22, v23
	s_nop 1
	v_cndmask_b32_e32 v14, v20, v14, vcc
	v_add_f32_e32 v14, 1.0, v14
	v_rcp_f32_e32 v25, v14
	s_nop 0
	v_pk_mul_f32 v[22:23], v[24:25], v[22:23]
	;; [unrolled: 47-line block ×4, first 2 shown]
	s_waitcnt vmcnt(0)
	v_lshlrev_b32_e32 v24, 16, v0
	v_and_b32_e32 v25, 0xffff0000, v0
	;;#ASMSTART
	v_pk_mul_f32 v[22:23], v[22:23], v[24:25]
	v_pk_mul_f32 v[22:23], v[22:23], v[18:19]
	;;#ASMEND
	v_lshlrev_b32_e32 v24, 16, v5
	v_mul_f32_e32 v0, 0xbfb8aa3b, v24
	v_and_b32_e32 v25, 0xffff0000, v5
	v_fma_f32 v4, v24, s20, -v0
	v_rndne_f32_e32 v5, v0
	v_fmac_f32_e32 v4, 0xb2a5705f, v24
	v_sub_f32_e32 v0, v0, v5
	v_add_f32_e32 v0, v0, v4
	v_exp_f32_e32 v0, v0
	v_cvt_i32_f32_e32 v4, v5
	v_cmp_nlt_f32_e32 vcc, s21, v24
	v_cvt_i32_f32_e32 v21, v22
	v_cvt_i32_f32_sdwa v22, v23 dst_sel:BYTE_1 dst_unused:UNUSED_PAD src0_sel:DWORD
	v_ldexp_f32 v0, v0, v4
	v_cndmask_b32_e32 v0, 0, v0, vcc
	v_cmp_ngt_f32_e32 vcc, s22, v24
	s_nop 1
	v_cndmask_b32_e32 v0, v20, v0, vcc
	v_add_f32_e32 v0, 1.0, v0
	v_rcp_f32_e32 v4, v0
	v_mul_f32_e32 v0, 0xbfb8aa3b, v25
	v_fma_f32 v5, v25, s20, -v0
	v_rndne_f32_e32 v23, v0
	v_fmac_f32_e32 v5, 0xb2a5705f, v25
	v_sub_f32_e32 v0, v0, v23
	v_add_f32_e32 v0, v0, v5
	v_exp_f32_e32 v0, v0
	v_cvt_i32_f32_e32 v5, v23
	v_cmp_nlt_f32_e32 vcc, s21, v25
	v_ldexp_f32 v0, v0, v5
	s_nop 0
	v_cndmask_b32_e32 v0, 0, v0, vcc
	v_cmp_ngt_f32_e32 vcc, s22, v25
	s_nop 1
	v_cndmask_b32_e32 v0, v20, v0, vcc
	v_add_f32_e32 v0, 1.0, v0
	v_rcp_f32_e32 v5, v0
	s_nop 0
	v_pk_mul_f32 v[4:5], v[4:5], v[24:25]
	v_and_b32_e32 v25, 0xffff0000, v1
	v_lshlrev_b32_e32 v24, 16, v1
	;;#ASMSTART
	v_pk_mul_f32 v[0:1], v[4:5], v[24:25]
	v_pk_mul_f32 v[0:1], v[0:1], v[18:19]
	;;#ASMEND
	s_nop 0
	v_cvt_i32_f32_e32 v23, v0
	v_lshlrev_b32_e32 v0, 16, v6
	v_mul_f32_e32 v4, 0xbfb8aa3b, v0
	v_cvt_i32_f32_sdwa v24, v1 dst_sel:BYTE_1 dst_unused:UNUSED_PAD src0_sel:DWORD
	v_and_b32_e32 v1, 0xffff0000, v6
	v_fma_f32 v5, v0, s20, -v4
	v_rndne_f32_e32 v6, v4
	v_fmac_f32_e32 v5, 0xb2a5705f, v0
	v_sub_f32_e32 v4, v4, v6
	v_add_f32_e32 v4, v4, v5
	v_exp_f32_e32 v4, v4
	v_cvt_i32_f32_e32 v5, v6
	v_cmp_nlt_f32_e32 vcc, s21, v0
	v_ldexp_f32 v4, v4, v5
	v_mul_f32_e32 v5, 0xbfb8aa3b, v1
	v_fma_f32 v6, v1, s20, -v5
	v_rndne_f32_e32 v25, v5
	v_fmac_f32_e32 v6, 0xb2a5705f, v1
	v_sub_f32_e32 v5, v5, v25
	v_add_f32_e32 v5, v5, v6
	v_exp_f32_e32 v5, v5
	v_cvt_i32_f32_e32 v6, v25
	v_cndmask_b32_e32 v4, 0, v4, vcc
	v_cmp_ngt_f32_e32 vcc, s22, v0
	v_ldexp_f32 v5, v5, v6
	s_nop 0
	v_cndmask_b32_e32 v4, v20, v4, vcc
	v_cmp_nlt_f32_e32 vcc, s21, v1
	v_add_f32_e32 v4, 1.0, v4
	v_rcp_f32_e32 v4, v4
	v_cndmask_b32_e32 v5, 0, v5, vcc
	v_cmp_ngt_f32_e32 vcc, s22, v1
	s_nop 1
	v_cndmask_b32_e32 v5, v20, v5, vcc
	v_add_f32_e32 v5, 1.0, v5
	v_rcp_f32_e32 v5, v5
	s_nop 0
	v_pk_mul_f32 v[0:1], v[4:5], v[0:1]
	v_and_b32_e32 v5, 0xffff0000, v2
	v_lshlrev_b32_e32 v4, 16, v2
	;;#ASMSTART
	v_pk_mul_f32 v[0:1], v[0:1], v[4:5]
	v_pk_mul_f32 v[0:1], v[0:1], v[18:19]
	;;#ASMEND
	s_nop 0
	v_cvt_i32_f32_e32 v2, v0
	v_lshlrev_b32_e32 v0, 16, v7
	v_mul_f32_e32 v4, 0xbfb8aa3b, v0
	v_cvt_i32_f32_sdwa v6, v1 dst_sel:BYTE_1 dst_unused:UNUSED_PAD src0_sel:DWORD
	v_and_b32_e32 v1, 0xffff0000, v7
	v_fma_f32 v5, v0, s20, -v4
	v_rndne_f32_e32 v7, v4
	v_fmac_f32_e32 v5, 0xb2a5705f, v0
	v_sub_f32_e32 v4, v4, v7
	v_add_f32_e32 v4, v4, v5
	v_exp_f32_e32 v4, v4
	v_cvt_i32_f32_e32 v5, v7
	v_cmp_nlt_f32_e32 vcc, s21, v0
	v_or_b32_sdwa v2, v2, v6 dst_sel:DWORD dst_unused:UNUSED_PAD src0_sel:BYTE_0 src1_sel:DWORD
	v_ldexp_f32 v4, v4, v5
	v_mul_f32_e32 v5, 0xbfb8aa3b, v1
	v_fma_f32 v7, v1, s20, -v5
	v_rndne_f32_e32 v25, v5
	v_fmac_f32_e32 v7, 0xb2a5705f, v1
	v_sub_f32_e32 v5, v5, v25
	v_add_f32_e32 v5, v5, v7
	v_exp_f32_e32 v5, v5
	v_cvt_i32_f32_e32 v7, v25
	v_cndmask_b32_e32 v4, 0, v4, vcc
	v_cmp_ngt_f32_e32 vcc, s22, v0
	v_ldexp_f32 v5, v5, v7
	s_nop 0
	v_cndmask_b32_e32 v4, v20, v4, vcc
	v_cmp_nlt_f32_e32 vcc, s21, v1
	v_add_f32_e32 v4, 1.0, v4
	v_rcp_f32_e32 v4, v4
	v_cndmask_b32_e32 v5, 0, v5, vcc
	v_cmp_ngt_f32_e32 vcc, s22, v1
	s_nop 1
	v_cndmask_b32_e32 v5, v20, v5, vcc
	v_add_f32_e32 v5, 1.0, v5
	v_rcp_f32_e32 v5, v5
	s_nop 0
	v_pk_mul_f32 v[0:1], v[4:5], v[0:1]
	v_and_b32_e32 v5, 0xffff0000, v3
	v_lshlrev_b32_e32 v4, 16, v3
	;;#ASMSTART
	v_pk_mul_f32 v[0:1], v[0:1], v[4:5]
	v_pk_mul_f32 v[0:1], v[0:1], v[18:19]
	;;#ASMEND
	s_load_dword s18, s[0:1], 0xc
	v_cvt_i32_f32_e32 v0, v0
	v_cvt_i32_f32_sdwa v1, v1 dst_sel:BYTE_1 dst_unused:UNUSED_PAD src0_sel:DWORD
	v_or_b32_sdwa v3, v8, v12 dst_sel:DWORD dst_unused:UNUSED_PAD src0_sel:BYTE_0 src1_sel:DWORD
	v_or_b32_sdwa v4, v9, v13 dst_sel:WORD_1 dst_unused:UNUSED_PAD src0_sel:BYTE_0 src1_sel:DWORD
	s_waitcnt lgkmcnt(0)
	s_and_b32 s18, s18, 0xffff
	v_or_b32_sdwa v8, v3, v4 dst_sel:DWORD dst_unused:UNUSED_PAD src0_sel:WORD_0 src1_sel:DWORD
	v_or_b32_sdwa v3, v10, v14 dst_sel:DWORD dst_unused:UNUSED_PAD src0_sel:BYTE_0 src1_sel:DWORD
	v_or_b32_sdwa v4, v11, v15 dst_sel:WORD_1 dst_unused:UNUSED_PAD src0_sel:BYTE_0 src1_sel:DWORD
	v_or_b32_sdwa v0, v0, v1 dst_sel:WORD_1 dst_unused:UNUSED_PAD src0_sel:BYTE_0 src1_sel:DWORD
	v_or_b32_sdwa v9, v3, v4 dst_sel:DWORD dst_unused:UNUSED_PAD src0_sel:WORD_0 src1_sel:DWORD
	v_or_b32_sdwa v3, v21, v22 dst_sel:DWORD dst_unused:UNUSED_PAD src0_sel:BYTE_0 src1_sel:DWORD
	v_or_b32_sdwa v4, v23, v24 dst_sel:WORD_1 dst_unused:UNUSED_PAD src0_sel:BYTE_0 src1_sel:DWORD
	v_or_b32_sdwa v11, v2, v0 dst_sel:DWORD dst_unused:UNUSED_PAD src0_sel:WORD_0 src1_sel:DWORD
	v_or_b32_sdwa v10, v3, v4 dst_sel:DWORD dst_unused:UNUSED_PAD src0_sel:WORD_0 src1_sel:DWORD
	s_lshl_b32 s18, s18, 4
	buffer_store_dwordx4 v[8:11], v16, s[12:15], 0 offen
	v_lshl_add_u64 v[16:17], s[18:19], 0, v[16:17]
	v_cmp_le_i64_e32 vcc, s[16:17], v[16:17]
	s_or_b64 s[2:3], vcc, s[2:3]
	s_andn2_b64 exec, exec, s[2:3]
	s_cbranch_execnz .LBB512_2
.LBB512_3:
	s_endpgm
	.section	.rodata,"a",@progbits
	.p2align	6, 0x0
	.amdhsa_kernel _ZN5aiter25scaled_act_and_mul_kernelItaTnPFfRKT_EXadL_ZNS_11silu_kernelItEEfS3_EELi16EEEvPT0_PS2_if
		.amdhsa_group_segment_fixed_size 0
		.amdhsa_private_segment_fixed_size 0
		.amdhsa_kernarg_size 280
		.amdhsa_user_sgpr_count 2
		.amdhsa_user_sgpr_dispatch_ptr 0
		.amdhsa_user_sgpr_queue_ptr 0
		.amdhsa_user_sgpr_kernarg_segment_ptr 1
		.amdhsa_user_sgpr_dispatch_id 0
		.amdhsa_user_sgpr_kernarg_preload_length 0
		.amdhsa_user_sgpr_kernarg_preload_offset 0
		.amdhsa_user_sgpr_private_segment_size 0
		.amdhsa_uses_dynamic_stack 0
		.amdhsa_enable_private_segment 0
		.amdhsa_system_sgpr_workgroup_id_x 1
		.amdhsa_system_sgpr_workgroup_id_y 0
		.amdhsa_system_sgpr_workgroup_id_z 0
		.amdhsa_system_sgpr_workgroup_info 0
		.amdhsa_system_vgpr_workitem_id 0
		.amdhsa_next_free_vgpr 26
		.amdhsa_next_free_sgpr 23
		.amdhsa_accum_offset 28
		.amdhsa_reserve_vcc 1
		.amdhsa_float_round_mode_32 0
		.amdhsa_float_round_mode_16_64 0
		.amdhsa_float_denorm_mode_32 3
		.amdhsa_float_denorm_mode_16_64 3
		.amdhsa_dx10_clamp 1
		.amdhsa_ieee_mode 1
		.amdhsa_fp16_overflow 0
		.amdhsa_tg_split 0
		.amdhsa_exception_fp_ieee_invalid_op 0
		.amdhsa_exception_fp_denorm_src 0
		.amdhsa_exception_fp_ieee_div_zero 0
		.amdhsa_exception_fp_ieee_overflow 0
		.amdhsa_exception_fp_ieee_underflow 0
		.amdhsa_exception_fp_ieee_inexact 0
		.amdhsa_exception_int_div_zero 0
	.end_amdhsa_kernel
	.section	.text._ZN5aiter25scaled_act_and_mul_kernelItaTnPFfRKT_EXadL_ZNS_11silu_kernelItEEfS3_EELi16EEEvPT0_PS2_if,"axG",@progbits,_ZN5aiter25scaled_act_and_mul_kernelItaTnPFfRKT_EXadL_ZNS_11silu_kernelItEEfS3_EELi16EEEvPT0_PS2_if,comdat
.Lfunc_end512:
	.size	_ZN5aiter25scaled_act_and_mul_kernelItaTnPFfRKT_EXadL_ZNS_11silu_kernelItEEfS3_EELi16EEEvPT0_PS2_if, .Lfunc_end512-_ZN5aiter25scaled_act_and_mul_kernelItaTnPFfRKT_EXadL_ZNS_11silu_kernelItEEfS3_EELi16EEEvPT0_PS2_if
                                        ; -- End function
	.section	.AMDGPU.csdata,"",@progbits
; Kernel info:
; codeLenInByte = 2304
; NumSgprs: 29
; NumVgprs: 26
; NumAgprs: 0
; TotalNumVgprs: 26
; ScratchSize: 0
; MemoryBound: 0
; FloatMode: 240
; IeeeMode: 1
; LDSByteSize: 0 bytes/workgroup (compile time only)
; SGPRBlocks: 3
; VGPRBlocks: 3
; NumSGPRsForWavesPerEU: 29
; NumVGPRsForWavesPerEU: 26
; AccumOffset: 28
; Occupancy: 8
; WaveLimiterHint : 0
; COMPUTE_PGM_RSRC2:SCRATCH_EN: 0
; COMPUTE_PGM_RSRC2:USER_SGPR: 2
; COMPUTE_PGM_RSRC2:TRAP_HANDLER: 0
; COMPUTE_PGM_RSRC2:TGID_X_EN: 1
; COMPUTE_PGM_RSRC2:TGID_Y_EN: 0
; COMPUTE_PGM_RSRC2:TGID_Z_EN: 0
; COMPUTE_PGM_RSRC2:TIDIG_COMP_CNT: 0
; COMPUTE_PGM_RSRC3_GFX90A:ACCUM_OFFSET: 6
; COMPUTE_PGM_RSRC3_GFX90A:TG_SPLIT: 0
	.section	.text._ZN5aiter25scaled_act_and_mul_kernelItaTnPFfRKT_EXadL_ZNS_11silu_kernelItEEfS3_EELi8EEEvPT0_PS2_if,"axG",@progbits,_ZN5aiter25scaled_act_and_mul_kernelItaTnPFfRKT_EXadL_ZNS_11silu_kernelItEEfS3_EELi8EEEvPT0_PS2_if,comdat
	.protected	_ZN5aiter25scaled_act_and_mul_kernelItaTnPFfRKT_EXadL_ZNS_11silu_kernelItEEfS3_EELi8EEEvPT0_PS2_if ; -- Begin function _ZN5aiter25scaled_act_and_mul_kernelItaTnPFfRKT_EXadL_ZNS_11silu_kernelItEEfS3_EELi8EEEvPT0_PS2_if
	.globl	_ZN5aiter25scaled_act_and_mul_kernelItaTnPFfRKT_EXadL_ZNS_11silu_kernelItEEfS3_EELi8EEEvPT0_PS2_if
	.p2align	8
	.type	_ZN5aiter25scaled_act_and_mul_kernelItaTnPFfRKT_EXadL_ZNS_11silu_kernelItEEfS3_EELi8EEEvPT0_PS2_if,@function
_ZN5aiter25scaled_act_and_mul_kernelItaTnPFfRKT_EXadL_ZNS_11silu_kernelItEEfS3_EELi8EEEvPT0_PS2_if: ; @_ZN5aiter25scaled_act_and_mul_kernelItaTnPFfRKT_EXadL_ZNS_11silu_kernelItEEfS3_EELi8EEEvPT0_PS2_if
; %bb.0:
	s_load_dwordx2 s[4:5], s[0:1], 0x10
	v_lshlrev_b32_e32 v8, 3, v0
	s_waitcnt lgkmcnt(0)
	v_cmp_gt_i32_e32 vcc, s4, v8
	s_and_saveexec_b64 s[6:7], vcc
	s_cbranch_execz .LBB513_3
; %bb.1:
	s_load_dwordx4 s[8:11], s[0:1], 0x0
	s_ashr_i32 s15, s4, 31
	s_mul_hi_u32 s3, s4, s2
	s_mul_i32 s6, s15, s2
	s_add_i32 s3, s3, s6
	s_mul_i32 s2, s4, s2
	s_lshl_b64 s[6:7], s[2:3], 2
	s_mov_b32 s14, s4
	s_waitcnt lgkmcnt(0)
	s_add_u32 s16, s10, s6
	s_addc_u32 s10, s11, s7
	s_lshl_b64 s[6:7], s[14:15], 1
	s_add_u32 s20, s16, s6
	s_addc_u32 s6, s10, s7
	s_add_i32 s7, s4, 1
	s_lshr_b32 s11, s7, 31
	s_add_i32 s7, s7, s11
	s_lshl_b32 s7, s7, 1
	s_and_b32 s18, s7, -4
	s_and_b32 s17, s10, 0xffff
	s_and_b32 s21, s6, 0xffff
	s_add_u32 s24, s8, s2
	s_addc_u32 s2, s9, s3
	s_add_i32 s3, s4, 3
	s_ashr_i32 s4, s3, 31
	s_lshr_b32 s4, s4, 30
	s_add_i32 s3, s3, s4
	s_and_b32 s26, s3, -4
	s_and_b32 s25, s2, 0xffff
	s_mov_b32 s19, 0x20000
	s_mov_b32 s4, s5
	s_add_u32 s28, s0, 24
	s_mov_b32 s27, s19
	v_mov_b32_e32 v9, 0
	s_addc_u32 s29, s1, 0
	s_mov_b64 s[30:31], 0
	s_mov_b32 s35, 0
	s_mov_b32 s33, 0xbfb8aa3b
	;; [unrolled: 1-line block ×4, first 2 shown]
	v_mov_b32_e32 v22, 0x7f800000
	v_mov_b64_e32 v[10:11], s[4:5]
	s_mov_b32 s22, s18
	s_mov_b32 s23, s19
.LBB513_2:                              ; =>This Inner Loop Header: Depth=1
	v_lshlrev_b32_e32 v12, 1, v8
	buffer_load_dwordx4 v[4:7], v12, s[16:19], 0 offen sc0 nt
	buffer_load_dwordx4 v[0:3], v12, s[20:23], 0 offen sc0 nt
	s_waitcnt vmcnt(1)
	v_and_b32_e32 v13, 0xffff0000, v4
	v_lshlrev_b32_e32 v12, 16, v4
	s_waitcnt vmcnt(0)
	v_and_b32_e32 v15, 0xffff0000, v0
	v_lshlrev_b32_e32 v14, 16, v0
	v_and_b32_e32 v17, 0xffff0000, v5
	v_lshlrev_b32_e32 v16, 16, v5
	;; [unrolled: 2-line block ×7, first 2 shown]
	v_mul_f32_e32 v2, 0xbfb8aa3b, v12
	v_mul_f32_e32 v3, 0xbfb8aa3b, v13
	;; [unrolled: 1-line block ×8, first 2 shown]
	v_fma_f32 v29, v12, s33, -v2
	v_rndne_f32_e32 v30, v2
	v_fma_f32 v31, v13, s33, -v3
	v_rndne_f32_e32 v32, v3
	;; [unrolled: 2-line block ×8, first 2 shown]
	v_fmac_f32_e32 v29, 0xb2a5705f, v12
	v_sub_f32_e32 v2, v2, v30
	v_fmac_f32_e32 v31, 0xb2a5705f, v13
	v_sub_f32_e32 v3, v3, v32
	;; [unrolled: 2-line block ×8, first 2 shown]
	v_add_f32_e32 v2, v2, v29
	v_add_f32_e32 v3, v3, v31
	;; [unrolled: 1-line block ×4, first 2 shown]
	v_cvt_i32_f32_e32 v30, v30
	v_cvt_i32_f32_e32 v32, v32
	;; [unrolled: 1-line block ×4, first 2 shown]
	v_add_f32_e32 v23, v23, v33
	v_add_f32_e32 v24, v24, v35
	;; [unrolled: 1-line block ×4, first 2 shown]
	v_exp_f32_e32 v2, v2
	v_exp_f32_e32 v3, v3
	;; [unrolled: 1-line block ×4, first 2 shown]
	v_cvt_i32_f32_e32 v34, v34
	v_cvt_i32_f32_e32 v36, v36
	;; [unrolled: 1-line block ×4, first 2 shown]
	v_exp_f32_e32 v23, v23
	v_exp_f32_e32 v24, v24
	;; [unrolled: 1-line block ×4, first 2 shown]
	v_ldexp_f32 v2, v2, v30
	v_ldexp_f32 v3, v3, v32
	v_cmp_nlt_f32_e32 vcc, s36, v13
	v_ldexp_f32 v25, v25, v38
	v_cmp_nlt_f32_e64 s[4:5], s36, v0
	v_ldexp_f32 v26, v26, v40
	v_cmp_nlt_f32_e64 s[6:7], s36, v1
	v_cmp_nlt_f32_e64 s[12:13], s36, v12
	v_ldexp_f32 v23, v23, v34
	v_cmp_nlt_f32_e64 s[0:1], s36, v16
	v_ldexp_f32 v24, v24, v36
	;; [unrolled: 2-line block ×4, first 2 shown]
	v_cmp_nlt_f32_e64 s[10:11], s36, v21
	v_cndmask_b32_e64 v2, 0, v2, s[12:13]
	v_cndmask_b32_e32 v3, 0, v3, vcc
	v_cmp_ngt_f32_e32 vcc, s37, v13
	v_cndmask_b32_e64 v25, 0, v25, s[4:5]
	v_cmp_ngt_f32_e64 s[4:5], s37, v0
	v_cndmask_b32_e64 v26, 0, v26, s[6:7]
	v_cmp_ngt_f32_e64 s[6:7], s37, v1
	v_cmp_ngt_f32_e64 s[12:13], s37, v12
	v_cndmask_b32_e64 v23, 0, v23, s[0:1]
	v_cmp_ngt_f32_e64 s[0:1], s37, v16
	v_cndmask_b32_e64 v24, 0, v24, s[2:3]
	;; [unrolled: 2-line block ×5, first 2 shown]
	v_cndmask_b32_e32 v3, v22, v3, vcc
	v_cndmask_b32_e64 v25, v22, v25, s[4:5]
	v_cndmask_b32_e64 v26, v22, v26, s[6:7]
	;; [unrolled: 1-line block ×6, first 2 shown]
	v_add_f32_e32 v2, 1.0, v2
	v_add_f32_e32 v3, 1.0, v3
	;; [unrolled: 1-line block ×8, first 2 shown]
	v_rcp_f32_e32 v2, v2
	v_rcp_f32_e32 v3, v3
	;; [unrolled: 1-line block ×8, first 2 shown]
	v_pk_mul_f32 v[2:3], v[2:3], v[12:13]
	v_pk_mul_f32 v[0:1], v[26:27], v[0:1]
	v_pk_mul_f32 v[12:13], v[24:25], v[16:17]
	v_pk_mul_f32 v[16:17], v[28:29], v[20:21]
	;;#ASMSTART
	v_pk_mul_f32 v[2:3], v[2:3], v[14:15]
	v_pk_mul_f32 v[2:3], v[2:3], v[10:11]
	;;#ASMEND
	;;#ASMSTART
	v_pk_mul_f32 v[4:5], v[12:13], v[4:5]
	v_pk_mul_f32 v[4:5], v[4:5], v[10:11]
	;;#ASMEND
	;; [unrolled: 4-line block ×3, first 2 shown]
	s_nop 0
	;;#ASMSTART
	v_pk_mul_f32 v[6:7], v[16:17], v[6:7]
	v_pk_mul_f32 v[6:7], v[6:7], v[10:11]
	;;#ASMEND
	s_load_dword s0, s[28:29], 0xc
	v_cvt_i32_f32_e32 v2, v2
	v_cvt_i32_f32_sdwa v3, v3 dst_sel:BYTE_1 dst_unused:UNUSED_PAD src0_sel:DWORD
	v_cvt_i32_f32_e32 v4, v4
	v_cvt_i32_f32_sdwa v5, v5 dst_sel:BYTE_1 dst_unused:UNUSED_PAD src0_sel:DWORD
	;; [unrolled: 2-line block ×4, first 2 shown]
	v_or_b32_sdwa v2, v2, v3 dst_sel:DWORD dst_unused:UNUSED_PAD src0_sel:BYTE_0 src1_sel:DWORD
	v_or_b32_sdwa v3, v4, v5 dst_sel:WORD_1 dst_unused:UNUSED_PAD src0_sel:BYTE_0 src1_sel:DWORD
	v_or_b32_sdwa v1, v0, v1 dst_sel:DWORD dst_unused:UNUSED_PAD src0_sel:BYTE_0 src1_sel:DWORD
	v_or_b32_sdwa v4, v6, v7 dst_sel:WORD_1 dst_unused:UNUSED_PAD src0_sel:BYTE_0 src1_sel:DWORD
	s_waitcnt lgkmcnt(0)
	s_and_b32 s0, s0, 0xffff
	v_or_b32_sdwa v0, v2, v3 dst_sel:DWORD dst_unused:UNUSED_PAD src0_sel:WORD_0 src1_sel:DWORD
	v_or_b32_sdwa v1, v1, v4 dst_sel:DWORD dst_unused:UNUSED_PAD src0_sel:WORD_0 src1_sel:DWORD
	s_lshl_b32 s34, s0, 3
	buffer_store_dwordx2 v[0:1], v8, s[24:27], 0 offen
	v_lshl_add_u64 v[8:9], s[34:35], 0, v[8:9]
	v_cmp_le_i64_e32 vcc, s[14:15], v[8:9]
	s_or_b64 s[30:31], vcc, s[30:31]
	s_andn2_b64 exec, exec, s[30:31]
	s_cbranch_execnz .LBB513_2
.LBB513_3:
	s_endpgm
	.section	.rodata,"a",@progbits
	.p2align	6, 0x0
	.amdhsa_kernel _ZN5aiter25scaled_act_and_mul_kernelItaTnPFfRKT_EXadL_ZNS_11silu_kernelItEEfS3_EELi8EEEvPT0_PS2_if
		.amdhsa_group_segment_fixed_size 0
		.amdhsa_private_segment_fixed_size 0
		.amdhsa_kernarg_size 280
		.amdhsa_user_sgpr_count 2
		.amdhsa_user_sgpr_dispatch_ptr 0
		.amdhsa_user_sgpr_queue_ptr 0
		.amdhsa_user_sgpr_kernarg_segment_ptr 1
		.amdhsa_user_sgpr_dispatch_id 0
		.amdhsa_user_sgpr_kernarg_preload_length 0
		.amdhsa_user_sgpr_kernarg_preload_offset 0
		.amdhsa_user_sgpr_private_segment_size 0
		.amdhsa_uses_dynamic_stack 0
		.amdhsa_enable_private_segment 0
		.amdhsa_system_sgpr_workgroup_id_x 1
		.amdhsa_system_sgpr_workgroup_id_y 0
		.amdhsa_system_sgpr_workgroup_id_z 0
		.amdhsa_system_sgpr_workgroup_info 0
		.amdhsa_system_vgpr_workitem_id 0
		.amdhsa_next_free_vgpr 45
		.amdhsa_next_free_sgpr 38
		.amdhsa_accum_offset 48
		.amdhsa_reserve_vcc 1
		.amdhsa_float_round_mode_32 0
		.amdhsa_float_round_mode_16_64 0
		.amdhsa_float_denorm_mode_32 3
		.amdhsa_float_denorm_mode_16_64 3
		.amdhsa_dx10_clamp 1
		.amdhsa_ieee_mode 1
		.amdhsa_fp16_overflow 0
		.amdhsa_tg_split 0
		.amdhsa_exception_fp_ieee_invalid_op 0
		.amdhsa_exception_fp_denorm_src 0
		.amdhsa_exception_fp_ieee_div_zero 0
		.amdhsa_exception_fp_ieee_overflow 0
		.amdhsa_exception_fp_ieee_underflow 0
		.amdhsa_exception_fp_ieee_inexact 0
		.amdhsa_exception_int_div_zero 0
	.end_amdhsa_kernel
	.section	.text._ZN5aiter25scaled_act_and_mul_kernelItaTnPFfRKT_EXadL_ZNS_11silu_kernelItEEfS3_EELi8EEEvPT0_PS2_if,"axG",@progbits,_ZN5aiter25scaled_act_and_mul_kernelItaTnPFfRKT_EXadL_ZNS_11silu_kernelItEEfS3_EELi8EEEvPT0_PS2_if,comdat
.Lfunc_end513:
	.size	_ZN5aiter25scaled_act_and_mul_kernelItaTnPFfRKT_EXadL_ZNS_11silu_kernelItEEfS3_EELi8EEEvPT0_PS2_if, .Lfunc_end513-_ZN5aiter25scaled_act_and_mul_kernelItaTnPFfRKT_EXadL_ZNS_11silu_kernelItEEfS3_EELi8EEEvPT0_PS2_if
                                        ; -- End function
	.section	.AMDGPU.csdata,"",@progbits
; Kernel info:
; codeLenInByte = 1340
; NumSgprs: 44
; NumVgprs: 45
; NumAgprs: 0
; TotalNumVgprs: 45
; ScratchSize: 0
; MemoryBound: 0
; FloatMode: 240
; IeeeMode: 1
; LDSByteSize: 0 bytes/workgroup (compile time only)
; SGPRBlocks: 5
; VGPRBlocks: 5
; NumSGPRsForWavesPerEU: 44
; NumVGPRsForWavesPerEU: 45
; AccumOffset: 48
; Occupancy: 8
; WaveLimiterHint : 0
; COMPUTE_PGM_RSRC2:SCRATCH_EN: 0
; COMPUTE_PGM_RSRC2:USER_SGPR: 2
; COMPUTE_PGM_RSRC2:TRAP_HANDLER: 0
; COMPUTE_PGM_RSRC2:TGID_X_EN: 1
; COMPUTE_PGM_RSRC2:TGID_Y_EN: 0
; COMPUTE_PGM_RSRC2:TGID_Z_EN: 0
; COMPUTE_PGM_RSRC2:TIDIG_COMP_CNT: 0
; COMPUTE_PGM_RSRC3_GFX90A:ACCUM_OFFSET: 11
; COMPUTE_PGM_RSRC3_GFX90A:TG_SPLIT: 0
	.section	.text._ZN5aiter25scaled_act_and_mul_kernelItaTnPFfRKT_EXadL_ZNS_11silu_kernelItEEfS3_EELi4EEEvPT0_PS2_if,"axG",@progbits,_ZN5aiter25scaled_act_and_mul_kernelItaTnPFfRKT_EXadL_ZNS_11silu_kernelItEEfS3_EELi4EEEvPT0_PS2_if,comdat
	.protected	_ZN5aiter25scaled_act_and_mul_kernelItaTnPFfRKT_EXadL_ZNS_11silu_kernelItEEfS3_EELi4EEEvPT0_PS2_if ; -- Begin function _ZN5aiter25scaled_act_and_mul_kernelItaTnPFfRKT_EXadL_ZNS_11silu_kernelItEEfS3_EELi4EEEvPT0_PS2_if
	.globl	_ZN5aiter25scaled_act_and_mul_kernelItaTnPFfRKT_EXadL_ZNS_11silu_kernelItEEfS3_EELi4EEEvPT0_PS2_if
	.p2align	8
	.type	_ZN5aiter25scaled_act_and_mul_kernelItaTnPFfRKT_EXadL_ZNS_11silu_kernelItEEfS3_EELi4EEEvPT0_PS2_if,@function
_ZN5aiter25scaled_act_and_mul_kernelItaTnPFfRKT_EXadL_ZNS_11silu_kernelItEEfS3_EELi4EEEvPT0_PS2_if: ; @_ZN5aiter25scaled_act_and_mul_kernelItaTnPFfRKT_EXadL_ZNS_11silu_kernelItEEfS3_EELi4EEEvPT0_PS2_if
; %bb.0:
	s_load_dwordx2 s[4:5], s[0:1], 0x10
	v_lshlrev_b32_e32 v0, 2, v0
	s_waitcnt lgkmcnt(0)
	v_cmp_gt_i32_e32 vcc, s4, v0
	s_and_saveexec_b64 s[6:7], vcc
	s_cbranch_execz .LBB514_3
; %bb.1:
	s_load_dwordx4 s[16:19], s[0:1], 0x0
	s_ashr_i32 s7, s4, 31
	s_mul_hi_u32 s3, s4, s2
	s_mul_i32 s8, s7, s2
	s_add_i32 s3, s3, s8
	s_mul_i32 s2, s4, s2
	s_lshl_b64 s[8:9], s[2:3], 2
	s_mov_b32 s6, s4
	s_waitcnt lgkmcnt(0)
	s_add_u32 s8, s18, s8
	s_addc_u32 s9, s19, s9
	s_lshl_b64 s[10:11], s[6:7], 1
	s_add_u32 s12, s8, s10
	s_addc_u32 s13, s9, s11
	s_add_i32 s10, s4, 1
	s_lshr_b32 s11, s10, 31
	s_add_i32 s10, s10, s11
	s_lshl_b32 s10, s10, 1
	s_and_b32 s10, s10, -4
	s_and_b32 s9, s9, 0xffff
	s_and_b32 s13, s13, 0xffff
	s_add_u32 s16, s16, s2
	s_addc_u32 s2, s17, s3
	s_add_i32 s3, s4, 3
	s_ashr_i32 s4, s3, 31
	s_lshr_b32 s4, s4, 30
	s_add_i32 s3, s3, s4
	s_and_b32 s18, s3, -4
	s_and_b32 s17, s2, 0xffff
	s_mov_b32 s11, 0x20000
	s_mov_b32 s4, s5
	s_add_u32 s20, s0, 24
	s_mov_b32 s19, s11
	v_mov_b32_e32 v1, 0
	s_addc_u32 s21, s1, 0
	s_mov_b64 s[22:23], 0
	s_mov_b32 s25, 0
	s_mov_b32 s26, 0xbfb8aa3b
	;; [unrolled: 1-line block ×4, first 2 shown]
	v_mov_b32_e32 v6, 0x7f800000
	v_mov_b64_e32 v[2:3], s[4:5]
	s_mov_b32 s14, s10
	s_mov_b32 s15, s11
.LBB514_2:                              ; =>This Inner Loop Header: Depth=1
	v_lshlrev_b32_e32 v4, 1, v0
	buffer_load_dwordx2 v[8:9], v4, s[8:11], 0 offen sc0 nt
	buffer_load_dwordx2 v[10:11], v4, s[12:15], 0 offen sc0 nt
	s_waitcnt vmcnt(1)
	v_and_b32_e32 v5, 0xffff0000, v8
	v_lshlrev_b32_e32 v4, 16, v8
	s_waitcnt vmcnt(0)
	v_and_b32_e32 v13, 0xffff0000, v10
	v_lshlrev_b32_e32 v12, 16, v10
	v_and_b32_e32 v15, 0xffff0000, v9
	v_lshlrev_b32_e32 v14, 16, v9
	v_mul_f32_e32 v7, 0xbfb8aa3b, v4
	v_mul_f32_e32 v10, 0xbfb8aa3b, v5
	v_and_b32_e32 v9, 0xffff0000, v11
	v_lshlrev_b32_e32 v8, 16, v11
	v_mul_f32_e32 v11, 0xbfb8aa3b, v14
	v_mul_f32_e32 v16, 0xbfb8aa3b, v15
	v_fma_f32 v17, v4, s26, -v7
	v_rndne_f32_e32 v18, v7
	v_fma_f32 v19, v5, s26, -v10
	v_rndne_f32_e32 v20, v10
	;; [unrolled: 2-line block ×4, first 2 shown]
	v_fmac_f32_e32 v17, 0xb2a5705f, v4
	v_sub_f32_e32 v7, v7, v18
	v_fmac_f32_e32 v19, 0xb2a5705f, v5
	v_sub_f32_e32 v10, v10, v20
	;; [unrolled: 2-line block ×4, first 2 shown]
	v_add_f32_e32 v7, v7, v17
	v_add_f32_e32 v10, v10, v19
	v_cvt_i32_f32_e32 v18, v18
	v_cvt_i32_f32_e32 v20, v20
	v_add_f32_e32 v11, v11, v21
	v_add_f32_e32 v16, v16, v23
	v_exp_f32_e32 v7, v7
	v_exp_f32_e32 v10, v10
	v_cvt_i32_f32_e32 v22, v22
	v_cvt_i32_f32_e32 v24, v24
	v_exp_f32_e32 v11, v11
	v_exp_f32_e32 v16, v16
	v_ldexp_f32 v7, v7, v18
	v_ldexp_f32 v10, v10, v20
	v_cmp_nlt_f32_e32 vcc, s27, v5
	v_cmp_nlt_f32_e64 s[4:5], s27, v4
	v_ldexp_f32 v11, v11, v22
	v_cmp_nlt_f32_e64 s[0:1], s27, v14
	v_ldexp_f32 v16, v16, v24
	v_cmp_nlt_f32_e64 s[2:3], s27, v15
	v_cndmask_b32_e64 v7, 0, v7, s[4:5]
	v_cndmask_b32_e32 v10, 0, v10, vcc
	v_cmp_ngt_f32_e32 vcc, s28, v5
	v_cmp_ngt_f32_e64 s[4:5], s28, v4
	v_cndmask_b32_e64 v11, 0, v11, s[0:1]
	v_cmp_ngt_f32_e64 s[0:1], s28, v14
	v_cndmask_b32_e64 v16, 0, v16, s[2:3]
	;; [unrolled: 2-line block ×3, first 2 shown]
	v_cndmask_b32_e32 v10, v6, v10, vcc
	v_cndmask_b32_e64 v11, v6, v11, s[0:1]
	v_cndmask_b32_e64 v16, v6, v16, s[2:3]
	v_add_f32_e32 v7, 1.0, v7
	v_add_f32_e32 v17, 1.0, v10
	;; [unrolled: 1-line block ×4, first 2 shown]
	v_rcp_f32_e32 v10, v7
	v_rcp_f32_e32 v11, v17
	;; [unrolled: 1-line block ×4, first 2 shown]
	v_pk_mul_f32 v[4:5], v[10:11], v[4:5]
	s_nop 0
	;;#ASMSTART
	v_pk_mul_f32 v[4:5], v[4:5], v[12:13]
	v_pk_mul_f32 v[4:5], v[4:5], v[2:3]
	;;#ASMEND
	v_pk_mul_f32 v[10:11], v[16:17], v[14:15]
	v_cvt_i32_f32_e32 v4, v4
	;;#ASMSTART
	v_pk_mul_f32 v[8:9], v[10:11], v[8:9]
	v_pk_mul_f32 v[8:9], v[8:9], v[2:3]
	;;#ASMEND
	s_load_dword s0, s[20:21], 0xc
	v_cvt_i32_f32_sdwa v5, v5 dst_sel:BYTE_1 dst_unused:UNUSED_PAD src0_sel:DWORD
	v_cvt_i32_f32_e32 v7, v8
	v_cvt_i32_f32_sdwa v8, v9 dst_sel:BYTE_1 dst_unused:UNUSED_PAD src0_sel:DWORD
	v_or_b32_sdwa v4, v4, v5 dst_sel:DWORD dst_unused:UNUSED_PAD src0_sel:BYTE_0 src1_sel:DWORD
	s_waitcnt lgkmcnt(0)
	s_and_b32 s0, s0, 0xffff
	v_or_b32_sdwa v5, v7, v8 dst_sel:WORD_1 dst_unused:UNUSED_PAD src0_sel:BYTE_0 src1_sel:DWORD
	s_lshl_b32 s24, s0, 2
	v_or_b32_sdwa v4, v4, v5 dst_sel:DWORD dst_unused:UNUSED_PAD src0_sel:WORD_0 src1_sel:DWORD
	buffer_store_dword v4, v0, s[16:19], 0 offen
	v_lshl_add_u64 v[0:1], s[24:25], 0, v[0:1]
	v_cmp_le_i64_e32 vcc, s[6:7], v[0:1]
	s_or_b64 s[22:23], vcc, s[22:23]
	s_andn2_b64 exec, exec, s[22:23]
	s_cbranch_execnz .LBB514_2
.LBB514_3:
	s_endpgm
	.section	.rodata,"a",@progbits
	.p2align	6, 0x0
	.amdhsa_kernel _ZN5aiter25scaled_act_and_mul_kernelItaTnPFfRKT_EXadL_ZNS_11silu_kernelItEEfS3_EELi4EEEvPT0_PS2_if
		.amdhsa_group_segment_fixed_size 0
		.amdhsa_private_segment_fixed_size 0
		.amdhsa_kernarg_size 280
		.amdhsa_user_sgpr_count 2
		.amdhsa_user_sgpr_dispatch_ptr 0
		.amdhsa_user_sgpr_queue_ptr 0
		.amdhsa_user_sgpr_kernarg_segment_ptr 1
		.amdhsa_user_sgpr_dispatch_id 0
		.amdhsa_user_sgpr_kernarg_preload_length 0
		.amdhsa_user_sgpr_kernarg_preload_offset 0
		.amdhsa_user_sgpr_private_segment_size 0
		.amdhsa_uses_dynamic_stack 0
		.amdhsa_enable_private_segment 0
		.amdhsa_system_sgpr_workgroup_id_x 1
		.amdhsa_system_sgpr_workgroup_id_y 0
		.amdhsa_system_sgpr_workgroup_id_z 0
		.amdhsa_system_sgpr_workgroup_info 0
		.amdhsa_system_vgpr_workitem_id 0
		.amdhsa_next_free_vgpr 25
		.amdhsa_next_free_sgpr 29
		.amdhsa_accum_offset 28
		.amdhsa_reserve_vcc 1
		.amdhsa_float_round_mode_32 0
		.amdhsa_float_round_mode_16_64 0
		.amdhsa_float_denorm_mode_32 3
		.amdhsa_float_denorm_mode_16_64 3
		.amdhsa_dx10_clamp 1
		.amdhsa_ieee_mode 1
		.amdhsa_fp16_overflow 0
		.amdhsa_tg_split 0
		.amdhsa_exception_fp_ieee_invalid_op 0
		.amdhsa_exception_fp_denorm_src 0
		.amdhsa_exception_fp_ieee_div_zero 0
		.amdhsa_exception_fp_ieee_overflow 0
		.amdhsa_exception_fp_ieee_underflow 0
		.amdhsa_exception_fp_ieee_inexact 0
		.amdhsa_exception_int_div_zero 0
	.end_amdhsa_kernel
	.section	.text._ZN5aiter25scaled_act_and_mul_kernelItaTnPFfRKT_EXadL_ZNS_11silu_kernelItEEfS3_EELi4EEEvPT0_PS2_if,"axG",@progbits,_ZN5aiter25scaled_act_and_mul_kernelItaTnPFfRKT_EXadL_ZNS_11silu_kernelItEEfS3_EELi4EEEvPT0_PS2_if,comdat
.Lfunc_end514:
	.size	_ZN5aiter25scaled_act_and_mul_kernelItaTnPFfRKT_EXadL_ZNS_11silu_kernelItEEfS3_EELi4EEEvPT0_PS2_if, .Lfunc_end514-_ZN5aiter25scaled_act_and_mul_kernelItaTnPFfRKT_EXadL_ZNS_11silu_kernelItEEfS3_EELi4EEEvPT0_PS2_if
                                        ; -- End function
	.section	.AMDGPU.csdata,"",@progbits
; Kernel info:
; codeLenInByte = 828
; NumSgprs: 35
; NumVgprs: 25
; NumAgprs: 0
; TotalNumVgprs: 25
; ScratchSize: 0
; MemoryBound: 0
; FloatMode: 240
; IeeeMode: 1
; LDSByteSize: 0 bytes/workgroup (compile time only)
; SGPRBlocks: 4
; VGPRBlocks: 3
; NumSGPRsForWavesPerEU: 35
; NumVGPRsForWavesPerEU: 25
; AccumOffset: 28
; Occupancy: 8
; WaveLimiterHint : 0
; COMPUTE_PGM_RSRC2:SCRATCH_EN: 0
; COMPUTE_PGM_RSRC2:USER_SGPR: 2
; COMPUTE_PGM_RSRC2:TRAP_HANDLER: 0
; COMPUTE_PGM_RSRC2:TGID_X_EN: 1
; COMPUTE_PGM_RSRC2:TGID_Y_EN: 0
; COMPUTE_PGM_RSRC2:TGID_Z_EN: 0
; COMPUTE_PGM_RSRC2:TIDIG_COMP_CNT: 0
; COMPUTE_PGM_RSRC3_GFX90A:ACCUM_OFFSET: 6
; COMPUTE_PGM_RSRC3_GFX90A:TG_SPLIT: 0
	.section	.text._ZN5aiter25scaled_act_and_mul_kernelItaTnPFfRKT_EXadL_ZNS_11silu_kernelItEEfS3_EELi2EEEvPT0_PS2_if,"axG",@progbits,_ZN5aiter25scaled_act_and_mul_kernelItaTnPFfRKT_EXadL_ZNS_11silu_kernelItEEfS3_EELi2EEEvPT0_PS2_if,comdat
	.protected	_ZN5aiter25scaled_act_and_mul_kernelItaTnPFfRKT_EXadL_ZNS_11silu_kernelItEEfS3_EELi2EEEvPT0_PS2_if ; -- Begin function _ZN5aiter25scaled_act_and_mul_kernelItaTnPFfRKT_EXadL_ZNS_11silu_kernelItEEfS3_EELi2EEEvPT0_PS2_if
	.globl	_ZN5aiter25scaled_act_and_mul_kernelItaTnPFfRKT_EXadL_ZNS_11silu_kernelItEEfS3_EELi2EEEvPT0_PS2_if
	.p2align	8
	.type	_ZN5aiter25scaled_act_and_mul_kernelItaTnPFfRKT_EXadL_ZNS_11silu_kernelItEEfS3_EELi2EEEvPT0_PS2_if,@function
_ZN5aiter25scaled_act_and_mul_kernelItaTnPFfRKT_EXadL_ZNS_11silu_kernelItEEfS3_EELi2EEEvPT0_PS2_if: ; @_ZN5aiter25scaled_act_and_mul_kernelItaTnPFfRKT_EXadL_ZNS_11silu_kernelItEEfS3_EELi2EEEvPT0_PS2_if
; %bb.0:
	s_load_dwordx2 s[10:11], s[0:1], 0x10
	v_lshlrev_b32_e32 v0, 1, v0
	s_waitcnt lgkmcnt(0)
	v_cmp_gt_i32_e32 vcc, s10, v0
	s_and_saveexec_b64 s[4:5], vcc
	s_cbranch_execz .LBB515_3
; %bb.1:
	s_load_dwordx4 s[12:15], s[0:1], 0x0
	s_ashr_i32 s17, s10, 31
	s_mul_hi_u32 s3, s10, s2
	s_mul_i32 s4, s17, s2
	s_add_i32 s3, s3, s4
	s_mul_i32 s2, s10, s2
	s_lshl_b64 s[4:5], s[2:3], 2
	s_mov_b32 s16, s10
	s_waitcnt lgkmcnt(0)
	s_add_u32 s4, s14, s4
	s_addc_u32 s5, s15, s5
	s_lshl_b64 s[6:7], s[16:17], 1
	s_add_u32 s8, s4, s6
	s_addc_u32 s9, s5, s7
	s_add_i32 s6, s10, 1
	s_lshr_b32 s7, s6, 31
	s_add_i32 s6, s6, s7
	s_lshl_b32 s6, s6, 1
	s_and_b32 s6, s6, -4
	s_and_b32 s5, s5, 0xffff
	s_and_b32 s9, s9, 0xffff
	s_add_u32 s12, s12, s2
	s_addc_u32 s2, s13, s3
	s_add_i32 s3, s10, 3
	s_ashr_i32 s10, s3, 31
	s_lshr_b32 s10, s10, 30
	s_add_i32 s3, s3, s10
	s_and_b32 s14, s3, -4
	s_and_b32 s13, s2, 0xffff
	s_mov_b32 s7, 0x20000
	s_mov_b32 s10, s11
	s_add_u32 s2, s0, 24
	s_mov_b32 s15, s7
	v_mov_b32_e32 v1, 0
	s_addc_u32 s3, s1, 0
	s_mov_b64 s[18:19], 0
	s_mov_b32 s21, 0
	s_mov_b32 s22, 0xbfb8aa3b
	s_mov_b32 s23, 0x42ce8ed0
	s_mov_b32 s24, 0xc2b17218
	v_mov_b32_e32 v4, 0x7f800000
	v_mov_b64_e32 v[2:3], s[10:11]
	s_mov_b32 s10, s6
	s_mov_b32 s11, s7
.LBB515_2:                              ; =>This Inner Loop Header: Depth=1
	v_lshlrev_b32_e32 v5, 1, v0
	buffer_load_dword v6, v5, s[4:7], 0 offen sc0 nt
	buffer_load_dword v8, v5, s[8:11], 0 offen sc0 nt
	s_waitcnt vmcnt(1)
	v_and_b32_e32 v7, 0xffff0000, v6
	v_lshlrev_b32_e32 v6, 16, v6
	v_mul_f32_e32 v5, 0xbfb8aa3b, v7
	v_mul_f32_e32 v10, 0xbfb8aa3b, v6
	v_fma_f32 v11, v7, s22, -v5
	v_rndne_f32_e32 v12, v5
	v_fma_f32 v13, v6, s22, -v10
	v_rndne_f32_e32 v14, v10
	v_fmac_f32_e32 v11, 0xb2a5705f, v7
	v_sub_f32_e32 v5, v5, v12
	v_fmac_f32_e32 v13, 0xb2a5705f, v6
	v_sub_f32_e32 v10, v10, v14
	v_add_f32_e32 v5, v5, v11
	v_add_f32_e32 v10, v10, v13
	v_cvt_i32_f32_e32 v12, v12
	v_cvt_i32_f32_e32 v14, v14
	v_exp_f32_e32 v5, v5
	v_exp_f32_e32 v10, v10
	v_cmp_nlt_f32_e32 vcc, s23, v6
	v_cmp_nlt_f32_e64 s[0:1], s23, v7
	v_ldexp_f32 v5, v5, v12
	v_ldexp_f32 v10, v10, v14
	v_cndmask_b32_e64 v5, 0, v5, s[0:1]
	v_cndmask_b32_e32 v10, 0, v10, vcc
	v_cmp_ngt_f32_e32 vcc, s24, v6
	v_cmp_ngt_f32_e64 s[0:1], s24, v7
	s_waitcnt vmcnt(0)
	v_and_b32_e32 v9, 0xffff0000, v8
	v_cndmask_b32_e32 v10, v4, v10, vcc
	v_cndmask_b32_e64 v5, v4, v5, s[0:1]
	v_add_f32_e32 v5, 1.0, v5
	v_add_f32_e32 v10, 1.0, v10
	v_rcp_f32_e32 v11, v5
	v_rcp_f32_e32 v10, v10
	v_lshlrev_b32_e32 v8, 16, v8
	v_pk_mul_f32 v[6:7], v[10:11], v[6:7]
	s_nop 0
	;;#ASMSTART
	v_pk_mul_f32 v[6:7], v[6:7], v[8:9]
	v_pk_mul_f32 v[6:7], v[6:7], v[2:3]
	;;#ASMEND
	s_load_dword s0, s[2:3], 0xc
	v_cvt_i32_f32_e32 v5, v6
	v_cvt_i32_f32_sdwa v6, v7 dst_sel:BYTE_1 dst_unused:UNUSED_PAD src0_sel:DWORD
	s_waitcnt lgkmcnt(0)
	s_and_b32 s0, s0, 0xffff
	v_or_b32_sdwa v5, v5, v6 dst_sel:DWORD dst_unused:UNUSED_PAD src0_sel:BYTE_0 src1_sel:DWORD
	s_lshl_b32 s20, s0, 1
	buffer_store_short v5, v0, s[12:15], 0 offen
	v_lshl_add_u64 v[0:1], s[20:21], 0, v[0:1]
	v_cmp_le_i64_e32 vcc, s[16:17], v[0:1]
	s_or_b64 s[18:19], vcc, s[18:19]
	s_andn2_b64 exec, exec, s[18:19]
	s_cbranch_execnz .LBB515_2
.LBB515_3:
	s_endpgm
	.section	.rodata,"a",@progbits
	.p2align	6, 0x0
	.amdhsa_kernel _ZN5aiter25scaled_act_and_mul_kernelItaTnPFfRKT_EXadL_ZNS_11silu_kernelItEEfS3_EELi2EEEvPT0_PS2_if
		.amdhsa_group_segment_fixed_size 0
		.amdhsa_private_segment_fixed_size 0
		.amdhsa_kernarg_size 280
		.amdhsa_user_sgpr_count 2
		.amdhsa_user_sgpr_dispatch_ptr 0
		.amdhsa_user_sgpr_queue_ptr 0
		.amdhsa_user_sgpr_kernarg_segment_ptr 1
		.amdhsa_user_sgpr_dispatch_id 0
		.amdhsa_user_sgpr_kernarg_preload_length 0
		.amdhsa_user_sgpr_kernarg_preload_offset 0
		.amdhsa_user_sgpr_private_segment_size 0
		.amdhsa_uses_dynamic_stack 0
		.amdhsa_enable_private_segment 0
		.amdhsa_system_sgpr_workgroup_id_x 1
		.amdhsa_system_sgpr_workgroup_id_y 0
		.amdhsa_system_sgpr_workgroup_id_z 0
		.amdhsa_system_sgpr_workgroup_info 0
		.amdhsa_system_vgpr_workitem_id 0
		.amdhsa_next_free_vgpr 15
		.amdhsa_next_free_sgpr 25
		.amdhsa_accum_offset 16
		.amdhsa_reserve_vcc 1
		.amdhsa_float_round_mode_32 0
		.amdhsa_float_round_mode_16_64 0
		.amdhsa_float_denorm_mode_32 3
		.amdhsa_float_denorm_mode_16_64 3
		.amdhsa_dx10_clamp 1
		.amdhsa_ieee_mode 1
		.amdhsa_fp16_overflow 0
		.amdhsa_tg_split 0
		.amdhsa_exception_fp_ieee_invalid_op 0
		.amdhsa_exception_fp_denorm_src 0
		.amdhsa_exception_fp_ieee_div_zero 0
		.amdhsa_exception_fp_ieee_overflow 0
		.amdhsa_exception_fp_ieee_underflow 0
		.amdhsa_exception_fp_ieee_inexact 0
		.amdhsa_exception_int_div_zero 0
	.end_amdhsa_kernel
	.section	.text._ZN5aiter25scaled_act_and_mul_kernelItaTnPFfRKT_EXadL_ZNS_11silu_kernelItEEfS3_EELi2EEEvPT0_PS2_if,"axG",@progbits,_ZN5aiter25scaled_act_and_mul_kernelItaTnPFfRKT_EXadL_ZNS_11silu_kernelItEEfS3_EELi2EEEvPT0_PS2_if,comdat
.Lfunc_end515:
	.size	_ZN5aiter25scaled_act_and_mul_kernelItaTnPFfRKT_EXadL_ZNS_11silu_kernelItEEfS3_EELi2EEEvPT0_PS2_if, .Lfunc_end515-_ZN5aiter25scaled_act_and_mul_kernelItaTnPFfRKT_EXadL_ZNS_11silu_kernelItEEfS3_EELi2EEEvPT0_PS2_if
                                        ; -- End function
	.section	.AMDGPU.csdata,"",@progbits
; Kernel info:
; codeLenInByte = 568
; NumSgprs: 31
; NumVgprs: 15
; NumAgprs: 0
; TotalNumVgprs: 15
; ScratchSize: 0
; MemoryBound: 0
; FloatMode: 240
; IeeeMode: 1
; LDSByteSize: 0 bytes/workgroup (compile time only)
; SGPRBlocks: 3
; VGPRBlocks: 1
; NumSGPRsForWavesPerEU: 31
; NumVGPRsForWavesPerEU: 15
; AccumOffset: 16
; Occupancy: 8
; WaveLimiterHint : 0
; COMPUTE_PGM_RSRC2:SCRATCH_EN: 0
; COMPUTE_PGM_RSRC2:USER_SGPR: 2
; COMPUTE_PGM_RSRC2:TRAP_HANDLER: 0
; COMPUTE_PGM_RSRC2:TGID_X_EN: 1
; COMPUTE_PGM_RSRC2:TGID_Y_EN: 0
; COMPUTE_PGM_RSRC2:TGID_Z_EN: 0
; COMPUTE_PGM_RSRC2:TIDIG_COMP_CNT: 0
; COMPUTE_PGM_RSRC3_GFX90A:ACCUM_OFFSET: 3
; COMPUTE_PGM_RSRC3_GFX90A:TG_SPLIT: 0
	.section	.text._ZN5aiter25scaled_act_and_mul_kernelItaTnPFfRKT_EXadL_ZNS_11silu_kernelItEEfS3_EELi1EEEvPT0_PS2_if,"axG",@progbits,_ZN5aiter25scaled_act_and_mul_kernelItaTnPFfRKT_EXadL_ZNS_11silu_kernelItEEfS3_EELi1EEEvPT0_PS2_if,comdat
	.protected	_ZN5aiter25scaled_act_and_mul_kernelItaTnPFfRKT_EXadL_ZNS_11silu_kernelItEEfS3_EELi1EEEvPT0_PS2_if ; -- Begin function _ZN5aiter25scaled_act_and_mul_kernelItaTnPFfRKT_EXadL_ZNS_11silu_kernelItEEfS3_EELi1EEEvPT0_PS2_if
	.globl	_ZN5aiter25scaled_act_and_mul_kernelItaTnPFfRKT_EXadL_ZNS_11silu_kernelItEEfS3_EELi1EEEvPT0_PS2_if
	.p2align	8
	.type	_ZN5aiter25scaled_act_and_mul_kernelItaTnPFfRKT_EXadL_ZNS_11silu_kernelItEEfS3_EELi1EEEvPT0_PS2_if,@function
_ZN5aiter25scaled_act_and_mul_kernelItaTnPFfRKT_EXadL_ZNS_11silu_kernelItEEfS3_EELi1EEEvPT0_PS2_if: ; @_ZN5aiter25scaled_act_and_mul_kernelItaTnPFfRKT_EXadL_ZNS_11silu_kernelItEEfS3_EELi1EEEvPT0_PS2_if
; %bb.0:
	s_load_dwordx2 s[12:13], s[0:1], 0x10
	s_waitcnt lgkmcnt(0)
	v_cmp_gt_i32_e32 vcc, s12, v0
	s_and_saveexec_b64 s[4:5], vcc
	s_cbranch_execz .LBB516_3
; %bb.1:
	s_load_dwordx4 s[8:11], s[0:1], 0x0
	s_load_dword s16, s[0:1], 0x24
	s_ashr_i32 s15, s12, 31
	s_mul_hi_u32 s3, s12, s2
	s_mul_i32 s4, s15, s2
	s_add_i32 s7, s3, s4
	s_mul_i32 s6, s12, s2
	s_lshl_b64 s[2:3], s[6:7], 2
	s_mov_b32 s14, s12
	s_waitcnt lgkmcnt(0)
	s_add_u32 s0, s10, s2
	s_addc_u32 s1, s11, s3
	s_lshl_b64 s[2:3], s[14:15], 1
	s_add_u32 s4, s0, s2
	s_addc_u32 s5, s1, s3
	s_add_i32 s2, s12, 1
	s_lshr_b32 s3, s2, 31
	s_add_i32 s2, s2, s3
	s_lshl_b32 s2, s2, 1
	s_and_b32 s2, s2, -4
	s_and_b32 s1, s1, 0xffff
	s_and_b32 s5, s5, 0xffff
	s_add_u32 s8, s8, s6
	s_addc_u32 s6, s9, s7
	s_add_i32 s7, s12, 3
	s_ashr_i32 s9, s7, 31
	s_lshr_b32 s9, s9, 30
	s_mov_b32 s3, 0x20000
	s_add_i32 s7, s7, s9
	s_and_b32 s16, s16, 0xffff
	s_and_b32 s10, s7, -4
	s_and_b32 s9, s6, 0xffff
	s_mov_b32 s11, s3
	s_mov_b32 s17, 0
	v_mov_b32_e32 v1, 0
	v_lshlrev_b32_e32 v2, 1, v0
	s_lshl_b32 s12, s16, 1
	s_mov_b64 s[18:19], 0
	s_mov_b32 s6, s2
	s_mov_b32 s7, s3
	;; [unrolled: 1-line block ×5, first 2 shown]
	v_mov_b32_e32 v3, 0x7f800000
.LBB516_2:                              ; =>This Inner Loop Header: Depth=1
	buffer_load_ushort v4, v2, s[0:3], 0 offen sc0 nt
	buffer_load_ushort v5, v2, s[4:7], 0 offen sc0 nt
	v_add_u32_e32 v2, s12, v2
	s_waitcnt vmcnt(1)
	v_lshlrev_b32_e32 v4, 16, v4
	v_mul_f32_e32 v6, 0xbfb8aa3b, v4
	v_fma_f32 v7, v4, s20, -v6
	v_rndne_f32_e32 v8, v6
	v_fmac_f32_e32 v7, 0xb2a5705f, v4
	v_sub_f32_e32 v6, v6, v8
	v_add_f32_e32 v6, v6, v7
	v_cvt_i32_f32_e32 v8, v8
	v_exp_f32_e32 v6, v6
	v_cmp_nlt_f32_e32 vcc, s21, v4
	s_waitcnt vmcnt(0)
	v_lshlrev_b32_e32 v5, 16, v5
	v_ldexp_f32 v6, v6, v8
	v_cndmask_b32_e32 v6, 0, v6, vcc
	v_cmp_ngt_f32_e32 vcc, s22, v4
	s_nop 1
	v_cndmask_b32_e32 v6, v3, v6, vcc
	v_add_f32_e32 v6, 1.0, v6
	v_rcp_f32_e32 v6, v6
	s_nop 0
	v_mul_f32_e32 v4, v6, v4
	v_mul_f32_e32 v4, v4, v5
	v_mul_f32_e32 v4, s13, v4
	v_cvt_i32_f32_e32 v4, v4
	buffer_store_byte v4, v0, s[8:11], 0 offen
	v_lshl_add_u64 v[0:1], v[0:1], 0, s[16:17]
	v_cmp_le_i64_e32 vcc, s[14:15], v[0:1]
	s_or_b64 s[18:19], vcc, s[18:19]
	s_andn2_b64 exec, exec, s[18:19]
	s_cbranch_execnz .LBB516_2
.LBB516_3:
	s_endpgm
	.section	.rodata,"a",@progbits
	.p2align	6, 0x0
	.amdhsa_kernel _ZN5aiter25scaled_act_and_mul_kernelItaTnPFfRKT_EXadL_ZNS_11silu_kernelItEEfS3_EELi1EEEvPT0_PS2_if
		.amdhsa_group_segment_fixed_size 0
		.amdhsa_private_segment_fixed_size 0
		.amdhsa_kernarg_size 280
		.amdhsa_user_sgpr_count 2
		.amdhsa_user_sgpr_dispatch_ptr 0
		.amdhsa_user_sgpr_queue_ptr 0
		.amdhsa_user_sgpr_kernarg_segment_ptr 1
		.amdhsa_user_sgpr_dispatch_id 0
		.amdhsa_user_sgpr_kernarg_preload_length 0
		.amdhsa_user_sgpr_kernarg_preload_offset 0
		.amdhsa_user_sgpr_private_segment_size 0
		.amdhsa_uses_dynamic_stack 0
		.amdhsa_enable_private_segment 0
		.amdhsa_system_sgpr_workgroup_id_x 1
		.amdhsa_system_sgpr_workgroup_id_y 0
		.amdhsa_system_sgpr_workgroup_id_z 0
		.amdhsa_system_sgpr_workgroup_info 0
		.amdhsa_system_vgpr_workitem_id 0
		.amdhsa_next_free_vgpr 9
		.amdhsa_next_free_sgpr 23
		.amdhsa_accum_offset 12
		.amdhsa_reserve_vcc 1
		.amdhsa_float_round_mode_32 0
		.amdhsa_float_round_mode_16_64 0
		.amdhsa_float_denorm_mode_32 3
		.amdhsa_float_denorm_mode_16_64 3
		.amdhsa_dx10_clamp 1
		.amdhsa_ieee_mode 1
		.amdhsa_fp16_overflow 0
		.amdhsa_tg_split 0
		.amdhsa_exception_fp_ieee_invalid_op 0
		.amdhsa_exception_fp_denorm_src 0
		.amdhsa_exception_fp_ieee_div_zero 0
		.amdhsa_exception_fp_ieee_overflow 0
		.amdhsa_exception_fp_ieee_underflow 0
		.amdhsa_exception_fp_ieee_inexact 0
		.amdhsa_exception_int_div_zero 0
	.end_amdhsa_kernel
	.section	.text._ZN5aiter25scaled_act_and_mul_kernelItaTnPFfRKT_EXadL_ZNS_11silu_kernelItEEfS3_EELi1EEEvPT0_PS2_if,"axG",@progbits,_ZN5aiter25scaled_act_and_mul_kernelItaTnPFfRKT_EXadL_ZNS_11silu_kernelItEEfS3_EELi1EEEvPT0_PS2_if,comdat
.Lfunc_end516:
	.size	_ZN5aiter25scaled_act_and_mul_kernelItaTnPFfRKT_EXadL_ZNS_11silu_kernelItEEfS3_EELi1EEEvPT0_PS2_if, .Lfunc_end516-_ZN5aiter25scaled_act_and_mul_kernelItaTnPFfRKT_EXadL_ZNS_11silu_kernelItEEfS3_EELi1EEEvPT0_PS2_if
                                        ; -- End function
	.section	.AMDGPU.csdata,"",@progbits
; Kernel info:
; codeLenInByte = 416
; NumSgprs: 29
; NumVgprs: 9
; NumAgprs: 0
; TotalNumVgprs: 9
; ScratchSize: 0
; MemoryBound: 0
; FloatMode: 240
; IeeeMode: 1
; LDSByteSize: 0 bytes/workgroup (compile time only)
; SGPRBlocks: 3
; VGPRBlocks: 1
; NumSGPRsForWavesPerEU: 29
; NumVGPRsForWavesPerEU: 9
; AccumOffset: 12
; Occupancy: 8
; WaveLimiterHint : 0
; COMPUTE_PGM_RSRC2:SCRATCH_EN: 0
; COMPUTE_PGM_RSRC2:USER_SGPR: 2
; COMPUTE_PGM_RSRC2:TRAP_HANDLER: 0
; COMPUTE_PGM_RSRC2:TGID_X_EN: 1
; COMPUTE_PGM_RSRC2:TGID_Y_EN: 0
; COMPUTE_PGM_RSRC2:TGID_Z_EN: 0
; COMPUTE_PGM_RSRC2:TIDIG_COMP_CNT: 0
; COMPUTE_PGM_RSRC3_GFX90A:ACCUM_OFFSET: 2
; COMPUTE_PGM_RSRC3_GFX90A:TG_SPLIT: 0
	.section	.text._ZN5aiter24act_and_mul_quant_kernelIDF16_DB8_TnPFfRKT_EXadL_ZNS_11silu_kernelIDF16_EEfS4_EELi64ELi8ELb1EEEvPT0_PS3_Pfiifb,"axG",@progbits,_ZN5aiter24act_and_mul_quant_kernelIDF16_DB8_TnPFfRKT_EXadL_ZNS_11silu_kernelIDF16_EEfS4_EELi64ELi8ELb1EEEvPT0_PS3_Pfiifb,comdat
	.protected	_ZN5aiter24act_and_mul_quant_kernelIDF16_DB8_TnPFfRKT_EXadL_ZNS_11silu_kernelIDF16_EEfS4_EELi64ELi8ELb1EEEvPT0_PS3_Pfiifb ; -- Begin function _ZN5aiter24act_and_mul_quant_kernelIDF16_DB8_TnPFfRKT_EXadL_ZNS_11silu_kernelIDF16_EEfS4_EELi64ELi8ELb1EEEvPT0_PS3_Pfiifb
	.globl	_ZN5aiter24act_and_mul_quant_kernelIDF16_DB8_TnPFfRKT_EXadL_ZNS_11silu_kernelIDF16_EEfS4_EELi64ELi8ELb1EEEvPT0_PS3_Pfiifb
	.p2align	8
	.type	_ZN5aiter24act_and_mul_quant_kernelIDF16_DB8_TnPFfRKT_EXadL_ZNS_11silu_kernelIDF16_EEfS4_EELi64ELi8ELb1EEEvPT0_PS3_Pfiifb,@function
_ZN5aiter24act_and_mul_quant_kernelIDF16_DB8_TnPFfRKT_EXadL_ZNS_11silu_kernelIDF16_EEfS4_EELi64ELi8ELb1EEEvPT0_PS3_Pfiifb: ; @_ZN5aiter24act_and_mul_quant_kernelIDF16_DB8_TnPFfRKT_EXadL_ZNS_11silu_kernelIDF16_EEfS4_EELi64ELi8ELb1EEEvPT0_PS3_Pfiifb
; %bb.0:
	s_load_dwordx4 s[4:7], s[0:1], 0x18
	v_lshlrev_b32_e32 v12, 3, v0
	s_waitcnt lgkmcnt(0)
	v_cmp_gt_i32_e32 vcc, s4, v12
	s_and_saveexec_b64 s[8:9], vcc
	s_cbranch_execz .LBB517_36
; %bb.1:
	s_load_dwordx4 s[8:11], s[0:1], 0x0
	s_load_dwordx2 s[14:15], s[0:1], 0x10
	s_ashr_i32 s13, s4, 31
	s_mul_hi_u32 s3, s2, s4
	s_mul_i32 s16, s2, s13
	s_add_i32 s17, s3, s16
	s_mul_i32 s16, s2, s4
	s_lshl_b64 s[16:17], s[16:17], 2
	s_mov_b32 s12, s4
	s_waitcnt lgkmcnt(0)
	s_add_u32 s16, s10, s16
	s_addc_u32 s3, s11, s17
	s_lshl_b64 s[10:11], s[12:13], 1
	s_add_u32 s20, s16, s10
	s_addc_u32 s10, s3, s11
	s_lshl_b32 s11, s4, 1
	s_add_i32 s11, s11, 2
	s_and_b32 s22, s11, -4
	s_mov_b32 s23, 0x20000
	s_and_b32 s21, s10, 0xffff
	s_and_b32 s17, s3, 0xffff
	s_mov_b32 s18, s22
	v_lshlrev_b32_e32 v1, 4, v0
	s_mov_b32 s19, s23
	buffer_load_dwordx4 v[2:5], v1, s[20:23], 0 offen sc0 nt
	buffer_load_dwordx4 v[6:9], v1, s[16:19], 0 offen sc0 nt
	v_max_f32_e64 v10, s6, s6
	s_mov_b32 s11, 0xbfb8aa3b
	s_mov_b32 s17, 0xb2a5705f
	;; [unrolled: 1-line block ×4, first 2 shown]
	v_mov_b32_e32 v1, 0x7f800000
	s_mov_b32 s3, 0
	s_waitcnt vmcnt(1)
	v_cvt_f32_f16_e32 v11, v2
	v_cvt_f32_f16_sdwa v13, v2 dst_sel:DWORD dst_unused:UNUSED_PAD src0_sel:WORD_1
	s_waitcnt vmcnt(0)
	v_cvt_f32_f16_e32 v2, v6
	v_cvt_f32_f16_sdwa v6, v6 dst_sel:DWORD dst_unused:UNUSED_PAD src0_sel:WORD_1
	v_cvt_f32_f16_sdwa v16, v7 dst_sel:DWORD dst_unused:UNUSED_PAD src0_sel:WORD_1
	v_cvt_f32_f16_e32 v7, v7
	v_cvt_f32_f16_e32 v17, v8
	v_min_f32_e32 v18, v2, v10
	v_med3_f32 v2, -s6, v11, s6
	v_min_f32_e32 v6, v6, v10
	v_min_f32_e32 v11, v16, v10
	v_cvt_f16_f32_e32 v16, v18
	v_cvt_f32_f16_e32 v14, v3
	v_cvt_f32_f16_sdwa v15, v3 dst_sel:DWORD dst_unused:UNUSED_PAD src0_sel:WORD_1
	v_med3_f32 v3, -s6, v13, s6
	v_min_f32_e32 v7, v7, v10
	v_min_f32_e32 v13, v17, v10
	v_cvt_f16_f32_e32 v17, v6
	v_cvt_f16_f32_e32 v18, v7
	;; [unrolled: 1-line block ×3, first 2 shown]
	v_cvt_f32_f16_e32 v19, v16
	v_cvt_f32_f16_e32 v20, v17
	;; [unrolled: 1-line block ×4, first 2 shown]
	v_mul_f32_e32 v21, 0xbfb8aa3b, v19
	v_mul_f32_e32 v22, 0xbfb8aa3b, v20
	v_fma_mix_f32 v25, v16, s11, -v21 op_sel_hi:[1,0,0]
	v_rndne_f32_e32 v26, v21
	v_mul_f32_e32 v23, 0xbfb8aa3b, v6
	v_fma_mix_f32 v27, v17, s11, -v22 op_sel_hi:[1,0,0]
	v_rndne_f32_e32 v28, v22
	v_fma_mix_f32 v16, v16, s17, v25 op_sel_hi:[1,0,0]
	v_sub_f32_e32 v21, v21, v26
	v_mul_f32_e32 v24, 0xbfb8aa3b, v7
	v_fma_mix_f32 v29, v18, s11, -v23 op_sel_hi:[1,0,0]
	v_rndne_f32_e32 v30, v23
	v_fma_mix_f32 v17, v17, s17, v27 op_sel_hi:[1,0,0]
	v_sub_f32_e32 v22, v22, v28
	v_add_f32_e32 v16, v21, v16
	v_fma_mix_f32 v31, v11, s11, -v24 op_sel_hi:[1,0,0]
	v_rndne_f32_e32 v32, v24
	v_cvt_i32_f32_e32 v25, v26
	v_fma_mix_f32 v18, v18, s17, v29 op_sel_hi:[1,0,0]
	v_sub_f32_e32 v23, v23, v30
	v_add_f32_e32 v17, v22, v17
	v_exp_f32_e32 v16, v16
	v_cvt_i32_f32_e32 v26, v28
	v_fma_mix_f32 v11, v11, s17, v31 op_sel_hi:[1,0,0]
	v_sub_f32_e32 v24, v24, v32
	v_add_f32_e32 v18, v23, v18
	v_exp_f32_e32 v17, v17
	v_cvt_i32_f32_e32 v27, v30
	v_add_f32_e32 v11, v24, v11
	v_exp_f32_e32 v18, v18
	v_cvt_i32_f32_e32 v28, v32
	v_exp_f32_e32 v11, v11
	v_ldexp_f32 v16, v16, v25
	v_cmp_nlt_f32_e32 vcc, s10, v19
	v_ldexp_f32 v17, v17, v26
	v_ldexp_f32 v18, v18, v27
	v_cndmask_b32_e32 v16, 0, v16, vcc
	v_cmp_nlt_f32_e32 vcc, s10, v20
	v_ldexp_f32 v11, v11, v28
	v_med3_f32 v14, -s6, v14, s6
	v_cndmask_b32_e32 v17, 0, v17, vcc
	v_cmp_nlt_f32_e32 vcc, s10, v6
	v_cvt_f32_f16_sdwa v8, v8 dst_sel:DWORD dst_unused:UNUSED_PAD src0_sel:WORD_1
	v_med3_f32 v15, -s6, v15, s6
	v_cndmask_b32_e32 v18, 0, v18, vcc
	v_cmp_nlt_f32_e32 vcc, s10, v7
	v_min_f32_e32 v8, v8, v10
	s_nop 0
	v_cndmask_b32_e32 v11, 0, v11, vcc
	v_cmp_ngt_f32_e32 vcc, s16, v19
	s_nop 1
	v_cndmask_b32_e32 v16, v1, v16, vcc
	v_cmp_ngt_f32_e32 vcc, s16, v20
	v_add_f32_e32 v16, 1.0, v16
	v_rcp_f32_e32 v21, v16
	v_cndmask_b32_e32 v17, v1, v17, vcc
	v_cmp_ngt_f32_e32 vcc, s16, v6
	v_add_f32_e32 v17, 1.0, v17
	v_rcp_f32_e32 v22, v17
	;; [unrolled: 4-line block ×3, first 2 shown]
	v_cndmask_b32_e32 v11, v1, v11, vcc
	v_add_f32_e32 v11, 1.0, v11
	v_rcp_f32_e32 v17, v11
	v_cvt_f16_f32_e32 v11, v13
	v_mul_f32_e32 v18, v21, v19
	v_mul_f32_e32 v19, v22, v20
	v_pk_mul_f32 v[16:17], v[16:17], v[6:7]
	;;#ASMSTART
	v_pk_mul_f32 v[6:7], v[18:19], v[2:3]
	;;#ASMEND
	v_cvt_f32_f16_e32 v13, v4
	;;#ASMSTART
	v_pk_mul_f32 v[2:3], v[16:17], v[14:15]
	;;#ASMEND
	v_cvt_f32_f16_e32 v14, v11
	v_cvt_f16_f32_e32 v16, v8
	v_cvt_f32_f16_sdwa v4, v4 dst_sel:DWORD dst_unused:UNUSED_PAD src0_sel:WORD_1
	v_mul_f32_e32 v8, 0xbfb8aa3b, v14
	v_fma_mix_f32 v15, v11, s11, -v8 op_sel_hi:[1,0,0]
	v_cmp_nlt_f32_e32 vcc, s10, v14
	v_fma_mix_f32 v11, v11, s17, v15 op_sel_hi:[1,0,0]
	v_rndne_f32_e32 v15, v8
	v_sub_f32_e32 v8, v8, v15
	v_add_f32_e32 v8, v8, v11
	v_cvt_i32_f32_e32 v17, v15
	v_cvt_f32_f16_e32 v15, v16
	v_exp_f32_e32 v11, v8
	v_med3_f32 v8, -s6, v13, s6
	v_mul_f32_e32 v13, 0xbfb8aa3b, v15
	v_ldexp_f32 v11, v11, v17
	v_fma_mix_f32 v17, v16, s11, -v13 op_sel_hi:[1,0,0]
	v_cndmask_b32_e32 v11, 0, v11, vcc
	v_fma_mix_f32 v16, v16, s17, v17 op_sel_hi:[1,0,0]
	v_rndne_f32_e32 v17, v13
	v_sub_f32_e32 v13, v13, v17
	v_add_f32_e32 v13, v13, v16
	v_exp_f32_e32 v13, v13
	v_cvt_i32_f32_e32 v17, v17
	v_cmp_ngt_f32_e32 vcc, s16, v14
	s_nop 1
	v_cndmask_b32_e32 v11, v1, v11, vcc
	v_add_f32_e32 v11, 1.0, v11
	v_rcp_f32_e32 v16, v11
	v_ldexp_f32 v11, v13, v17
	v_cvt_f32_f16_e32 v13, v9
	v_cmp_nlt_f32_e32 vcc, s10, v15
	v_min_f32_e32 v13, v13, v10
	v_cvt_f16_f32_e32 v13, v13
	v_cndmask_b32_e32 v11, 0, v11, vcc
	v_cmp_ngt_f32_e32 vcc, s16, v15
	v_cvt_f32_f16_e32 v18, v13
	s_nop 0
	v_cndmask_b32_e32 v11, v1, v11, vcc
	v_add_f32_e32 v11, 1.0, v11
	v_rcp_f32_e32 v17, v11
	v_cvt_f32_f16_sdwa v11, v9 dst_sel:DWORD dst_unused:UNUSED_PAD src0_sel:WORD_1
	v_med3_f32 v9, -s6, v4, s6
	v_cmp_nlt_f32_e32 vcc, s10, v18
	v_pk_mul_f32 v[14:15], v[16:17], v[14:15]
	v_min_f32_e32 v4, v11, v10
	v_mul_f32_e32 v10, 0xbfb8aa3b, v18
	v_cvt_f16_f32_e32 v4, v4
	v_fma_mix_f32 v11, v13, s11, -v10 op_sel_hi:[1,0,0]
	v_cvt_f32_f16_sdwa v16, v5 dst_sel:DWORD dst_unused:UNUSED_PAD src0_sel:WORD_1
	v_fma_mix_f32 v11, v13, s17, v11 op_sel_hi:[1,0,0]
	v_rndne_f32_e32 v13, v10
	v_sub_f32_e32 v10, v10, v13
	v_add_f32_e32 v10, v10, v11
	v_exp_f32_e32 v10, v10
	v_cvt_i32_f32_e32 v11, v13
	v_cvt_f32_f16_e32 v19, v4
	v_cvt_f32_f16_e32 v13, v5
	v_ldexp_f32 v5, v10, v11
	v_mul_f32_e32 v10, 0xbfb8aa3b, v19
	v_fma_mix_f32 v11, v4, s11, -v10 op_sel_hi:[1,0,0]
	v_cndmask_b32_e32 v5, 0, v5, vcc
	v_fma_mix_f32 v4, v4, s17, v11 op_sel_hi:[1,0,0]
	v_rndne_f32_e32 v11, v10
	v_sub_f32_e32 v10, v10, v11
	v_add_f32_e32 v4, v10, v4
	v_exp_f32_e32 v4, v4
	v_cvt_i32_f32_e32 v11, v11
	v_cmp_ngt_f32_e32 vcc, s16, v18
	v_ldexp_f32 v4, v4, v11
	s_nop 0
	v_cndmask_b32_e32 v5, v1, v5, vcc
	v_cmp_nlt_f32_e32 vcc, s10, v19
	v_add_f32_e32 v5, 1.0, v5
	v_rcp_f32_e32 v10, v5
	v_cndmask_b32_e32 v4, 0, v4, vcc
	v_cmp_ngt_f32_e32 vcc, s16, v19
	s_nop 1
	v_cndmask_b32_e32 v1, v1, v4, vcc
	v_add_f32_e32 v1, 1.0, v1
	v_rcp_f32_e32 v11, v1
	;;#ASMSTART
	v_pk_mul_f32 v[4:5], v[14:15], v[8:9]
	;;#ASMEND
	v_med3_f32 v8, -s6, v13, s6
	v_med3_f32 v9, -s6, v16, s6
	s_ashr_i32 s6, s5, 31
	v_pk_mul_f32 v[10:11], v[10:11], v[18:19]
	v_and_b32_e32 v1, 0x7fffffff, v6
	s_lshr_b32 s6, s6, 29
	;;#ASMSTART
	v_pk_mul_f32 v[8:9], v[10:11], v[8:9]
	;;#ASMEND
	v_and_b32_e32 v10, 0x7fffffff, v7
	v_mov_b32_e32 v11, 0x2edbe6ff
	;;#ASMSTART
	v_max3_f32 v1, v11, v1, v10

	;;#ASMEND
	s_add_i32 s6, s5, s6
	v_and_b32_e32 v10, 0x7fffffff, v2
	v_and_b32_e32 v11, 0x7fffffff, v3
	;;#ASMSTART
	v_max3_f32 v1, v1, v10, v11

	;;#ASMEND
	s_ashr_i32 s6, s6, 3
	v_and_b32_e32 v10, 0x7fffffff, v4
	v_and_b32_e32 v11, 0x7fffffff, v5
	;;#ASMSTART
	v_max3_f32 v1, v1, v10, v11

	;;#ASMEND
	s_cmp_lt_i32 s6, 16
	v_and_b32_e32 v10, 0x7fffffff, v8
	v_and_b32_e32 v11, 0x7fffffff, v9
	;;#ASMSTART
	v_max3_f32 v1, v1, v10, v11

	;;#ASMEND
	s_cbranch_scc1 .LBB517_7
; %bb.2:
	s_cmp_lt_i32 s6, 32
	s_cbranch_scc1 .LBB517_8
; %bb.3:
	s_cmp_lt_i32 s6, 64
	s_cbranch_scc1 .LBB517_9
; %bb.4:
	s_cmp_eq_u32 s6, 64
	v_mov_b32_e32 v10, v1
	s_cbranch_scc0 .LBB517_6
; %bb.5:
	s_nop 0
	v_mov_b32_dpp v10, v1 quad_perm:[1,0,3,2] row_mask:0xf bank_mask:0xf
	v_cmp_gt_f32_e32 vcc, v1, v10
	v_bfrev_b32_e32 v13, 0.5
	s_nop 0
	v_cndmask_b32_e32 v10, v10, v1, vcc
	s_nop 1
	v_mov_b32_dpp v11, v10 quad_perm:[2,3,0,1] row_mask:0xf bank_mask:0xf
	v_cmp_gt_f32_e32 vcc, v10, v11
	s_nop 1
	v_cndmask_b32_e32 v10, v11, v10, vcc
	s_nop 1
	v_mov_b32_dpp v11, v10 row_ror:4 row_mask:0xf bank_mask:0xf
	v_cmp_gt_f32_e32 vcc, v10, v11
	s_nop 1
	v_cndmask_b32_e32 v10, v11, v10, vcc
	s_nop 1
	v_mov_b32_dpp v11, v10 row_ror:8 row_mask:0xf bank_mask:0xf
	v_cmp_gt_f32_e32 vcc, v10, v11
	s_nop 1
	v_cndmask_b32_e32 v10, v11, v10, vcc
	s_nop 1
	v_mov_b32_dpp v11, v10 row_bcast:15 row_mask:0xf bank_mask:0xf
	v_cmp_gt_f32_e32 vcc, v10, v11
	s_nop 1
	v_cndmask_b32_e32 v10, v11, v10, vcc
	s_nop 1
	v_mov_b32_dpp v11, v10 row_bcast:31 row_mask:0xf bank_mask:0xf
	v_cmp_gt_f32_e32 vcc, v10, v11
	s_nop 1
	v_cndmask_b32_e32 v10, v11, v10, vcc
	v_mbcnt_lo_u32_b32 v11, -1, 0
	v_mbcnt_hi_u32_b32 v11, -1, v11
	v_lshl_or_b32 v11, v11, 2, v13
	ds_bpermute_b32 v10, v11, v10
.LBB517_6:
	s_cbranch_execz .LBB517_10
	s_branch .LBB517_12
.LBB517_7:
                                        ; implicit-def: $vgpr10
	s_branch .LBB517_16
.LBB517_8:
                                        ; implicit-def: $vgpr10
	s_branch .LBB517_13
.LBB517_9:
                                        ; implicit-def: $vgpr10
.LBB517_10:
	s_cmp_eq_u32 s6, 32
	s_waitcnt lgkmcnt(0)
	v_mov_b32_e32 v10, v1
	s_cbranch_scc0 .LBB517_12
; %bb.11:
	s_nop 0
	v_mov_b32_dpp v10, v1 quad_perm:[1,0,3,2] row_mask:0xf bank_mask:0xf
	v_cmp_gt_f32_e32 vcc, v1, v10
	v_mov_b32_e32 v13, 0x7c
	s_nop 0
	v_cndmask_b32_e32 v10, v10, v1, vcc
	s_nop 1
	v_mov_b32_dpp v11, v10 quad_perm:[2,3,0,1] row_mask:0xf bank_mask:0xf
	v_cmp_gt_f32_e32 vcc, v10, v11
	s_nop 1
	v_cndmask_b32_e32 v10, v11, v10, vcc
	s_nop 1
	v_mov_b32_dpp v11, v10 row_half_mirror row_mask:0xf bank_mask:0xf
	v_cmp_gt_f32_e32 vcc, v10, v11
	s_nop 1
	v_cndmask_b32_e32 v10, v11, v10, vcc
	s_nop 1
	v_mov_b32_dpp v11, v10 row_mirror row_mask:0xf bank_mask:0xf
	v_cmp_gt_f32_e32 vcc, v10, v11
	s_nop 1
	v_cndmask_b32_e32 v10, v11, v10, vcc
	s_nop 1
	v_mov_b32_dpp v11, v10 row_bcast:15 row_mask:0xa bank_mask:0xf
	v_cmp_gt_f32_e32 vcc, v10, v11
	s_nop 1
	v_cndmask_b32_e32 v10, v11, v10, vcc
	v_mbcnt_lo_u32_b32 v11, -1, 0
	v_mbcnt_hi_u32_b32 v11, -1, v11
	v_lshl_or_b32 v11, v11, 2, v13
	ds_bpermute_b32 v10, v11, v10
.LBB517_12:
	s_cbranch_execnz .LBB517_15
.LBB517_13:
	s_cmp_eq_u32 s6, 16
	s_waitcnt lgkmcnt(0)
	v_mov_b32_e32 v10, v1
	s_cbranch_scc0 .LBB517_15
; %bb.14:
	s_nop 0
	v_mov_b32_dpp v10, v1 quad_perm:[1,0,3,2] row_mask:0xf bank_mask:0xf
	v_cmp_gt_f32_e32 vcc, v1, v10
	s_nop 1
	v_cndmask_b32_e32 v10, v10, v1, vcc
	s_nop 1
	v_mov_b32_dpp v11, v10 quad_perm:[2,3,0,1] row_mask:0xf bank_mask:0xf
	v_cmp_gt_f32_e32 vcc, v10, v11
	s_nop 1
	v_cndmask_b32_e32 v10, v11, v10, vcc
	s_nop 1
	v_mov_b32_dpp v11, v10 row_half_mirror row_mask:0xf bank_mask:0xf
	v_cmp_gt_f32_e32 vcc, v10, v11
	s_nop 1
	v_cndmask_b32_e32 v10, v11, v10, vcc
	s_nop 1
	v_mov_b32_dpp v11, v10 row_mirror row_mask:0xf bank_mask:0xf
	v_cmp_gt_f32_e32 vcc, v10, v11
	s_nop 1
	v_cndmask_b32_e32 v10, v11, v10, vcc
.LBB517_15:
	s_cbranch_execnz .LBB517_29
.LBB517_16:
	s_cmp_lt_i32 s6, 4
	s_cbranch_scc1 .LBB517_20
; %bb.17:
	s_cmp_lt_i32 s6, 8
	s_cbranch_scc1 .LBB517_21
; %bb.18:
	s_cmp_eq_u32 s6, 8
	s_waitcnt lgkmcnt(0)
	v_mov_b32_e32 v10, v1
	s_cbranch_scc0 .LBB517_22
; %bb.19:
	s_nop 0
	v_mov_b32_dpp v10, v1 quad_perm:[1,0,3,2] row_mask:0xf bank_mask:0xf
	v_cmp_gt_f32_e32 vcc, v1, v10
	s_nop 1
	v_cndmask_b32_e32 v10, v10, v1, vcc
	s_nop 1
	v_mov_b32_dpp v11, v10 quad_perm:[2,3,0,1] row_mask:0xf bank_mask:0xf
	v_cmp_gt_f32_e32 vcc, v10, v11
	s_nop 1
	v_cndmask_b32_e32 v10, v11, v10, vcc
	s_nop 1
	v_mov_b32_dpp v11, v10 row_half_mirror row_mask:0xf bank_mask:0xf
	v_cmp_gt_f32_e32 vcc, v10, v11
	s_nop 1
	v_cndmask_b32_e32 v10, v11, v10, vcc
	s_cbranch_execz .LBB517_23
	s_branch .LBB517_25
.LBB517_20:
                                        ; implicit-def: $vgpr10
	s_branch .LBB517_26
.LBB517_21:
                                        ; implicit-def: $vgpr10
	s_branch .LBB517_23
.LBB517_22:
	s_cbranch_execnz .LBB517_25
.LBB517_23:
	s_cmp_eq_u32 s6, 4
	s_waitcnt lgkmcnt(0)
	v_mov_b32_e32 v10, v1
	s_cbranch_scc0 .LBB517_25
; %bb.24:
	s_nop 0
	v_mov_b32_dpp v10, v1 quad_perm:[1,0,3,2] row_mask:0xf bank_mask:0xf
	v_cmp_gt_f32_e32 vcc, v1, v10
	s_nop 1
	v_cndmask_b32_e32 v10, v10, v1, vcc
	s_nop 1
	v_mov_b32_dpp v11, v10 quad_perm:[2,3,0,1] row_mask:0xf bank_mask:0xf
	v_cmp_gt_f32_e32 vcc, v10, v11
	s_nop 1
	v_cndmask_b32_e32 v10, v11, v10, vcc
.LBB517_25:
	s_cbranch_execnz .LBB517_29
.LBB517_26:
	s_cmp_lg_u32 s6, 2
	s_cbranch_scc1 .LBB517_28
; %bb.27:
	s_waitcnt lgkmcnt(0)
	v_mov_b32_dpp v10, v1 quad_perm:[1,0,3,2] row_mask:0xf bank_mask:0xf
	v_cmp_gt_f32_e32 vcc, v1, v10
	s_nop 1
	v_cndmask_b32_e32 v1, v10, v1, vcc
.LBB517_28:
	s_waitcnt lgkmcnt(0)
	v_mov_b32_e32 v10, v1
.LBB517_29:
	s_abs_i32 s10, s6
	v_cvt_f32_u32_e32 v1, s10
	s_sub_i32 s16, 0, s10
	s_waitcnt lgkmcnt(0)
	v_mul_f32_e32 v13, 0x3b888889, v10
	s_ashr_i32 s11, s6, 31
	v_rcp_iflag_f32_e32 v1, v1
	s_nop 0
	v_mul_f32_e32 v1, 0x4f7ffffe, v1
	v_cvt_u32_f32_e32 v1, v1
	v_mul_lo_u32 v10, s16, v1
	v_mul_hi_u32 v10, v1, v10
	v_add_u32_e32 v1, v1, v10
	v_mul_hi_u32 v1, v0, v1
	v_mul_lo_u32 v10, v1, s10
	v_sub_u32_e32 v10, v0, v10
	v_add_u32_e32 v11, 1, v1
	v_cmp_le_u32_e32 vcc, s10, v10
	s_nop 1
	v_cndmask_b32_e32 v1, v1, v11, vcc
	v_subrev_u32_e32 v11, s10, v10
	v_cndmask_b32_e32 v10, v10, v11, vcc
	v_add_u32_e32 v11, 1, v1
	v_cmp_le_u32_e32 vcc, s10, v10
	s_nop 1
	v_cndmask_b32_e32 v1, v1, v11, vcc
	v_xor_b32_e32 v1, s11, v1
	v_subrev_u32_e32 v10, s11, v1
	v_mul_lo_u32 v1, v10, s6
	v_sub_u32_e32 v0, v0, v1
	v_cmp_eq_u32_e32 vcc, 0, v0
	s_and_saveexec_b64 s[10:11], vcc
	s_cbranch_execz .LBB517_35
; %bb.30:
	s_bitcmp0_b32 s7, 0
	s_cbranch_scc0 .LBB517_32
; %bb.31:
	s_abs_i32 s6, s5
	v_cvt_f32_u32_e32 v0, s6
	s_sub_i32 s16, 0, s6
	s_abs_i32 s7, s12
	s_xor_b32 s5, s12, s5
	v_rcp_iflag_f32_e32 v0, v0
	s_ashr_i32 s5, s5, 31
	v_ashrrev_i32_e32 v11, 31, v10
	v_mov_b32_e32 v1, s2
	v_mul_f32_e32 v0, 0x4f7ffffe, v0
	v_cvt_u32_f32_e32 v0, v0
	s_nop 0
	v_readfirstlane_b32 s17, v0
	s_mul_i32 s16, s16, s17
	s_mul_hi_u32 s16, s17, s16
	s_add_i32 s17, s17, s16
	s_mul_hi_u32 s16, s7, s17
	s_mul_i32 s17, s16, s6
	s_sub_i32 s7, s7, s17
	s_add_i32 s18, s16, 1
	s_sub_i32 s17, s7, s6
	s_cmp_ge_u32 s7, s6
	s_cselect_b32 s16, s18, s16
	s_cselect_b32 s7, s17, s7
	s_add_i32 s17, s16, 1
	s_cmp_ge_u32 s7, s6
	s_cselect_b32 s6, s17, s16
	s_xor_b32 s6, s6, s5
	s_sub_i32 s5, s6, s5
	s_ashr_i32 s6, s5, 31
	s_mul_i32 s16, s6, s2
	v_mad_u64_u32 v[0:1], s[6:7], s5, v1, v[10:11]
	v_add_u32_e32 v1, s16, v1
	s_cbranch_execz .LBB517_33
	s_branch .LBB517_34
.LBB517_32:
                                        ; implicit-def: $vgpr0_vgpr1
.LBB517_33:
	s_load_dword s0, s[0:1], 0x28
	v_mov_b32_e32 v1, 0
	s_waitcnt lgkmcnt(0)
	v_mul_lo_u32 v0, s0, v10
	v_lshl_add_u64 v[0:1], v[0:1], 0, s[2:3]
.LBB517_34:
	v_lshl_add_u64 v[0:1], v[0:1], 2, s[14:15]
	global_store_dword v[0:1], v13, off
.LBB517_35:
	s_or_b64 exec, exec, s[10:11]
	s_add_i32 s0, s4, 3
	s_ashr_i32 s1, s0, 31
	s_lshr_b32 s1, s1, 30
	s_add_i32 s0, s0, s1
	s_and_b32 s6, s0, -4
	s_mul_i32 s0, s13, s2
	s_mul_hi_u32 s1, s12, s2
	s_add_i32 s1, s1, s0
	s_mul_i32 s0, s12, s2
	s_add_u32 s4, s8, s0
	;;#ASMSTART
	v_rcp_f32 v0, v13
	;;#ASMEND
	s_addc_u32 s0, s9, s1
	v_mov_b32_e32 v1, v0
	;;#ASMSTART
	v_pk_mul_f32 v[6:7], v[6:7], v[0:1]
	;;#ASMEND
	v_mov_b32_e32 v10, 0xc3700000
	v_mov_b32_e32 v11, 0x43700000
	;;#ASMSTART
	v_med3_f32 v6, v6, v10, v11
v_med3_f32 v7, v7, v10, v11
v_cvt_pk_fp8_f32 v13, v6, v7
	;;#ASMEND
	;;#ASMSTART
	v_pk_mul_f32 v[2:3], v[2:3], v[0:1]
	;;#ASMEND
	s_and_b32 s5, s0, 0xffff
	;;#ASMSTART
	v_med3_f32 v2, v2, v10, v11
v_med3_f32 v3, v3, v10, v11
v_cvt_pk_fp8_f32 v6, v2, v3
	;;#ASMEND
	s_mov_b32 s0, 0x5040100
	v_perm_b32 v3, v6, v13, s0
	s_movk_i32 s0, 0xff
	v_and_b32_e32 v2, 0xffffff00, v6
	v_and_b32_sdwa v6, v3, s0 dst_sel:DWORD dst_unused:UNUSED_PAD src0_sel:WORD_1 src1_sel:DWORD
	s_mov_b32 s1, 0xffff
	v_or_b32_sdwa v2, v6, v2 dst_sel:WORD_1 dst_unused:UNUSED_PAD src0_sel:DWORD src1_sel:DWORD
	;;#ASMSTART
	v_pk_mul_f32 v[4:5], v[4:5], v[0:1]
	;;#ASMEND
	s_mov_b32 s7, 0x20000
	v_and_or_b32 v2, v3, s1, v2
	v_mov_b32_e32 v3, v5
	;;#ASMSTART
	v_med3_f32 v4, v4, v10, v11
v_med3_f32 v3, v3, v10, v11
v_cvt_pk_fp8_f32 v5, v4, v3
	;;#ASMEND
	;;#ASMSTART
	v_pk_mul_f32 v[0:1], v[8:9], v[0:1]
	;;#ASMEND
	s_nop 0
	;;#ASMSTART
	v_med3_f32 v0, v0, v10, v11
v_med3_f32 v1, v1, v10, v11
v_cvt_pk_fp8_f32 v3, v0, v1
	;;#ASMEND
	s_nop 0
	v_lshlrev_b32_e32 v0, 16, v3
	v_and_or_b32 v3, v5, s1, v0
	buffer_store_dwordx2 v[2:3], v12, s[4:7], 0 offen
	;;#ASMSTART
	s_nop 0
	;;#ASMEND
.LBB517_36:
	s_endpgm
	.section	.rodata,"a",@progbits
	.p2align	6, 0x0
	.amdhsa_kernel _ZN5aiter24act_and_mul_quant_kernelIDF16_DB8_TnPFfRKT_EXadL_ZNS_11silu_kernelIDF16_EEfS4_EELi64ELi8ELb1EEEvPT0_PS3_Pfiifb
		.amdhsa_group_segment_fixed_size 0
		.amdhsa_private_segment_fixed_size 0
		.amdhsa_kernarg_size 296
		.amdhsa_user_sgpr_count 2
		.amdhsa_user_sgpr_dispatch_ptr 0
		.amdhsa_user_sgpr_queue_ptr 0
		.amdhsa_user_sgpr_kernarg_segment_ptr 1
		.amdhsa_user_sgpr_dispatch_id 0
		.amdhsa_user_sgpr_kernarg_preload_length 0
		.amdhsa_user_sgpr_kernarg_preload_offset 0
		.amdhsa_user_sgpr_private_segment_size 0
		.amdhsa_uses_dynamic_stack 0
		.amdhsa_enable_private_segment 0
		.amdhsa_system_sgpr_workgroup_id_x 1
		.amdhsa_system_sgpr_workgroup_id_y 0
		.amdhsa_system_sgpr_workgroup_id_z 0
		.amdhsa_system_sgpr_workgroup_info 0
		.amdhsa_system_vgpr_workitem_id 0
		.amdhsa_next_free_vgpr 33
		.amdhsa_next_free_sgpr 24
		.amdhsa_accum_offset 36
		.amdhsa_reserve_vcc 1
		.amdhsa_float_round_mode_32 0
		.amdhsa_float_round_mode_16_64 0
		.amdhsa_float_denorm_mode_32 3
		.amdhsa_float_denorm_mode_16_64 3
		.amdhsa_dx10_clamp 1
		.amdhsa_ieee_mode 1
		.amdhsa_fp16_overflow 0
		.amdhsa_tg_split 0
		.amdhsa_exception_fp_ieee_invalid_op 0
		.amdhsa_exception_fp_denorm_src 0
		.amdhsa_exception_fp_ieee_div_zero 0
		.amdhsa_exception_fp_ieee_overflow 0
		.amdhsa_exception_fp_ieee_underflow 0
		.amdhsa_exception_fp_ieee_inexact 0
		.amdhsa_exception_int_div_zero 0
	.end_amdhsa_kernel
	.section	.text._ZN5aiter24act_and_mul_quant_kernelIDF16_DB8_TnPFfRKT_EXadL_ZNS_11silu_kernelIDF16_EEfS4_EELi64ELi8ELb1EEEvPT0_PS3_Pfiifb,"axG",@progbits,_ZN5aiter24act_and_mul_quant_kernelIDF16_DB8_TnPFfRKT_EXadL_ZNS_11silu_kernelIDF16_EEfS4_EELi64ELi8ELb1EEEvPT0_PS3_Pfiifb,comdat
.Lfunc_end517:
	.size	_ZN5aiter24act_and_mul_quant_kernelIDF16_DB8_TnPFfRKT_EXadL_ZNS_11silu_kernelIDF16_EEfS4_EELi64ELi8ELb1EEEvPT0_PS3_Pfiifb, .Lfunc_end517-_ZN5aiter24act_and_mul_quant_kernelIDF16_DB8_TnPFfRKT_EXadL_ZNS_11silu_kernelIDF16_EEfS4_EELi64ELi8ELb1EEEvPT0_PS3_Pfiifb
                                        ; -- End function
	.section	.AMDGPU.csdata,"",@progbits
; Kernel info:
; codeLenInByte = 2740
; NumSgprs: 30
; NumVgprs: 33
; NumAgprs: 0
; TotalNumVgprs: 33
; ScratchSize: 0
; MemoryBound: 0
; FloatMode: 240
; IeeeMode: 1
; LDSByteSize: 0 bytes/workgroup (compile time only)
; SGPRBlocks: 3
; VGPRBlocks: 4
; NumSGPRsForWavesPerEU: 30
; NumVGPRsForWavesPerEU: 33
; AccumOffset: 36
; Occupancy: 8
; WaveLimiterHint : 0
; COMPUTE_PGM_RSRC2:SCRATCH_EN: 0
; COMPUTE_PGM_RSRC2:USER_SGPR: 2
; COMPUTE_PGM_RSRC2:TRAP_HANDLER: 0
; COMPUTE_PGM_RSRC2:TGID_X_EN: 1
; COMPUTE_PGM_RSRC2:TGID_Y_EN: 0
; COMPUTE_PGM_RSRC2:TGID_Z_EN: 0
; COMPUTE_PGM_RSRC2:TIDIG_COMP_CNT: 0
; COMPUTE_PGM_RSRC3_GFX90A:ACCUM_OFFSET: 8
; COMPUTE_PGM_RSRC3_GFX90A:TG_SPLIT: 0
	.section	.text._ZN5aiter24act_and_mul_quant_kernelItDB8_TnPFfRKT_EXadL_ZNS_11silu_kernelItEEfS4_EELi64ELi8ELb1EEEvPT0_PS3_Pfiifb,"axG",@progbits,_ZN5aiter24act_and_mul_quant_kernelItDB8_TnPFfRKT_EXadL_ZNS_11silu_kernelItEEfS4_EELi64ELi8ELb1EEEvPT0_PS3_Pfiifb,comdat
	.protected	_ZN5aiter24act_and_mul_quant_kernelItDB8_TnPFfRKT_EXadL_ZNS_11silu_kernelItEEfS4_EELi64ELi8ELb1EEEvPT0_PS3_Pfiifb ; -- Begin function _ZN5aiter24act_and_mul_quant_kernelItDB8_TnPFfRKT_EXadL_ZNS_11silu_kernelItEEfS4_EELi64ELi8ELb1EEEvPT0_PS3_Pfiifb
	.globl	_ZN5aiter24act_and_mul_quant_kernelItDB8_TnPFfRKT_EXadL_ZNS_11silu_kernelItEEfS4_EELi64ELi8ELb1EEEvPT0_PS3_Pfiifb
	.p2align	8
	.type	_ZN5aiter24act_and_mul_quant_kernelItDB8_TnPFfRKT_EXadL_ZNS_11silu_kernelItEEfS4_EELi64ELi8ELb1EEEvPT0_PS3_Pfiifb,@function
_ZN5aiter24act_and_mul_quant_kernelItDB8_TnPFfRKT_EXadL_ZNS_11silu_kernelItEEfS4_EELi64ELi8ELb1EEEvPT0_PS3_Pfiifb: ; @_ZN5aiter24act_and_mul_quant_kernelItDB8_TnPFfRKT_EXadL_ZNS_11silu_kernelItEEfS4_EELi64ELi8ELb1EEEvPT0_PS3_Pfiifb
; %bb.0:
	s_load_dwordx4 s[4:7], s[0:1], 0x18
	v_lshlrev_b32_e32 v12, 3, v0
	s_waitcnt lgkmcnt(0)
	v_cmp_gt_i32_e32 vcc, s4, v12
	s_and_saveexec_b64 s[8:9], vcc
	s_cbranch_execz .LBB518_36
; %bb.1:
	s_load_dwordx4 s[8:11], s[0:1], 0x0
	s_load_dwordx2 s[14:15], s[0:1], 0x10
	s_ashr_i32 s13, s4, 31
	s_mul_hi_u32 s3, s2, s4
	s_mul_i32 s16, s2, s13
	s_add_i32 s17, s3, s16
	s_mul_i32 s16, s2, s4
	s_lshl_b64 s[16:17], s[16:17], 2
	s_mov_b32 s12, s4
	s_waitcnt lgkmcnt(0)
	s_add_u32 s16, s10, s16
	s_addc_u32 s3, s11, s17
	s_lshl_b64 s[10:11], s[12:13], 1
	s_add_u32 s20, s16, s10
	s_addc_u32 s10, s3, s11
	s_lshl_b32 s11, s4, 1
	s_add_i32 s11, s11, 2
	s_and_b32 s22, s11, -4
	s_mov_b32 s23, 0x20000
	s_and_b32 s21, s10, 0xffff
	s_and_b32 s17, s3, 0xffff
	s_mov_b32 s18, s22
	v_lshlrev_b32_e32 v1, 4, v0
	s_mov_b32 s19, s23
	buffer_load_dwordx4 v[2:5], v1, s[20:23], 0 offen sc0 nt
	buffer_load_dwordx4 v[6:9], v1, s[16:19], 0 offen sc0 nt
	v_max_f32_e64 v13, s6, s6
	s_mov_b32 s16, 0xbfb8aa3b
	s_mov_b32 s10, 0x42ce8ed0
	;; [unrolled: 1-line block ×3, first 2 shown]
	v_mov_b32_e32 v1, 0x7f800000
	s_mov_b32 s3, 0
	s_waitcnt vmcnt(1)
	v_lshlrev_b32_e32 v10, 16, v2
	v_and_b32_e32 v2, 0xffff0000, v2
	s_waitcnt vmcnt(0)
	v_and_b32_e32 v11, 0xffff0000, v6
	v_lshlrev_b32_e32 v14, 16, v6
	v_and_b32_e32 v15, 0xffff0000, v7
	v_lshlrev_b32_e32 v16, 16, v7
	v_med3_f32 v6, -s6, v10, s6
	v_med3_f32 v7, -s6, v2, s6
	v_max_f32_e32 v2, v14, v14
	v_max_f32_e32 v10, v11, v11
	;; [unrolled: 1-line block ×3, first 2 shown]
	v_min_f32_e32 v2, v2, v13
	v_min_f32_e32 v10, v10, v13
	v_max_f32_e32 v14, v15, v15
	v_min_f32_e32 v16, v11, v13
	v_and_b32_e32 v11, 0xffff0000, v10
	v_and_b32_e32 v10, 0xffff0000, v2
	v_min_f32_e32 v14, v14, v13
	v_mul_f32_e32 v2, 0xbfb8aa3b, v10
	v_and_b32_e32 v15, 0xffff0000, v14
	v_and_b32_e32 v14, 0xffff0000, v16
	v_mul_f32_e32 v16, 0xbfb8aa3b, v11
	v_fma_f32 v19, v10, s16, -v2
	v_rndne_f32_e32 v21, v2
	v_mul_f32_e32 v17, 0xbfb8aa3b, v14
	v_fma_f32 v22, v11, s16, -v16
	v_rndne_f32_e32 v23, v16
	v_fmac_f32_e32 v19, 0xb2a5705f, v10
	v_sub_f32_e32 v2, v2, v21
	v_mul_f32_e32 v18, 0xbfb8aa3b, v15
	v_fma_f32 v24, v14, s16, -v17
	v_rndne_f32_e32 v25, v17
	v_fmac_f32_e32 v22, 0xb2a5705f, v11
	v_sub_f32_e32 v16, v16, v23
	v_add_f32_e32 v2, v2, v19
	v_fma_f32 v26, v15, s16, -v18
	v_rndne_f32_e32 v27, v18
	v_cvt_i32_f32_e32 v21, v21
	v_fmac_f32_e32 v24, 0xb2a5705f, v14
	v_sub_f32_e32 v17, v17, v25
	v_add_f32_e32 v16, v16, v22
	v_exp_f32_e32 v2, v2
	v_cvt_i32_f32_e32 v23, v23
	v_fmac_f32_e32 v26, 0xb2a5705f, v15
	v_sub_f32_e32 v18, v18, v27
	v_add_f32_e32 v17, v17, v24
	v_exp_f32_e32 v16, v16
	v_cvt_i32_f32_e32 v25, v25
	v_add_f32_e32 v18, v18, v26
	v_exp_f32_e32 v17, v17
	v_cvt_i32_f32_e32 v27, v27
	v_exp_f32_e32 v18, v18
	v_ldexp_f32 v2, v2, v21
	v_cmp_nlt_f32_e32 vcc, s10, v10
	v_ldexp_f32 v16, v16, v23
	v_ldexp_f32 v17, v17, v25
	v_cndmask_b32_e32 v2, 0, v2, vcc
	v_cmp_nlt_f32_e32 vcc, s10, v11
	v_ldexp_f32 v18, v18, v27
	v_lshlrev_b32_e32 v20, 16, v3
	v_cndmask_b32_e32 v16, 0, v16, vcc
	v_cmp_nlt_f32_e32 vcc, s10, v14
	v_and_b32_e32 v3, 0xffff0000, v3
	v_med3_f32 v3, -s6, v3, s6
	v_cndmask_b32_e32 v17, 0, v17, vcc
	v_cmp_nlt_f32_e32 vcc, s10, v15
	s_nop 1
	v_cndmask_b32_e32 v18, 0, v18, vcc
	v_cmp_ngt_f32_e32 vcc, s11, v10
	s_nop 1
	v_cndmask_b32_e32 v2, v1, v2, vcc
	v_cmp_ngt_f32_e32 vcc, s11, v11
	v_add_f32_e32 v2, 1.0, v2
	s_nop 0
	v_cndmask_b32_e32 v16, v1, v16, vcc
	v_cmp_ngt_f32_e32 vcc, s11, v14
	v_add_f32_e32 v19, 1.0, v16
	v_rcp_f32_e32 v16, v2
	v_cndmask_b32_e32 v17, v1, v17, vcc
	v_cmp_ngt_f32_e32 vcc, s11, v15
	v_add_f32_e32 v21, 1.0, v17
	v_rcp_f32_e32 v17, v19
	v_cndmask_b32_e32 v18, v1, v18, vcc
	v_add_f32_e32 v2, 1.0, v18
	v_rcp_f32_e32 v18, v21
	v_rcp_f32_e32 v19, v2
	v_pk_mul_f32 v[10:11], v[16:17], v[10:11]
	v_med3_f32 v2, -s6, v20, s6
	;;#ASMSTART
	v_pk_mul_f32 v[6:7], v[10:11], v[6:7]
	;;#ASMEND
	v_pk_mul_f32 v[10:11], v[18:19], v[14:15]
	v_lshlrev_b32_e32 v16, 16, v4
	;;#ASMSTART
	v_pk_mul_f32 v[2:3], v[10:11], v[2:3]
	;;#ASMEND
	v_and_b32_e32 v11, 0xffff0000, v8
	v_lshlrev_b32_e32 v8, 16, v8
	v_max_f32_e32 v8, v8, v8
	v_min_f32_e32 v8, v8, v13
	v_and_b32_e32 v10, 0xffff0000, v8
	v_mul_f32_e32 v8, 0xbfb8aa3b, v10
	v_fma_f32 v14, v10, s16, -v8
	v_rndne_f32_e32 v15, v8
	v_fmac_f32_e32 v14, 0xb2a5705f, v10
	v_sub_f32_e32 v8, v8, v15
	v_add_f32_e32 v8, v8, v14
	v_exp_f32_e32 v8, v8
	v_cvt_i32_f32_e32 v14, v15
	v_max_f32_e32 v11, v11, v11
	v_min_f32_e32 v11, v11, v13
	v_and_b32_e32 v11, 0xffff0000, v11
	v_ldexp_f32 v8, v8, v14
	v_mul_f32_e32 v14, 0xbfb8aa3b, v11
	v_fma_f32 v15, v11, s16, -v14
	v_rndne_f32_e32 v17, v14
	v_fmac_f32_e32 v15, 0xb2a5705f, v11
	v_sub_f32_e32 v14, v14, v17
	v_add_f32_e32 v14, v14, v15
	v_cmp_nlt_f32_e32 vcc, s10, v10
	v_exp_f32_e32 v15, v14
	v_cvt_i32_f32_e32 v17, v17
	v_cndmask_b32_e32 v8, 0, v8, vcc
	v_cmp_ngt_f32_e32 vcc, s11, v10
	v_and_b32_e32 v4, 0xffff0000, v4
	v_med3_f32 v16, -s6, v16, s6
	v_cndmask_b32_e32 v8, v1, v8, vcc
	v_add_f32_e32 v8, 1.0, v8
	v_rcp_f32_e32 v14, v8
	v_ldexp_f32 v8, v15, v17
	v_cmp_nlt_f32_e32 vcc, s10, v11
	v_med3_f32 v17, -s6, v4, s6
	v_lshlrev_b32_e32 v4, 16, v5
	v_cndmask_b32_e32 v8, 0, v8, vcc
	v_cmp_ngt_f32_e32 vcc, s11, v11
	v_med3_f32 v4, -s6, v4, s6
	s_nop 0
	v_cndmask_b32_e32 v8, v1, v8, vcc
	v_add_f32_e32 v8, 1.0, v8
	v_rcp_f32_e32 v15, v8
	v_lshlrev_b32_e32 v8, 16, v9
	v_max_f32_e32 v8, v8, v8
	v_min_f32_e32 v8, v8, v13
	v_and_b32_e32 v8, 0xffff0000, v8
	v_pk_mul_f32 v[10:11], v[14:15], v[10:11]
	v_and_b32_e32 v14, 0xffff0000, v9
	v_mul_f32_e32 v9, 0xbfb8aa3b, v8
	;;#ASMSTART
	v_pk_mul_f32 v[10:11], v[10:11], v[16:17]
	;;#ASMEND
	v_fma_f32 v15, v8, s16, -v9
	v_rndne_f32_e32 v16, v9
	v_fmac_f32_e32 v15, 0xb2a5705f, v8
	v_sub_f32_e32 v9, v9, v16
	v_add_f32_e32 v9, v9, v15
	v_exp_f32_e32 v15, v9
	v_cvt_i32_f32_e32 v16, v16
	v_max_f32_e32 v9, v14, v14
	v_min_f32_e32 v9, v9, v13
	v_and_b32_e32 v9, 0xffff0000, v9
	v_mul_f32_e32 v14, 0xbfb8aa3b, v9
	v_ldexp_f32 v13, v15, v16
	v_fma_f32 v15, v9, s16, -v14
	v_rndne_f32_e32 v16, v14
	v_fmac_f32_e32 v15, 0xb2a5705f, v9
	v_sub_f32_e32 v14, v14, v16
	v_add_f32_e32 v14, v14, v15
	v_cmp_nlt_f32_e32 vcc, s10, v8
	v_exp_f32_e32 v15, v14
	v_cvt_i32_f32_e32 v16, v16
	v_cndmask_b32_e32 v13, 0, v13, vcc
	v_cmp_ngt_f32_e32 vcc, s11, v8
	s_nop 1
	v_cndmask_b32_e32 v13, v1, v13, vcc
	v_add_f32_e32 v13, 1.0, v13
	v_rcp_f32_e32 v14, v13
	v_ldexp_f32 v13, v15, v16
	v_cmp_nlt_f32_e32 vcc, s10, v9
	s_nop 1
	v_cndmask_b32_e32 v13, 0, v13, vcc
	v_cmp_ngt_f32_e32 vcc, s11, v9
	s_nop 1
	v_cndmask_b32_e32 v1, v1, v13, vcc
	v_add_f32_e32 v1, 1.0, v1
	v_rcp_f32_e32 v15, v1
	v_and_b32_e32 v1, 0xffff0000, v5
	v_med3_f32 v5, -s6, v1, s6
	s_ashr_i32 s6, s5, 31
	v_pk_mul_f32 v[8:9], v[14:15], v[8:9]
	v_and_b32_e32 v1, 0x7fffffff, v6
	s_lshr_b32 s6, s6, 29
	;;#ASMSTART
	v_pk_mul_f32 v[4:5], v[8:9], v[4:5]
	;;#ASMEND
	v_and_b32_e32 v8, 0x7fffffff, v7
	v_mov_b32_e32 v9, 0x2edbe6ff
	;;#ASMSTART
	v_max3_f32 v1, v9, v1, v8

	;;#ASMEND
	s_add_i32 s6, s5, s6
	v_and_b32_e32 v8, 0x7fffffff, v2
	v_and_b32_e32 v9, 0x7fffffff, v3
	;;#ASMSTART
	v_max3_f32 v1, v1, v8, v9

	;;#ASMEND
	s_ashr_i32 s6, s6, 3
	v_and_b32_e32 v8, 0x7fffffff, v10
	v_and_b32_e32 v9, 0x7fffffff, v11
	;;#ASMSTART
	v_max3_f32 v1, v1, v8, v9

	;;#ASMEND
	s_cmp_lt_i32 s6, 16
	v_and_b32_e32 v8, 0x7fffffff, v4
	v_and_b32_e32 v9, 0x7fffffff, v5
	;;#ASMSTART
	v_max3_f32 v1, v1, v8, v9

	;;#ASMEND
	s_cbranch_scc1 .LBB518_7
; %bb.2:
	s_cmp_lt_i32 s6, 32
	s_cbranch_scc1 .LBB518_8
; %bb.3:
	s_cmp_lt_i32 s6, 64
	s_cbranch_scc1 .LBB518_9
; %bb.4:
	s_cmp_eq_u32 s6, 64
	v_mov_b32_e32 v8, v1
	s_cbranch_scc0 .LBB518_6
; %bb.5:
	s_nop 0
	v_mov_b32_dpp v8, v1 quad_perm:[1,0,3,2] row_mask:0xf bank_mask:0xf
	v_cmp_gt_f32_e32 vcc, v1, v8
	v_bfrev_b32_e32 v13, 0.5
	s_nop 0
	v_cndmask_b32_e32 v8, v8, v1, vcc
	s_nop 1
	v_mov_b32_dpp v9, v8 quad_perm:[2,3,0,1] row_mask:0xf bank_mask:0xf
	v_cmp_gt_f32_e32 vcc, v8, v9
	s_nop 1
	v_cndmask_b32_e32 v8, v9, v8, vcc
	s_nop 1
	v_mov_b32_dpp v9, v8 row_ror:4 row_mask:0xf bank_mask:0xf
	v_cmp_gt_f32_e32 vcc, v8, v9
	s_nop 1
	v_cndmask_b32_e32 v8, v9, v8, vcc
	s_nop 1
	v_mov_b32_dpp v9, v8 row_ror:8 row_mask:0xf bank_mask:0xf
	v_cmp_gt_f32_e32 vcc, v8, v9
	s_nop 1
	v_cndmask_b32_e32 v8, v9, v8, vcc
	s_nop 1
	v_mov_b32_dpp v9, v8 row_bcast:15 row_mask:0xf bank_mask:0xf
	v_cmp_gt_f32_e32 vcc, v8, v9
	s_nop 1
	v_cndmask_b32_e32 v8, v9, v8, vcc
	s_nop 1
	v_mov_b32_dpp v9, v8 row_bcast:31 row_mask:0xf bank_mask:0xf
	v_cmp_gt_f32_e32 vcc, v8, v9
	s_nop 1
	v_cndmask_b32_e32 v8, v9, v8, vcc
	v_mbcnt_lo_u32_b32 v9, -1, 0
	v_mbcnt_hi_u32_b32 v9, -1, v9
	v_lshl_or_b32 v9, v9, 2, v13
	ds_bpermute_b32 v8, v9, v8
.LBB518_6:
	s_cbranch_execz .LBB518_10
	s_branch .LBB518_12
.LBB518_7:
                                        ; implicit-def: $vgpr8
	s_branch .LBB518_16
.LBB518_8:
                                        ; implicit-def: $vgpr8
	s_branch .LBB518_13
.LBB518_9:
                                        ; implicit-def: $vgpr8
.LBB518_10:
	s_cmp_eq_u32 s6, 32
	s_waitcnt lgkmcnt(0)
	v_mov_b32_e32 v8, v1
	s_cbranch_scc0 .LBB518_12
; %bb.11:
	s_nop 0
	v_mov_b32_dpp v8, v1 quad_perm:[1,0,3,2] row_mask:0xf bank_mask:0xf
	v_cmp_gt_f32_e32 vcc, v1, v8
	v_mov_b32_e32 v13, 0x7c
	s_nop 0
	v_cndmask_b32_e32 v8, v8, v1, vcc
	s_nop 1
	v_mov_b32_dpp v9, v8 quad_perm:[2,3,0,1] row_mask:0xf bank_mask:0xf
	v_cmp_gt_f32_e32 vcc, v8, v9
	s_nop 1
	v_cndmask_b32_e32 v8, v9, v8, vcc
	s_nop 1
	v_mov_b32_dpp v9, v8 row_half_mirror row_mask:0xf bank_mask:0xf
	v_cmp_gt_f32_e32 vcc, v8, v9
	s_nop 1
	v_cndmask_b32_e32 v8, v9, v8, vcc
	s_nop 1
	v_mov_b32_dpp v9, v8 row_mirror row_mask:0xf bank_mask:0xf
	v_cmp_gt_f32_e32 vcc, v8, v9
	s_nop 1
	v_cndmask_b32_e32 v8, v9, v8, vcc
	s_nop 1
	v_mov_b32_dpp v9, v8 row_bcast:15 row_mask:0xa bank_mask:0xf
	v_cmp_gt_f32_e32 vcc, v8, v9
	s_nop 1
	v_cndmask_b32_e32 v8, v9, v8, vcc
	v_mbcnt_lo_u32_b32 v9, -1, 0
	v_mbcnt_hi_u32_b32 v9, -1, v9
	v_lshl_or_b32 v9, v9, 2, v13
	ds_bpermute_b32 v8, v9, v8
.LBB518_12:
	s_cbranch_execnz .LBB518_15
.LBB518_13:
	s_cmp_eq_u32 s6, 16
	s_waitcnt lgkmcnt(0)
	v_mov_b32_e32 v8, v1
	s_cbranch_scc0 .LBB518_15
; %bb.14:
	s_nop 0
	v_mov_b32_dpp v8, v1 quad_perm:[1,0,3,2] row_mask:0xf bank_mask:0xf
	v_cmp_gt_f32_e32 vcc, v1, v8
	s_nop 1
	v_cndmask_b32_e32 v8, v8, v1, vcc
	s_nop 1
	v_mov_b32_dpp v9, v8 quad_perm:[2,3,0,1] row_mask:0xf bank_mask:0xf
	v_cmp_gt_f32_e32 vcc, v8, v9
	s_nop 1
	v_cndmask_b32_e32 v8, v9, v8, vcc
	s_nop 1
	v_mov_b32_dpp v9, v8 row_half_mirror row_mask:0xf bank_mask:0xf
	v_cmp_gt_f32_e32 vcc, v8, v9
	s_nop 1
	v_cndmask_b32_e32 v8, v9, v8, vcc
	s_nop 1
	v_mov_b32_dpp v9, v8 row_mirror row_mask:0xf bank_mask:0xf
	v_cmp_gt_f32_e32 vcc, v8, v9
	s_nop 1
	v_cndmask_b32_e32 v8, v9, v8, vcc
.LBB518_15:
	s_cbranch_execnz .LBB518_29
.LBB518_16:
	s_cmp_lt_i32 s6, 4
	s_cbranch_scc1 .LBB518_20
; %bb.17:
	s_cmp_lt_i32 s6, 8
	s_cbranch_scc1 .LBB518_21
; %bb.18:
	s_cmp_eq_u32 s6, 8
	s_waitcnt lgkmcnt(0)
	v_mov_b32_e32 v8, v1
	s_cbranch_scc0 .LBB518_22
; %bb.19:
	s_nop 0
	v_mov_b32_dpp v8, v1 quad_perm:[1,0,3,2] row_mask:0xf bank_mask:0xf
	v_cmp_gt_f32_e32 vcc, v1, v8
	s_nop 1
	v_cndmask_b32_e32 v8, v8, v1, vcc
	s_nop 1
	v_mov_b32_dpp v9, v8 quad_perm:[2,3,0,1] row_mask:0xf bank_mask:0xf
	v_cmp_gt_f32_e32 vcc, v8, v9
	s_nop 1
	v_cndmask_b32_e32 v8, v9, v8, vcc
	s_nop 1
	v_mov_b32_dpp v9, v8 row_half_mirror row_mask:0xf bank_mask:0xf
	v_cmp_gt_f32_e32 vcc, v8, v9
	s_nop 1
	v_cndmask_b32_e32 v8, v9, v8, vcc
	s_cbranch_execz .LBB518_23
	s_branch .LBB518_25
.LBB518_20:
                                        ; implicit-def: $vgpr8
	s_branch .LBB518_26
.LBB518_21:
                                        ; implicit-def: $vgpr8
	s_branch .LBB518_23
.LBB518_22:
	s_cbranch_execnz .LBB518_25
.LBB518_23:
	s_cmp_eq_u32 s6, 4
	s_waitcnt lgkmcnt(0)
	v_mov_b32_e32 v8, v1
	s_cbranch_scc0 .LBB518_25
; %bb.24:
	s_nop 0
	v_mov_b32_dpp v8, v1 quad_perm:[1,0,3,2] row_mask:0xf bank_mask:0xf
	v_cmp_gt_f32_e32 vcc, v1, v8
	s_nop 1
	v_cndmask_b32_e32 v8, v8, v1, vcc
	s_nop 1
	v_mov_b32_dpp v9, v8 quad_perm:[2,3,0,1] row_mask:0xf bank_mask:0xf
	v_cmp_gt_f32_e32 vcc, v8, v9
	s_nop 1
	v_cndmask_b32_e32 v8, v9, v8, vcc
.LBB518_25:
	s_cbranch_execnz .LBB518_29
.LBB518_26:
	s_cmp_lg_u32 s6, 2
	s_cbranch_scc1 .LBB518_28
; %bb.27:
	s_waitcnt lgkmcnt(0)
	v_mov_b32_dpp v8, v1 quad_perm:[1,0,3,2] row_mask:0xf bank_mask:0xf
	v_cmp_gt_f32_e32 vcc, v1, v8
	s_nop 1
	v_cndmask_b32_e32 v1, v8, v1, vcc
.LBB518_28:
	s_waitcnt lgkmcnt(0)
	v_mov_b32_e32 v8, v1
.LBB518_29:
	s_abs_i32 s10, s6
	v_cvt_f32_u32_e32 v1, s10
	s_sub_i32 s16, 0, s10
	s_waitcnt lgkmcnt(0)
	v_mul_f32_e32 v13, 0x3b888889, v8
	s_ashr_i32 s11, s6, 31
	v_rcp_iflag_f32_e32 v1, v1
	s_nop 0
	v_mul_f32_e32 v1, 0x4f7ffffe, v1
	v_cvt_u32_f32_e32 v1, v1
	v_mul_lo_u32 v8, s16, v1
	v_mul_hi_u32 v8, v1, v8
	v_add_u32_e32 v1, v1, v8
	v_mul_hi_u32 v1, v0, v1
	v_mul_lo_u32 v8, v1, s10
	v_sub_u32_e32 v8, v0, v8
	v_add_u32_e32 v9, 1, v1
	v_cmp_le_u32_e32 vcc, s10, v8
	s_nop 1
	v_cndmask_b32_e32 v1, v1, v9, vcc
	v_subrev_u32_e32 v9, s10, v8
	v_cndmask_b32_e32 v8, v8, v9, vcc
	v_add_u32_e32 v9, 1, v1
	v_cmp_le_u32_e32 vcc, s10, v8
	s_nop 1
	v_cndmask_b32_e32 v1, v1, v9, vcc
	v_xor_b32_e32 v1, s11, v1
	v_subrev_u32_e32 v8, s11, v1
	v_mul_lo_u32 v1, v8, s6
	v_sub_u32_e32 v0, v0, v1
	v_cmp_eq_u32_e32 vcc, 0, v0
	s_and_saveexec_b64 s[10:11], vcc
	s_cbranch_execz .LBB518_35
; %bb.30:
	s_bitcmp0_b32 s7, 0
	s_cbranch_scc0 .LBB518_32
; %bb.31:
	s_abs_i32 s6, s5
	v_cvt_f32_u32_e32 v0, s6
	s_sub_i32 s16, 0, s6
	s_abs_i32 s7, s12
	s_xor_b32 s5, s12, s5
	v_rcp_iflag_f32_e32 v0, v0
	s_ashr_i32 s5, s5, 31
	v_ashrrev_i32_e32 v9, 31, v8
	v_mov_b32_e32 v1, s2
	v_mul_f32_e32 v0, 0x4f7ffffe, v0
	v_cvt_u32_f32_e32 v0, v0
	s_nop 0
	v_readfirstlane_b32 s17, v0
	s_mul_i32 s16, s16, s17
	s_mul_hi_u32 s16, s17, s16
	s_add_i32 s17, s17, s16
	s_mul_hi_u32 s16, s7, s17
	s_mul_i32 s17, s16, s6
	s_sub_i32 s7, s7, s17
	s_add_i32 s18, s16, 1
	s_sub_i32 s17, s7, s6
	s_cmp_ge_u32 s7, s6
	s_cselect_b32 s16, s18, s16
	s_cselect_b32 s7, s17, s7
	s_add_i32 s17, s16, 1
	s_cmp_ge_u32 s7, s6
	s_cselect_b32 s6, s17, s16
	s_xor_b32 s6, s6, s5
	s_sub_i32 s5, s6, s5
	s_ashr_i32 s6, s5, 31
	s_mul_i32 s16, s6, s2
	v_mad_u64_u32 v[0:1], s[6:7], s5, v1, v[8:9]
	v_add_u32_e32 v1, s16, v1
	s_cbranch_execz .LBB518_33
	s_branch .LBB518_34
.LBB518_32:
                                        ; implicit-def: $vgpr0_vgpr1
.LBB518_33:
	s_load_dword s0, s[0:1], 0x28
	v_mov_b32_e32 v1, 0
	s_waitcnt lgkmcnt(0)
	v_mul_lo_u32 v0, s0, v8
	v_lshl_add_u64 v[0:1], v[0:1], 0, s[2:3]
.LBB518_34:
	v_lshl_add_u64 v[0:1], v[0:1], 2, s[14:15]
	global_store_dword v[0:1], v13, off
.LBB518_35:
	s_or_b64 exec, exec, s[10:11]
	s_add_i32 s0, s4, 3
	s_ashr_i32 s1, s0, 31
	s_lshr_b32 s1, s1, 30
	s_add_i32 s0, s0, s1
	s_and_b32 s6, s0, -4
	s_mul_i32 s0, s13, s2
	s_mul_hi_u32 s1, s12, s2
	s_add_i32 s1, s1, s0
	s_mul_i32 s0, s12, s2
	s_add_u32 s4, s8, s0
	;;#ASMSTART
	v_rcp_f32 v0, v13
	;;#ASMEND
	s_addc_u32 s0, s9, s1
	v_mov_b32_e32 v1, v0
	;;#ASMSTART
	v_pk_mul_f32 v[6:7], v[6:7], v[0:1]
	;;#ASMEND
	v_mov_b32_e32 v8, 0xc3700000
	v_mov_b32_e32 v9, 0x43700000
	;;#ASMSTART
	v_med3_f32 v6, v6, v8, v9
v_med3_f32 v7, v7, v8, v9
v_cvt_pk_fp8_f32 v13, v6, v7
	;;#ASMEND
	;;#ASMSTART
	v_pk_mul_f32 v[2:3], v[2:3], v[0:1]
	;;#ASMEND
	s_and_b32 s5, s0, 0xffff
	;;#ASMSTART
	v_med3_f32 v2, v2, v8, v9
v_med3_f32 v3, v3, v8, v9
v_cvt_pk_fp8_f32 v6, v2, v3
	;;#ASMEND
	s_mov_b32 s0, 0x5040100
	v_perm_b32 v3, v6, v13, s0
	s_movk_i32 s0, 0xff
	v_and_b32_e32 v2, 0xffffff00, v6
	v_and_b32_sdwa v6, v3, s0 dst_sel:DWORD dst_unused:UNUSED_PAD src0_sel:WORD_1 src1_sel:DWORD
	s_mov_b32 s1, 0xffff
	v_or_b32_sdwa v2, v6, v2 dst_sel:WORD_1 dst_unused:UNUSED_PAD src0_sel:DWORD src1_sel:DWORD
	;;#ASMSTART
	v_pk_mul_f32 v[6:7], v[10:11], v[0:1]
	;;#ASMEND
	s_mov_b32 s7, 0x20000
	v_and_or_b32 v2, v3, s1, v2
	v_mov_b32_e32 v3, v6
	;;#ASMSTART
	v_med3_f32 v3, v3, v8, v9
v_med3_f32 v7, v7, v8, v9
v_cvt_pk_fp8_f32 v6, v3, v7
	;;#ASMEND
	;;#ASMSTART
	v_pk_mul_f32 v[0:1], v[4:5], v[0:1]
	;;#ASMEND
	s_nop 0
	;;#ASMSTART
	v_med3_f32 v0, v0, v8, v9
v_med3_f32 v1, v1, v8, v9
v_cvt_pk_fp8_f32 v3, v0, v1
	;;#ASMEND
	s_nop 0
	v_lshlrev_b32_e32 v0, 16, v3
	v_and_or_b32 v3, v6, s1, v0
	buffer_store_dwordx2 v[2:3], v12, s[4:7], 0 offen
	;;#ASMSTART
	s_nop 0
	;;#ASMEND
.LBB518_36:
	s_endpgm
	.section	.rodata,"a",@progbits
	.p2align	6, 0x0
	.amdhsa_kernel _ZN5aiter24act_and_mul_quant_kernelItDB8_TnPFfRKT_EXadL_ZNS_11silu_kernelItEEfS4_EELi64ELi8ELb1EEEvPT0_PS3_Pfiifb
		.amdhsa_group_segment_fixed_size 0
		.amdhsa_private_segment_fixed_size 0
		.amdhsa_kernarg_size 296
		.amdhsa_user_sgpr_count 2
		.amdhsa_user_sgpr_dispatch_ptr 0
		.amdhsa_user_sgpr_queue_ptr 0
		.amdhsa_user_sgpr_kernarg_segment_ptr 1
		.amdhsa_user_sgpr_dispatch_id 0
		.amdhsa_user_sgpr_kernarg_preload_length 0
		.amdhsa_user_sgpr_kernarg_preload_offset 0
		.amdhsa_user_sgpr_private_segment_size 0
		.amdhsa_uses_dynamic_stack 0
		.amdhsa_enable_private_segment 0
		.amdhsa_system_sgpr_workgroup_id_x 1
		.amdhsa_system_sgpr_workgroup_id_y 0
		.amdhsa_system_sgpr_workgroup_id_z 0
		.amdhsa_system_sgpr_workgroup_info 0
		.amdhsa_system_vgpr_workitem_id 0
		.amdhsa_next_free_vgpr 28
		.amdhsa_next_free_sgpr 24
		.amdhsa_accum_offset 28
		.amdhsa_reserve_vcc 1
		.amdhsa_float_round_mode_32 0
		.amdhsa_float_round_mode_16_64 0
		.amdhsa_float_denorm_mode_32 3
		.amdhsa_float_denorm_mode_16_64 3
		.amdhsa_dx10_clamp 1
		.amdhsa_ieee_mode 1
		.amdhsa_fp16_overflow 0
		.amdhsa_tg_split 0
		.amdhsa_exception_fp_ieee_invalid_op 0
		.amdhsa_exception_fp_denorm_src 0
		.amdhsa_exception_fp_ieee_div_zero 0
		.amdhsa_exception_fp_ieee_overflow 0
		.amdhsa_exception_fp_ieee_underflow 0
		.amdhsa_exception_fp_ieee_inexact 0
		.amdhsa_exception_int_div_zero 0
	.end_amdhsa_kernel
	.section	.text._ZN5aiter24act_and_mul_quant_kernelItDB8_TnPFfRKT_EXadL_ZNS_11silu_kernelItEEfS4_EELi64ELi8ELb1EEEvPT0_PS3_Pfiifb,"axG",@progbits,_ZN5aiter24act_and_mul_quant_kernelItDB8_TnPFfRKT_EXadL_ZNS_11silu_kernelItEEfS4_EELi64ELi8ELb1EEEvPT0_PS3_Pfiifb,comdat
.Lfunc_end518:
	.size	_ZN5aiter24act_and_mul_quant_kernelItDB8_TnPFfRKT_EXadL_ZNS_11silu_kernelItEEfS4_EELi64ELi8ELb1EEEvPT0_PS3_Pfiifb, .Lfunc_end518-_ZN5aiter24act_and_mul_quant_kernelItDB8_TnPFfRKT_EXadL_ZNS_11silu_kernelItEEfS4_EELi64ELi8ELb1EEEvPT0_PS3_Pfiifb
                                        ; -- End function
	.section	.AMDGPU.csdata,"",@progbits
; Kernel info:
; codeLenInByte = 2768
; NumSgprs: 30
; NumVgprs: 28
; NumAgprs: 0
; TotalNumVgprs: 28
; ScratchSize: 0
; MemoryBound: 0
; FloatMode: 240
; IeeeMode: 1
; LDSByteSize: 0 bytes/workgroup (compile time only)
; SGPRBlocks: 3
; VGPRBlocks: 3
; NumSGPRsForWavesPerEU: 30
; NumVGPRsForWavesPerEU: 28
; AccumOffset: 28
; Occupancy: 8
; WaveLimiterHint : 0
; COMPUTE_PGM_RSRC2:SCRATCH_EN: 0
; COMPUTE_PGM_RSRC2:USER_SGPR: 2
; COMPUTE_PGM_RSRC2:TRAP_HANDLER: 0
; COMPUTE_PGM_RSRC2:TGID_X_EN: 1
; COMPUTE_PGM_RSRC2:TGID_Y_EN: 0
; COMPUTE_PGM_RSRC2:TGID_Z_EN: 0
; COMPUTE_PGM_RSRC2:TIDIG_COMP_CNT: 0
; COMPUTE_PGM_RSRC3_GFX90A:ACCUM_OFFSET: 6
; COMPUTE_PGM_RSRC3_GFX90A:TG_SPLIT: 0
	.section	.text._ZN5aiter24act_and_mul_quant_kernelIDF16_DB8_TnPFfRKT_EXadL_ZNS_11silu_kernelIDF16_EEfS4_EELi128ELi8ELb1EEEvPT0_PS3_Pfiifb,"axG",@progbits,_ZN5aiter24act_and_mul_quant_kernelIDF16_DB8_TnPFfRKT_EXadL_ZNS_11silu_kernelIDF16_EEfS4_EELi128ELi8ELb1EEEvPT0_PS3_Pfiifb,comdat
	.protected	_ZN5aiter24act_and_mul_quant_kernelIDF16_DB8_TnPFfRKT_EXadL_ZNS_11silu_kernelIDF16_EEfS4_EELi128ELi8ELb1EEEvPT0_PS3_Pfiifb ; -- Begin function _ZN5aiter24act_and_mul_quant_kernelIDF16_DB8_TnPFfRKT_EXadL_ZNS_11silu_kernelIDF16_EEfS4_EELi128ELi8ELb1EEEvPT0_PS3_Pfiifb
	.globl	_ZN5aiter24act_and_mul_quant_kernelIDF16_DB8_TnPFfRKT_EXadL_ZNS_11silu_kernelIDF16_EEfS4_EELi128ELi8ELb1EEEvPT0_PS3_Pfiifb
	.p2align	8
	.type	_ZN5aiter24act_and_mul_quant_kernelIDF16_DB8_TnPFfRKT_EXadL_ZNS_11silu_kernelIDF16_EEfS4_EELi128ELi8ELb1EEEvPT0_PS3_Pfiifb,@function
_ZN5aiter24act_and_mul_quant_kernelIDF16_DB8_TnPFfRKT_EXadL_ZNS_11silu_kernelIDF16_EEfS4_EELi128ELi8ELb1EEEvPT0_PS3_Pfiifb: ; @_ZN5aiter24act_and_mul_quant_kernelIDF16_DB8_TnPFfRKT_EXadL_ZNS_11silu_kernelIDF16_EEfS4_EELi128ELi8ELb1EEEvPT0_PS3_Pfiifb
; %bb.0:
	s_load_dwordx4 s[4:7], s[0:1], 0x18
	v_lshlrev_b32_e32 v12, 3, v0
	s_waitcnt lgkmcnt(0)
	v_cmp_gt_i32_e32 vcc, s4, v12
	s_and_saveexec_b64 s[8:9], vcc
	s_cbranch_execz .LBB519_36
; %bb.1:
	s_load_dwordx4 s[8:11], s[0:1], 0x0
	s_load_dwordx2 s[14:15], s[0:1], 0x10
	s_ashr_i32 s13, s4, 31
	s_mul_hi_u32 s3, s2, s4
	s_mul_i32 s16, s2, s13
	s_add_i32 s17, s3, s16
	s_mul_i32 s16, s2, s4
	s_lshl_b64 s[16:17], s[16:17], 2
	s_mov_b32 s12, s4
	s_waitcnt lgkmcnt(0)
	s_add_u32 s16, s10, s16
	s_addc_u32 s3, s11, s17
	s_lshl_b64 s[10:11], s[12:13], 1
	s_add_u32 s20, s16, s10
	s_addc_u32 s10, s3, s11
	s_lshl_b32 s11, s4, 1
	s_add_i32 s11, s11, 2
	s_and_b32 s22, s11, -4
	s_mov_b32 s23, 0x20000
	s_and_b32 s21, s10, 0xffff
	s_and_b32 s17, s3, 0xffff
	s_mov_b32 s18, s22
	v_lshlrev_b32_e32 v1, 4, v0
	s_mov_b32 s19, s23
	buffer_load_dwordx4 v[2:5], v1, s[20:23], 0 offen sc0 nt
	buffer_load_dwordx4 v[6:9], v1, s[16:19], 0 offen sc0 nt
	v_max_f32_e64 v10, s6, s6
	s_mov_b32 s11, 0xbfb8aa3b
	s_mov_b32 s17, 0xb2a5705f
	;; [unrolled: 1-line block ×4, first 2 shown]
	v_mov_b32_e32 v1, 0x7f800000
	s_mov_b32 s3, 0
	s_waitcnt vmcnt(1)
	v_cvt_f32_f16_e32 v11, v2
	v_cvt_f32_f16_sdwa v13, v2 dst_sel:DWORD dst_unused:UNUSED_PAD src0_sel:WORD_1
	s_waitcnt vmcnt(0)
	v_cvt_f32_f16_e32 v2, v6
	v_cvt_f32_f16_sdwa v6, v6 dst_sel:DWORD dst_unused:UNUSED_PAD src0_sel:WORD_1
	v_cvt_f32_f16_sdwa v16, v7 dst_sel:DWORD dst_unused:UNUSED_PAD src0_sel:WORD_1
	v_cvt_f32_f16_e32 v7, v7
	v_cvt_f32_f16_e32 v17, v8
	v_min_f32_e32 v18, v2, v10
	v_med3_f32 v2, -s6, v11, s6
	v_min_f32_e32 v6, v6, v10
	v_min_f32_e32 v11, v16, v10
	v_cvt_f16_f32_e32 v16, v18
	v_cvt_f32_f16_e32 v14, v3
	v_cvt_f32_f16_sdwa v15, v3 dst_sel:DWORD dst_unused:UNUSED_PAD src0_sel:WORD_1
	v_med3_f32 v3, -s6, v13, s6
	v_min_f32_e32 v7, v7, v10
	v_min_f32_e32 v13, v17, v10
	v_cvt_f16_f32_e32 v17, v6
	v_cvt_f16_f32_e32 v18, v7
	;; [unrolled: 1-line block ×3, first 2 shown]
	v_cvt_f32_f16_e32 v19, v16
	v_cvt_f32_f16_e32 v20, v17
	;; [unrolled: 1-line block ×4, first 2 shown]
	v_mul_f32_e32 v21, 0xbfb8aa3b, v19
	v_mul_f32_e32 v22, 0xbfb8aa3b, v20
	v_fma_mix_f32 v25, v16, s11, -v21 op_sel_hi:[1,0,0]
	v_rndne_f32_e32 v26, v21
	v_mul_f32_e32 v23, 0xbfb8aa3b, v6
	v_fma_mix_f32 v27, v17, s11, -v22 op_sel_hi:[1,0,0]
	v_rndne_f32_e32 v28, v22
	v_fma_mix_f32 v16, v16, s17, v25 op_sel_hi:[1,0,0]
	v_sub_f32_e32 v21, v21, v26
	v_mul_f32_e32 v24, 0xbfb8aa3b, v7
	v_fma_mix_f32 v29, v18, s11, -v23 op_sel_hi:[1,0,0]
	v_rndne_f32_e32 v30, v23
	v_fma_mix_f32 v17, v17, s17, v27 op_sel_hi:[1,0,0]
	v_sub_f32_e32 v22, v22, v28
	v_add_f32_e32 v16, v21, v16
	v_fma_mix_f32 v31, v11, s11, -v24 op_sel_hi:[1,0,0]
	v_rndne_f32_e32 v32, v24
	v_cvt_i32_f32_e32 v25, v26
	v_fma_mix_f32 v18, v18, s17, v29 op_sel_hi:[1,0,0]
	v_sub_f32_e32 v23, v23, v30
	v_add_f32_e32 v17, v22, v17
	v_exp_f32_e32 v16, v16
	v_cvt_i32_f32_e32 v26, v28
	v_fma_mix_f32 v11, v11, s17, v31 op_sel_hi:[1,0,0]
	v_sub_f32_e32 v24, v24, v32
	v_add_f32_e32 v18, v23, v18
	v_exp_f32_e32 v17, v17
	v_cvt_i32_f32_e32 v27, v30
	v_add_f32_e32 v11, v24, v11
	v_exp_f32_e32 v18, v18
	v_cvt_i32_f32_e32 v28, v32
	v_exp_f32_e32 v11, v11
	v_ldexp_f32 v16, v16, v25
	v_cmp_nlt_f32_e32 vcc, s10, v19
	v_ldexp_f32 v17, v17, v26
	v_ldexp_f32 v18, v18, v27
	v_cndmask_b32_e32 v16, 0, v16, vcc
	v_cmp_nlt_f32_e32 vcc, s10, v20
	v_ldexp_f32 v11, v11, v28
	v_med3_f32 v14, -s6, v14, s6
	v_cndmask_b32_e32 v17, 0, v17, vcc
	v_cmp_nlt_f32_e32 vcc, s10, v6
	v_cvt_f32_f16_sdwa v8, v8 dst_sel:DWORD dst_unused:UNUSED_PAD src0_sel:WORD_1
	v_med3_f32 v15, -s6, v15, s6
	v_cndmask_b32_e32 v18, 0, v18, vcc
	v_cmp_nlt_f32_e32 vcc, s10, v7
	v_min_f32_e32 v8, v8, v10
	s_nop 0
	v_cndmask_b32_e32 v11, 0, v11, vcc
	v_cmp_ngt_f32_e32 vcc, s16, v19
	s_nop 1
	v_cndmask_b32_e32 v16, v1, v16, vcc
	v_cmp_ngt_f32_e32 vcc, s16, v20
	v_add_f32_e32 v16, 1.0, v16
	v_rcp_f32_e32 v21, v16
	v_cndmask_b32_e32 v17, v1, v17, vcc
	v_cmp_ngt_f32_e32 vcc, s16, v6
	v_add_f32_e32 v17, 1.0, v17
	v_rcp_f32_e32 v22, v17
	;; [unrolled: 4-line block ×3, first 2 shown]
	v_cndmask_b32_e32 v11, v1, v11, vcc
	v_add_f32_e32 v11, 1.0, v11
	v_rcp_f32_e32 v17, v11
	v_cvt_f16_f32_e32 v11, v13
	v_mul_f32_e32 v18, v21, v19
	v_mul_f32_e32 v19, v22, v20
	v_pk_mul_f32 v[16:17], v[16:17], v[6:7]
	;;#ASMSTART
	v_pk_mul_f32 v[6:7], v[18:19], v[2:3]
	;;#ASMEND
	v_cvt_f32_f16_e32 v13, v4
	;;#ASMSTART
	v_pk_mul_f32 v[2:3], v[16:17], v[14:15]
	;;#ASMEND
	v_cvt_f32_f16_e32 v14, v11
	v_cvt_f16_f32_e32 v16, v8
	v_cvt_f32_f16_sdwa v4, v4 dst_sel:DWORD dst_unused:UNUSED_PAD src0_sel:WORD_1
	v_mul_f32_e32 v8, 0xbfb8aa3b, v14
	v_fma_mix_f32 v15, v11, s11, -v8 op_sel_hi:[1,0,0]
	v_cmp_nlt_f32_e32 vcc, s10, v14
	v_fma_mix_f32 v11, v11, s17, v15 op_sel_hi:[1,0,0]
	v_rndne_f32_e32 v15, v8
	v_sub_f32_e32 v8, v8, v15
	v_add_f32_e32 v8, v8, v11
	v_cvt_i32_f32_e32 v17, v15
	v_cvt_f32_f16_e32 v15, v16
	v_exp_f32_e32 v11, v8
	v_med3_f32 v8, -s6, v13, s6
	v_mul_f32_e32 v13, 0xbfb8aa3b, v15
	v_ldexp_f32 v11, v11, v17
	v_fma_mix_f32 v17, v16, s11, -v13 op_sel_hi:[1,0,0]
	v_cndmask_b32_e32 v11, 0, v11, vcc
	v_fma_mix_f32 v16, v16, s17, v17 op_sel_hi:[1,0,0]
	v_rndne_f32_e32 v17, v13
	v_sub_f32_e32 v13, v13, v17
	v_add_f32_e32 v13, v13, v16
	v_exp_f32_e32 v13, v13
	v_cvt_i32_f32_e32 v17, v17
	v_cmp_ngt_f32_e32 vcc, s16, v14
	s_nop 1
	v_cndmask_b32_e32 v11, v1, v11, vcc
	v_add_f32_e32 v11, 1.0, v11
	v_rcp_f32_e32 v16, v11
	v_ldexp_f32 v11, v13, v17
	v_cvt_f32_f16_e32 v13, v9
	v_cmp_nlt_f32_e32 vcc, s10, v15
	v_min_f32_e32 v13, v13, v10
	v_cvt_f16_f32_e32 v13, v13
	v_cndmask_b32_e32 v11, 0, v11, vcc
	v_cmp_ngt_f32_e32 vcc, s16, v15
	v_cvt_f32_f16_e32 v18, v13
	s_nop 0
	v_cndmask_b32_e32 v11, v1, v11, vcc
	v_add_f32_e32 v11, 1.0, v11
	v_rcp_f32_e32 v17, v11
	v_cvt_f32_f16_sdwa v11, v9 dst_sel:DWORD dst_unused:UNUSED_PAD src0_sel:WORD_1
	v_med3_f32 v9, -s6, v4, s6
	v_cmp_nlt_f32_e32 vcc, s10, v18
	v_pk_mul_f32 v[14:15], v[16:17], v[14:15]
	v_min_f32_e32 v4, v11, v10
	v_mul_f32_e32 v10, 0xbfb8aa3b, v18
	v_cvt_f16_f32_e32 v4, v4
	v_fma_mix_f32 v11, v13, s11, -v10 op_sel_hi:[1,0,0]
	v_cvt_f32_f16_sdwa v16, v5 dst_sel:DWORD dst_unused:UNUSED_PAD src0_sel:WORD_1
	v_fma_mix_f32 v11, v13, s17, v11 op_sel_hi:[1,0,0]
	v_rndne_f32_e32 v13, v10
	v_sub_f32_e32 v10, v10, v13
	v_add_f32_e32 v10, v10, v11
	v_exp_f32_e32 v10, v10
	v_cvt_i32_f32_e32 v11, v13
	v_cvt_f32_f16_e32 v19, v4
	v_cvt_f32_f16_e32 v13, v5
	v_ldexp_f32 v5, v10, v11
	v_mul_f32_e32 v10, 0xbfb8aa3b, v19
	v_fma_mix_f32 v11, v4, s11, -v10 op_sel_hi:[1,0,0]
	v_cndmask_b32_e32 v5, 0, v5, vcc
	v_fma_mix_f32 v4, v4, s17, v11 op_sel_hi:[1,0,0]
	v_rndne_f32_e32 v11, v10
	v_sub_f32_e32 v10, v10, v11
	v_add_f32_e32 v4, v10, v4
	v_exp_f32_e32 v4, v4
	v_cvt_i32_f32_e32 v11, v11
	v_cmp_ngt_f32_e32 vcc, s16, v18
	v_ldexp_f32 v4, v4, v11
	s_nop 0
	v_cndmask_b32_e32 v5, v1, v5, vcc
	v_cmp_nlt_f32_e32 vcc, s10, v19
	v_add_f32_e32 v5, 1.0, v5
	v_rcp_f32_e32 v10, v5
	v_cndmask_b32_e32 v4, 0, v4, vcc
	v_cmp_ngt_f32_e32 vcc, s16, v19
	s_nop 1
	v_cndmask_b32_e32 v1, v1, v4, vcc
	v_add_f32_e32 v1, 1.0, v1
	v_rcp_f32_e32 v11, v1
	;;#ASMSTART
	v_pk_mul_f32 v[4:5], v[14:15], v[8:9]
	;;#ASMEND
	v_med3_f32 v8, -s6, v13, s6
	v_med3_f32 v9, -s6, v16, s6
	s_ashr_i32 s6, s5, 31
	v_pk_mul_f32 v[10:11], v[10:11], v[18:19]
	v_and_b32_e32 v1, 0x7fffffff, v6
	s_lshr_b32 s6, s6, 29
	;;#ASMSTART
	v_pk_mul_f32 v[8:9], v[10:11], v[8:9]
	;;#ASMEND
	v_and_b32_e32 v10, 0x7fffffff, v7
	v_mov_b32_e32 v11, 0x2edbe6ff
	;;#ASMSTART
	v_max3_f32 v1, v11, v1, v10

	;;#ASMEND
	s_add_i32 s6, s5, s6
	v_and_b32_e32 v10, 0x7fffffff, v2
	v_and_b32_e32 v11, 0x7fffffff, v3
	;;#ASMSTART
	v_max3_f32 v1, v1, v10, v11

	;;#ASMEND
	s_ashr_i32 s6, s6, 3
	v_and_b32_e32 v10, 0x7fffffff, v4
	v_and_b32_e32 v11, 0x7fffffff, v5
	;;#ASMSTART
	v_max3_f32 v1, v1, v10, v11

	;;#ASMEND
	s_cmp_lt_i32 s6, 16
	v_and_b32_e32 v10, 0x7fffffff, v8
	v_and_b32_e32 v11, 0x7fffffff, v9
	;;#ASMSTART
	v_max3_f32 v1, v1, v10, v11

	;;#ASMEND
	s_cbranch_scc1 .LBB519_7
; %bb.2:
	s_cmp_lt_i32 s6, 32
	s_cbranch_scc1 .LBB519_8
; %bb.3:
	s_cmp_lt_i32 s6, 64
	s_cbranch_scc1 .LBB519_9
; %bb.4:
	s_cmp_eq_u32 s6, 64
	v_mov_b32_e32 v10, v1
	s_cbranch_scc0 .LBB519_6
; %bb.5:
	s_nop 0
	v_mov_b32_dpp v10, v1 quad_perm:[1,0,3,2] row_mask:0xf bank_mask:0xf
	v_cmp_gt_f32_e32 vcc, v1, v10
	v_bfrev_b32_e32 v13, 0.5
	s_nop 0
	v_cndmask_b32_e32 v10, v10, v1, vcc
	s_nop 1
	v_mov_b32_dpp v11, v10 quad_perm:[2,3,0,1] row_mask:0xf bank_mask:0xf
	v_cmp_gt_f32_e32 vcc, v10, v11
	s_nop 1
	v_cndmask_b32_e32 v10, v11, v10, vcc
	s_nop 1
	v_mov_b32_dpp v11, v10 row_ror:4 row_mask:0xf bank_mask:0xf
	v_cmp_gt_f32_e32 vcc, v10, v11
	s_nop 1
	v_cndmask_b32_e32 v10, v11, v10, vcc
	s_nop 1
	v_mov_b32_dpp v11, v10 row_ror:8 row_mask:0xf bank_mask:0xf
	v_cmp_gt_f32_e32 vcc, v10, v11
	s_nop 1
	v_cndmask_b32_e32 v10, v11, v10, vcc
	s_nop 1
	v_mov_b32_dpp v11, v10 row_bcast:15 row_mask:0xf bank_mask:0xf
	v_cmp_gt_f32_e32 vcc, v10, v11
	s_nop 1
	v_cndmask_b32_e32 v10, v11, v10, vcc
	s_nop 1
	v_mov_b32_dpp v11, v10 row_bcast:31 row_mask:0xf bank_mask:0xf
	v_cmp_gt_f32_e32 vcc, v10, v11
	s_nop 1
	v_cndmask_b32_e32 v10, v11, v10, vcc
	v_mbcnt_lo_u32_b32 v11, -1, 0
	v_mbcnt_hi_u32_b32 v11, -1, v11
	v_lshl_or_b32 v11, v11, 2, v13
	ds_bpermute_b32 v10, v11, v10
.LBB519_6:
	s_cbranch_execz .LBB519_10
	s_branch .LBB519_12
.LBB519_7:
                                        ; implicit-def: $vgpr10
	s_branch .LBB519_16
.LBB519_8:
                                        ; implicit-def: $vgpr10
	s_branch .LBB519_13
.LBB519_9:
                                        ; implicit-def: $vgpr10
.LBB519_10:
	s_cmp_eq_u32 s6, 32
	s_waitcnt lgkmcnt(0)
	v_mov_b32_e32 v10, v1
	s_cbranch_scc0 .LBB519_12
; %bb.11:
	s_nop 0
	v_mov_b32_dpp v10, v1 quad_perm:[1,0,3,2] row_mask:0xf bank_mask:0xf
	v_cmp_gt_f32_e32 vcc, v1, v10
	v_mov_b32_e32 v13, 0x7c
	s_nop 0
	v_cndmask_b32_e32 v10, v10, v1, vcc
	s_nop 1
	v_mov_b32_dpp v11, v10 quad_perm:[2,3,0,1] row_mask:0xf bank_mask:0xf
	v_cmp_gt_f32_e32 vcc, v10, v11
	s_nop 1
	v_cndmask_b32_e32 v10, v11, v10, vcc
	s_nop 1
	v_mov_b32_dpp v11, v10 row_half_mirror row_mask:0xf bank_mask:0xf
	v_cmp_gt_f32_e32 vcc, v10, v11
	s_nop 1
	v_cndmask_b32_e32 v10, v11, v10, vcc
	s_nop 1
	v_mov_b32_dpp v11, v10 row_mirror row_mask:0xf bank_mask:0xf
	v_cmp_gt_f32_e32 vcc, v10, v11
	s_nop 1
	v_cndmask_b32_e32 v10, v11, v10, vcc
	s_nop 1
	v_mov_b32_dpp v11, v10 row_bcast:15 row_mask:0xa bank_mask:0xf
	v_cmp_gt_f32_e32 vcc, v10, v11
	s_nop 1
	v_cndmask_b32_e32 v10, v11, v10, vcc
	v_mbcnt_lo_u32_b32 v11, -1, 0
	v_mbcnt_hi_u32_b32 v11, -1, v11
	v_lshl_or_b32 v11, v11, 2, v13
	ds_bpermute_b32 v10, v11, v10
.LBB519_12:
	s_cbranch_execnz .LBB519_15
.LBB519_13:
	s_cmp_eq_u32 s6, 16
	s_waitcnt lgkmcnt(0)
	v_mov_b32_e32 v10, v1
	s_cbranch_scc0 .LBB519_15
; %bb.14:
	s_nop 0
	v_mov_b32_dpp v10, v1 quad_perm:[1,0,3,2] row_mask:0xf bank_mask:0xf
	v_cmp_gt_f32_e32 vcc, v1, v10
	s_nop 1
	v_cndmask_b32_e32 v10, v10, v1, vcc
	s_nop 1
	v_mov_b32_dpp v11, v10 quad_perm:[2,3,0,1] row_mask:0xf bank_mask:0xf
	v_cmp_gt_f32_e32 vcc, v10, v11
	s_nop 1
	v_cndmask_b32_e32 v10, v11, v10, vcc
	s_nop 1
	v_mov_b32_dpp v11, v10 row_half_mirror row_mask:0xf bank_mask:0xf
	v_cmp_gt_f32_e32 vcc, v10, v11
	s_nop 1
	v_cndmask_b32_e32 v10, v11, v10, vcc
	s_nop 1
	v_mov_b32_dpp v11, v10 row_mirror row_mask:0xf bank_mask:0xf
	v_cmp_gt_f32_e32 vcc, v10, v11
	s_nop 1
	v_cndmask_b32_e32 v10, v11, v10, vcc
.LBB519_15:
	s_cbranch_execnz .LBB519_29
.LBB519_16:
	s_cmp_lt_i32 s6, 4
	s_cbranch_scc1 .LBB519_20
; %bb.17:
	s_cmp_lt_i32 s6, 8
	s_cbranch_scc1 .LBB519_21
; %bb.18:
	s_cmp_eq_u32 s6, 8
	s_waitcnt lgkmcnt(0)
	v_mov_b32_e32 v10, v1
	s_cbranch_scc0 .LBB519_22
; %bb.19:
	s_nop 0
	v_mov_b32_dpp v10, v1 quad_perm:[1,0,3,2] row_mask:0xf bank_mask:0xf
	v_cmp_gt_f32_e32 vcc, v1, v10
	s_nop 1
	v_cndmask_b32_e32 v10, v10, v1, vcc
	s_nop 1
	v_mov_b32_dpp v11, v10 quad_perm:[2,3,0,1] row_mask:0xf bank_mask:0xf
	v_cmp_gt_f32_e32 vcc, v10, v11
	s_nop 1
	v_cndmask_b32_e32 v10, v11, v10, vcc
	s_nop 1
	v_mov_b32_dpp v11, v10 row_half_mirror row_mask:0xf bank_mask:0xf
	v_cmp_gt_f32_e32 vcc, v10, v11
	s_nop 1
	v_cndmask_b32_e32 v10, v11, v10, vcc
	s_cbranch_execz .LBB519_23
	s_branch .LBB519_25
.LBB519_20:
                                        ; implicit-def: $vgpr10
	s_branch .LBB519_26
.LBB519_21:
                                        ; implicit-def: $vgpr10
	s_branch .LBB519_23
.LBB519_22:
	s_cbranch_execnz .LBB519_25
.LBB519_23:
	s_cmp_eq_u32 s6, 4
	s_waitcnt lgkmcnt(0)
	v_mov_b32_e32 v10, v1
	s_cbranch_scc0 .LBB519_25
; %bb.24:
	s_nop 0
	v_mov_b32_dpp v10, v1 quad_perm:[1,0,3,2] row_mask:0xf bank_mask:0xf
	v_cmp_gt_f32_e32 vcc, v1, v10
	s_nop 1
	v_cndmask_b32_e32 v10, v10, v1, vcc
	s_nop 1
	v_mov_b32_dpp v11, v10 quad_perm:[2,3,0,1] row_mask:0xf bank_mask:0xf
	v_cmp_gt_f32_e32 vcc, v10, v11
	s_nop 1
	v_cndmask_b32_e32 v10, v11, v10, vcc
.LBB519_25:
	s_cbranch_execnz .LBB519_29
.LBB519_26:
	s_cmp_lg_u32 s6, 2
	s_cbranch_scc1 .LBB519_28
; %bb.27:
	s_waitcnt lgkmcnt(0)
	v_mov_b32_dpp v10, v1 quad_perm:[1,0,3,2] row_mask:0xf bank_mask:0xf
	v_cmp_gt_f32_e32 vcc, v1, v10
	s_nop 1
	v_cndmask_b32_e32 v1, v10, v1, vcc
.LBB519_28:
	s_waitcnt lgkmcnt(0)
	v_mov_b32_e32 v10, v1
.LBB519_29:
	s_abs_i32 s10, s6
	v_cvt_f32_u32_e32 v1, s10
	s_sub_i32 s16, 0, s10
	s_waitcnt lgkmcnt(0)
	v_mul_f32_e32 v13, 0x3b888889, v10
	s_ashr_i32 s11, s6, 31
	v_rcp_iflag_f32_e32 v1, v1
	s_nop 0
	v_mul_f32_e32 v1, 0x4f7ffffe, v1
	v_cvt_u32_f32_e32 v1, v1
	v_mul_lo_u32 v10, s16, v1
	v_mul_hi_u32 v10, v1, v10
	v_add_u32_e32 v1, v1, v10
	v_mul_hi_u32 v1, v0, v1
	v_mul_lo_u32 v10, v1, s10
	v_sub_u32_e32 v10, v0, v10
	v_add_u32_e32 v11, 1, v1
	v_cmp_le_u32_e32 vcc, s10, v10
	s_nop 1
	v_cndmask_b32_e32 v1, v1, v11, vcc
	v_subrev_u32_e32 v11, s10, v10
	v_cndmask_b32_e32 v10, v10, v11, vcc
	v_add_u32_e32 v11, 1, v1
	v_cmp_le_u32_e32 vcc, s10, v10
	s_nop 1
	v_cndmask_b32_e32 v1, v1, v11, vcc
	v_xor_b32_e32 v1, s11, v1
	v_subrev_u32_e32 v10, s11, v1
	v_mul_lo_u32 v1, v10, s6
	v_sub_u32_e32 v0, v0, v1
	v_cmp_eq_u32_e32 vcc, 0, v0
	s_and_saveexec_b64 s[10:11], vcc
	s_cbranch_execz .LBB519_35
; %bb.30:
	s_bitcmp0_b32 s7, 0
	s_cbranch_scc0 .LBB519_32
; %bb.31:
	s_abs_i32 s6, s5
	v_cvt_f32_u32_e32 v0, s6
	s_sub_i32 s16, 0, s6
	s_abs_i32 s7, s12
	s_xor_b32 s5, s12, s5
	v_rcp_iflag_f32_e32 v0, v0
	s_ashr_i32 s5, s5, 31
	v_ashrrev_i32_e32 v11, 31, v10
	v_mov_b32_e32 v1, s2
	v_mul_f32_e32 v0, 0x4f7ffffe, v0
	v_cvt_u32_f32_e32 v0, v0
	s_nop 0
	v_readfirstlane_b32 s17, v0
	s_mul_i32 s16, s16, s17
	s_mul_hi_u32 s16, s17, s16
	s_add_i32 s17, s17, s16
	s_mul_hi_u32 s16, s7, s17
	s_mul_i32 s17, s16, s6
	s_sub_i32 s7, s7, s17
	s_add_i32 s18, s16, 1
	s_sub_i32 s17, s7, s6
	s_cmp_ge_u32 s7, s6
	s_cselect_b32 s16, s18, s16
	s_cselect_b32 s7, s17, s7
	s_add_i32 s17, s16, 1
	s_cmp_ge_u32 s7, s6
	s_cselect_b32 s6, s17, s16
	s_xor_b32 s6, s6, s5
	s_sub_i32 s5, s6, s5
	s_ashr_i32 s6, s5, 31
	s_mul_i32 s16, s6, s2
	v_mad_u64_u32 v[0:1], s[6:7], s5, v1, v[10:11]
	v_add_u32_e32 v1, s16, v1
	s_cbranch_execz .LBB519_33
	s_branch .LBB519_34
.LBB519_32:
                                        ; implicit-def: $vgpr0_vgpr1
.LBB519_33:
	s_load_dword s0, s[0:1], 0x28
	v_mov_b32_e32 v1, 0
	s_waitcnt lgkmcnt(0)
	v_mul_lo_u32 v0, s0, v10
	v_lshl_add_u64 v[0:1], v[0:1], 0, s[2:3]
.LBB519_34:
	v_lshl_add_u64 v[0:1], v[0:1], 2, s[14:15]
	global_store_dword v[0:1], v13, off
.LBB519_35:
	s_or_b64 exec, exec, s[10:11]
	s_add_i32 s0, s4, 3
	s_ashr_i32 s1, s0, 31
	s_lshr_b32 s1, s1, 30
	s_add_i32 s0, s0, s1
	s_and_b32 s6, s0, -4
	s_mul_i32 s0, s13, s2
	s_mul_hi_u32 s1, s12, s2
	s_add_i32 s1, s1, s0
	s_mul_i32 s0, s12, s2
	s_add_u32 s4, s8, s0
	;;#ASMSTART
	v_rcp_f32 v0, v13
	;;#ASMEND
	s_addc_u32 s0, s9, s1
	v_mov_b32_e32 v1, v0
	;;#ASMSTART
	v_pk_mul_f32 v[6:7], v[6:7], v[0:1]
	;;#ASMEND
	v_mov_b32_e32 v10, 0xc3700000
	v_mov_b32_e32 v11, 0x43700000
	;;#ASMSTART
	v_med3_f32 v6, v6, v10, v11
v_med3_f32 v7, v7, v10, v11
v_cvt_pk_fp8_f32 v13, v6, v7
	;;#ASMEND
	;;#ASMSTART
	v_pk_mul_f32 v[2:3], v[2:3], v[0:1]
	;;#ASMEND
	s_and_b32 s5, s0, 0xffff
	;;#ASMSTART
	v_med3_f32 v2, v2, v10, v11
v_med3_f32 v3, v3, v10, v11
v_cvt_pk_fp8_f32 v6, v2, v3
	;;#ASMEND
	s_mov_b32 s0, 0x5040100
	v_perm_b32 v3, v6, v13, s0
	s_movk_i32 s0, 0xff
	v_and_b32_e32 v2, 0xffffff00, v6
	v_and_b32_sdwa v6, v3, s0 dst_sel:DWORD dst_unused:UNUSED_PAD src0_sel:WORD_1 src1_sel:DWORD
	s_mov_b32 s1, 0xffff
	v_or_b32_sdwa v2, v6, v2 dst_sel:WORD_1 dst_unused:UNUSED_PAD src0_sel:DWORD src1_sel:DWORD
	;;#ASMSTART
	v_pk_mul_f32 v[4:5], v[4:5], v[0:1]
	;;#ASMEND
	s_mov_b32 s7, 0x20000
	v_and_or_b32 v2, v3, s1, v2
	v_mov_b32_e32 v3, v5
	;;#ASMSTART
	v_med3_f32 v4, v4, v10, v11
v_med3_f32 v3, v3, v10, v11
v_cvt_pk_fp8_f32 v5, v4, v3
	;;#ASMEND
	;;#ASMSTART
	v_pk_mul_f32 v[0:1], v[8:9], v[0:1]
	;;#ASMEND
	s_nop 0
	;;#ASMSTART
	v_med3_f32 v0, v0, v10, v11
v_med3_f32 v1, v1, v10, v11
v_cvt_pk_fp8_f32 v3, v0, v1
	;;#ASMEND
	s_nop 0
	v_lshlrev_b32_e32 v0, 16, v3
	v_and_or_b32 v3, v5, s1, v0
	buffer_store_dwordx2 v[2:3], v12, s[4:7], 0 offen
	;;#ASMSTART
	s_nop 0
	;;#ASMEND
.LBB519_36:
	s_endpgm
	.section	.rodata,"a",@progbits
	.p2align	6, 0x0
	.amdhsa_kernel _ZN5aiter24act_and_mul_quant_kernelIDF16_DB8_TnPFfRKT_EXadL_ZNS_11silu_kernelIDF16_EEfS4_EELi128ELi8ELb1EEEvPT0_PS3_Pfiifb
		.amdhsa_group_segment_fixed_size 0
		.amdhsa_private_segment_fixed_size 0
		.amdhsa_kernarg_size 296
		.amdhsa_user_sgpr_count 2
		.amdhsa_user_sgpr_dispatch_ptr 0
		.amdhsa_user_sgpr_queue_ptr 0
		.amdhsa_user_sgpr_kernarg_segment_ptr 1
		.amdhsa_user_sgpr_dispatch_id 0
		.amdhsa_user_sgpr_kernarg_preload_length 0
		.amdhsa_user_sgpr_kernarg_preload_offset 0
		.amdhsa_user_sgpr_private_segment_size 0
		.amdhsa_uses_dynamic_stack 0
		.amdhsa_enable_private_segment 0
		.amdhsa_system_sgpr_workgroup_id_x 1
		.amdhsa_system_sgpr_workgroup_id_y 0
		.amdhsa_system_sgpr_workgroup_id_z 0
		.amdhsa_system_sgpr_workgroup_info 0
		.amdhsa_system_vgpr_workitem_id 0
		.amdhsa_next_free_vgpr 33
		.amdhsa_next_free_sgpr 24
		.amdhsa_accum_offset 36
		.amdhsa_reserve_vcc 1
		.amdhsa_float_round_mode_32 0
		.amdhsa_float_round_mode_16_64 0
		.amdhsa_float_denorm_mode_32 3
		.amdhsa_float_denorm_mode_16_64 3
		.amdhsa_dx10_clamp 1
		.amdhsa_ieee_mode 1
		.amdhsa_fp16_overflow 0
		.amdhsa_tg_split 0
		.amdhsa_exception_fp_ieee_invalid_op 0
		.amdhsa_exception_fp_denorm_src 0
		.amdhsa_exception_fp_ieee_div_zero 0
		.amdhsa_exception_fp_ieee_overflow 0
		.amdhsa_exception_fp_ieee_underflow 0
		.amdhsa_exception_fp_ieee_inexact 0
		.amdhsa_exception_int_div_zero 0
	.end_amdhsa_kernel
	.section	.text._ZN5aiter24act_and_mul_quant_kernelIDF16_DB8_TnPFfRKT_EXadL_ZNS_11silu_kernelIDF16_EEfS4_EELi128ELi8ELb1EEEvPT0_PS3_Pfiifb,"axG",@progbits,_ZN5aiter24act_and_mul_quant_kernelIDF16_DB8_TnPFfRKT_EXadL_ZNS_11silu_kernelIDF16_EEfS4_EELi128ELi8ELb1EEEvPT0_PS3_Pfiifb,comdat
.Lfunc_end519:
	.size	_ZN5aiter24act_and_mul_quant_kernelIDF16_DB8_TnPFfRKT_EXadL_ZNS_11silu_kernelIDF16_EEfS4_EELi128ELi8ELb1EEEvPT0_PS3_Pfiifb, .Lfunc_end519-_ZN5aiter24act_and_mul_quant_kernelIDF16_DB8_TnPFfRKT_EXadL_ZNS_11silu_kernelIDF16_EEfS4_EELi128ELi8ELb1EEEvPT0_PS3_Pfiifb
                                        ; -- End function
	.section	.AMDGPU.csdata,"",@progbits
; Kernel info:
; codeLenInByte = 2740
; NumSgprs: 30
; NumVgprs: 33
; NumAgprs: 0
; TotalNumVgprs: 33
; ScratchSize: 0
; MemoryBound: 0
; FloatMode: 240
; IeeeMode: 1
; LDSByteSize: 0 bytes/workgroup (compile time only)
; SGPRBlocks: 3
; VGPRBlocks: 4
; NumSGPRsForWavesPerEU: 30
; NumVGPRsForWavesPerEU: 33
; AccumOffset: 36
; Occupancy: 8
; WaveLimiterHint : 0
; COMPUTE_PGM_RSRC2:SCRATCH_EN: 0
; COMPUTE_PGM_RSRC2:USER_SGPR: 2
; COMPUTE_PGM_RSRC2:TRAP_HANDLER: 0
; COMPUTE_PGM_RSRC2:TGID_X_EN: 1
; COMPUTE_PGM_RSRC2:TGID_Y_EN: 0
; COMPUTE_PGM_RSRC2:TGID_Z_EN: 0
; COMPUTE_PGM_RSRC2:TIDIG_COMP_CNT: 0
; COMPUTE_PGM_RSRC3_GFX90A:ACCUM_OFFSET: 8
; COMPUTE_PGM_RSRC3_GFX90A:TG_SPLIT: 0
	.section	.text._ZN5aiter24act_and_mul_quant_kernelItDB8_TnPFfRKT_EXadL_ZNS_11silu_kernelItEEfS4_EELi128ELi8ELb1EEEvPT0_PS3_Pfiifb,"axG",@progbits,_ZN5aiter24act_and_mul_quant_kernelItDB8_TnPFfRKT_EXadL_ZNS_11silu_kernelItEEfS4_EELi128ELi8ELb1EEEvPT0_PS3_Pfiifb,comdat
	.protected	_ZN5aiter24act_and_mul_quant_kernelItDB8_TnPFfRKT_EXadL_ZNS_11silu_kernelItEEfS4_EELi128ELi8ELb1EEEvPT0_PS3_Pfiifb ; -- Begin function _ZN5aiter24act_and_mul_quant_kernelItDB8_TnPFfRKT_EXadL_ZNS_11silu_kernelItEEfS4_EELi128ELi8ELb1EEEvPT0_PS3_Pfiifb
	.globl	_ZN5aiter24act_and_mul_quant_kernelItDB8_TnPFfRKT_EXadL_ZNS_11silu_kernelItEEfS4_EELi128ELi8ELb1EEEvPT0_PS3_Pfiifb
	.p2align	8
	.type	_ZN5aiter24act_and_mul_quant_kernelItDB8_TnPFfRKT_EXadL_ZNS_11silu_kernelItEEfS4_EELi128ELi8ELb1EEEvPT0_PS3_Pfiifb,@function
_ZN5aiter24act_and_mul_quant_kernelItDB8_TnPFfRKT_EXadL_ZNS_11silu_kernelItEEfS4_EELi128ELi8ELb1EEEvPT0_PS3_Pfiifb: ; @_ZN5aiter24act_and_mul_quant_kernelItDB8_TnPFfRKT_EXadL_ZNS_11silu_kernelItEEfS4_EELi128ELi8ELb1EEEvPT0_PS3_Pfiifb
; %bb.0:
	s_load_dwordx4 s[4:7], s[0:1], 0x18
	v_lshlrev_b32_e32 v12, 3, v0
	s_waitcnt lgkmcnt(0)
	v_cmp_gt_i32_e32 vcc, s4, v12
	s_and_saveexec_b64 s[8:9], vcc
	s_cbranch_execz .LBB520_36
; %bb.1:
	s_load_dwordx4 s[8:11], s[0:1], 0x0
	s_load_dwordx2 s[14:15], s[0:1], 0x10
	s_ashr_i32 s13, s4, 31
	s_mul_hi_u32 s3, s2, s4
	s_mul_i32 s16, s2, s13
	s_add_i32 s17, s3, s16
	s_mul_i32 s16, s2, s4
	s_lshl_b64 s[16:17], s[16:17], 2
	s_mov_b32 s12, s4
	s_waitcnt lgkmcnt(0)
	s_add_u32 s16, s10, s16
	s_addc_u32 s3, s11, s17
	s_lshl_b64 s[10:11], s[12:13], 1
	s_add_u32 s20, s16, s10
	s_addc_u32 s10, s3, s11
	s_lshl_b32 s11, s4, 1
	s_add_i32 s11, s11, 2
	s_and_b32 s22, s11, -4
	s_mov_b32 s23, 0x20000
	s_and_b32 s21, s10, 0xffff
	s_and_b32 s17, s3, 0xffff
	s_mov_b32 s18, s22
	v_lshlrev_b32_e32 v1, 4, v0
	s_mov_b32 s19, s23
	buffer_load_dwordx4 v[2:5], v1, s[20:23], 0 offen sc0 nt
	buffer_load_dwordx4 v[6:9], v1, s[16:19], 0 offen sc0 nt
	v_max_f32_e64 v13, s6, s6
	s_mov_b32 s16, 0xbfb8aa3b
	s_mov_b32 s10, 0x42ce8ed0
	;; [unrolled: 1-line block ×3, first 2 shown]
	v_mov_b32_e32 v1, 0x7f800000
	s_mov_b32 s3, 0
	s_waitcnt vmcnt(1)
	v_lshlrev_b32_e32 v10, 16, v2
	v_and_b32_e32 v2, 0xffff0000, v2
	s_waitcnt vmcnt(0)
	v_and_b32_e32 v11, 0xffff0000, v6
	v_lshlrev_b32_e32 v14, 16, v6
	v_and_b32_e32 v15, 0xffff0000, v7
	v_lshlrev_b32_e32 v16, 16, v7
	v_med3_f32 v6, -s6, v10, s6
	v_med3_f32 v7, -s6, v2, s6
	v_max_f32_e32 v2, v14, v14
	v_max_f32_e32 v10, v11, v11
	;; [unrolled: 1-line block ×3, first 2 shown]
	v_min_f32_e32 v2, v2, v13
	v_min_f32_e32 v10, v10, v13
	v_max_f32_e32 v14, v15, v15
	v_min_f32_e32 v16, v11, v13
	v_and_b32_e32 v11, 0xffff0000, v10
	v_and_b32_e32 v10, 0xffff0000, v2
	v_min_f32_e32 v14, v14, v13
	v_mul_f32_e32 v2, 0xbfb8aa3b, v10
	v_and_b32_e32 v15, 0xffff0000, v14
	v_and_b32_e32 v14, 0xffff0000, v16
	v_mul_f32_e32 v16, 0xbfb8aa3b, v11
	v_fma_f32 v19, v10, s16, -v2
	v_rndne_f32_e32 v21, v2
	v_mul_f32_e32 v17, 0xbfb8aa3b, v14
	v_fma_f32 v22, v11, s16, -v16
	v_rndne_f32_e32 v23, v16
	v_fmac_f32_e32 v19, 0xb2a5705f, v10
	v_sub_f32_e32 v2, v2, v21
	v_mul_f32_e32 v18, 0xbfb8aa3b, v15
	v_fma_f32 v24, v14, s16, -v17
	v_rndne_f32_e32 v25, v17
	v_fmac_f32_e32 v22, 0xb2a5705f, v11
	v_sub_f32_e32 v16, v16, v23
	v_add_f32_e32 v2, v2, v19
	v_fma_f32 v26, v15, s16, -v18
	v_rndne_f32_e32 v27, v18
	v_cvt_i32_f32_e32 v21, v21
	v_fmac_f32_e32 v24, 0xb2a5705f, v14
	v_sub_f32_e32 v17, v17, v25
	v_add_f32_e32 v16, v16, v22
	v_exp_f32_e32 v2, v2
	v_cvt_i32_f32_e32 v23, v23
	v_fmac_f32_e32 v26, 0xb2a5705f, v15
	v_sub_f32_e32 v18, v18, v27
	v_add_f32_e32 v17, v17, v24
	v_exp_f32_e32 v16, v16
	v_cvt_i32_f32_e32 v25, v25
	v_add_f32_e32 v18, v18, v26
	v_exp_f32_e32 v17, v17
	v_cvt_i32_f32_e32 v27, v27
	v_exp_f32_e32 v18, v18
	v_ldexp_f32 v2, v2, v21
	v_cmp_nlt_f32_e32 vcc, s10, v10
	v_ldexp_f32 v16, v16, v23
	v_ldexp_f32 v17, v17, v25
	v_cndmask_b32_e32 v2, 0, v2, vcc
	v_cmp_nlt_f32_e32 vcc, s10, v11
	v_ldexp_f32 v18, v18, v27
	v_lshlrev_b32_e32 v20, 16, v3
	v_cndmask_b32_e32 v16, 0, v16, vcc
	v_cmp_nlt_f32_e32 vcc, s10, v14
	v_and_b32_e32 v3, 0xffff0000, v3
	v_med3_f32 v3, -s6, v3, s6
	v_cndmask_b32_e32 v17, 0, v17, vcc
	v_cmp_nlt_f32_e32 vcc, s10, v15
	s_nop 1
	v_cndmask_b32_e32 v18, 0, v18, vcc
	v_cmp_ngt_f32_e32 vcc, s11, v10
	s_nop 1
	v_cndmask_b32_e32 v2, v1, v2, vcc
	v_cmp_ngt_f32_e32 vcc, s11, v11
	v_add_f32_e32 v2, 1.0, v2
	s_nop 0
	v_cndmask_b32_e32 v16, v1, v16, vcc
	v_cmp_ngt_f32_e32 vcc, s11, v14
	v_add_f32_e32 v19, 1.0, v16
	v_rcp_f32_e32 v16, v2
	v_cndmask_b32_e32 v17, v1, v17, vcc
	v_cmp_ngt_f32_e32 vcc, s11, v15
	v_add_f32_e32 v21, 1.0, v17
	v_rcp_f32_e32 v17, v19
	v_cndmask_b32_e32 v18, v1, v18, vcc
	v_add_f32_e32 v2, 1.0, v18
	v_rcp_f32_e32 v18, v21
	v_rcp_f32_e32 v19, v2
	v_pk_mul_f32 v[10:11], v[16:17], v[10:11]
	v_med3_f32 v2, -s6, v20, s6
	;;#ASMSTART
	v_pk_mul_f32 v[6:7], v[10:11], v[6:7]
	;;#ASMEND
	v_pk_mul_f32 v[10:11], v[18:19], v[14:15]
	v_lshlrev_b32_e32 v16, 16, v4
	;;#ASMSTART
	v_pk_mul_f32 v[2:3], v[10:11], v[2:3]
	;;#ASMEND
	v_and_b32_e32 v11, 0xffff0000, v8
	v_lshlrev_b32_e32 v8, 16, v8
	v_max_f32_e32 v8, v8, v8
	v_min_f32_e32 v8, v8, v13
	v_and_b32_e32 v10, 0xffff0000, v8
	v_mul_f32_e32 v8, 0xbfb8aa3b, v10
	v_fma_f32 v14, v10, s16, -v8
	v_rndne_f32_e32 v15, v8
	v_fmac_f32_e32 v14, 0xb2a5705f, v10
	v_sub_f32_e32 v8, v8, v15
	v_add_f32_e32 v8, v8, v14
	v_exp_f32_e32 v8, v8
	v_cvt_i32_f32_e32 v14, v15
	v_max_f32_e32 v11, v11, v11
	v_min_f32_e32 v11, v11, v13
	v_and_b32_e32 v11, 0xffff0000, v11
	v_ldexp_f32 v8, v8, v14
	v_mul_f32_e32 v14, 0xbfb8aa3b, v11
	v_fma_f32 v15, v11, s16, -v14
	v_rndne_f32_e32 v17, v14
	v_fmac_f32_e32 v15, 0xb2a5705f, v11
	v_sub_f32_e32 v14, v14, v17
	v_add_f32_e32 v14, v14, v15
	v_cmp_nlt_f32_e32 vcc, s10, v10
	v_exp_f32_e32 v15, v14
	v_cvt_i32_f32_e32 v17, v17
	v_cndmask_b32_e32 v8, 0, v8, vcc
	v_cmp_ngt_f32_e32 vcc, s11, v10
	v_and_b32_e32 v4, 0xffff0000, v4
	v_med3_f32 v16, -s6, v16, s6
	v_cndmask_b32_e32 v8, v1, v8, vcc
	v_add_f32_e32 v8, 1.0, v8
	v_rcp_f32_e32 v14, v8
	v_ldexp_f32 v8, v15, v17
	v_cmp_nlt_f32_e32 vcc, s10, v11
	v_med3_f32 v17, -s6, v4, s6
	v_lshlrev_b32_e32 v4, 16, v5
	v_cndmask_b32_e32 v8, 0, v8, vcc
	v_cmp_ngt_f32_e32 vcc, s11, v11
	v_med3_f32 v4, -s6, v4, s6
	s_nop 0
	v_cndmask_b32_e32 v8, v1, v8, vcc
	v_add_f32_e32 v8, 1.0, v8
	v_rcp_f32_e32 v15, v8
	v_lshlrev_b32_e32 v8, 16, v9
	v_max_f32_e32 v8, v8, v8
	v_min_f32_e32 v8, v8, v13
	v_and_b32_e32 v8, 0xffff0000, v8
	v_pk_mul_f32 v[10:11], v[14:15], v[10:11]
	v_and_b32_e32 v14, 0xffff0000, v9
	v_mul_f32_e32 v9, 0xbfb8aa3b, v8
	;;#ASMSTART
	v_pk_mul_f32 v[10:11], v[10:11], v[16:17]
	;;#ASMEND
	v_fma_f32 v15, v8, s16, -v9
	v_rndne_f32_e32 v16, v9
	v_fmac_f32_e32 v15, 0xb2a5705f, v8
	v_sub_f32_e32 v9, v9, v16
	v_add_f32_e32 v9, v9, v15
	v_exp_f32_e32 v15, v9
	v_cvt_i32_f32_e32 v16, v16
	v_max_f32_e32 v9, v14, v14
	v_min_f32_e32 v9, v9, v13
	v_and_b32_e32 v9, 0xffff0000, v9
	v_mul_f32_e32 v14, 0xbfb8aa3b, v9
	v_ldexp_f32 v13, v15, v16
	v_fma_f32 v15, v9, s16, -v14
	v_rndne_f32_e32 v16, v14
	v_fmac_f32_e32 v15, 0xb2a5705f, v9
	v_sub_f32_e32 v14, v14, v16
	v_add_f32_e32 v14, v14, v15
	v_cmp_nlt_f32_e32 vcc, s10, v8
	v_exp_f32_e32 v15, v14
	v_cvt_i32_f32_e32 v16, v16
	v_cndmask_b32_e32 v13, 0, v13, vcc
	v_cmp_ngt_f32_e32 vcc, s11, v8
	s_nop 1
	v_cndmask_b32_e32 v13, v1, v13, vcc
	v_add_f32_e32 v13, 1.0, v13
	v_rcp_f32_e32 v14, v13
	v_ldexp_f32 v13, v15, v16
	v_cmp_nlt_f32_e32 vcc, s10, v9
	s_nop 1
	v_cndmask_b32_e32 v13, 0, v13, vcc
	v_cmp_ngt_f32_e32 vcc, s11, v9
	s_nop 1
	v_cndmask_b32_e32 v1, v1, v13, vcc
	v_add_f32_e32 v1, 1.0, v1
	v_rcp_f32_e32 v15, v1
	v_and_b32_e32 v1, 0xffff0000, v5
	v_med3_f32 v5, -s6, v1, s6
	s_ashr_i32 s6, s5, 31
	v_pk_mul_f32 v[8:9], v[14:15], v[8:9]
	v_and_b32_e32 v1, 0x7fffffff, v6
	s_lshr_b32 s6, s6, 29
	;;#ASMSTART
	v_pk_mul_f32 v[4:5], v[8:9], v[4:5]
	;;#ASMEND
	v_and_b32_e32 v8, 0x7fffffff, v7
	v_mov_b32_e32 v9, 0x2edbe6ff
	;;#ASMSTART
	v_max3_f32 v1, v9, v1, v8

	;;#ASMEND
	s_add_i32 s6, s5, s6
	v_and_b32_e32 v8, 0x7fffffff, v2
	v_and_b32_e32 v9, 0x7fffffff, v3
	;;#ASMSTART
	v_max3_f32 v1, v1, v8, v9

	;;#ASMEND
	s_ashr_i32 s6, s6, 3
	v_and_b32_e32 v8, 0x7fffffff, v10
	v_and_b32_e32 v9, 0x7fffffff, v11
	;;#ASMSTART
	v_max3_f32 v1, v1, v8, v9

	;;#ASMEND
	s_cmp_lt_i32 s6, 16
	v_and_b32_e32 v8, 0x7fffffff, v4
	v_and_b32_e32 v9, 0x7fffffff, v5
	;;#ASMSTART
	v_max3_f32 v1, v1, v8, v9

	;;#ASMEND
	s_cbranch_scc1 .LBB520_7
; %bb.2:
	s_cmp_lt_i32 s6, 32
	s_cbranch_scc1 .LBB520_8
; %bb.3:
	s_cmp_lt_i32 s6, 64
	s_cbranch_scc1 .LBB520_9
; %bb.4:
	s_cmp_eq_u32 s6, 64
	v_mov_b32_e32 v8, v1
	s_cbranch_scc0 .LBB520_6
; %bb.5:
	s_nop 0
	v_mov_b32_dpp v8, v1 quad_perm:[1,0,3,2] row_mask:0xf bank_mask:0xf
	v_cmp_gt_f32_e32 vcc, v1, v8
	v_bfrev_b32_e32 v13, 0.5
	s_nop 0
	v_cndmask_b32_e32 v8, v8, v1, vcc
	s_nop 1
	v_mov_b32_dpp v9, v8 quad_perm:[2,3,0,1] row_mask:0xf bank_mask:0xf
	v_cmp_gt_f32_e32 vcc, v8, v9
	s_nop 1
	v_cndmask_b32_e32 v8, v9, v8, vcc
	s_nop 1
	v_mov_b32_dpp v9, v8 row_ror:4 row_mask:0xf bank_mask:0xf
	v_cmp_gt_f32_e32 vcc, v8, v9
	s_nop 1
	v_cndmask_b32_e32 v8, v9, v8, vcc
	s_nop 1
	v_mov_b32_dpp v9, v8 row_ror:8 row_mask:0xf bank_mask:0xf
	v_cmp_gt_f32_e32 vcc, v8, v9
	s_nop 1
	v_cndmask_b32_e32 v8, v9, v8, vcc
	s_nop 1
	v_mov_b32_dpp v9, v8 row_bcast:15 row_mask:0xf bank_mask:0xf
	v_cmp_gt_f32_e32 vcc, v8, v9
	s_nop 1
	v_cndmask_b32_e32 v8, v9, v8, vcc
	s_nop 1
	v_mov_b32_dpp v9, v8 row_bcast:31 row_mask:0xf bank_mask:0xf
	v_cmp_gt_f32_e32 vcc, v8, v9
	s_nop 1
	v_cndmask_b32_e32 v8, v9, v8, vcc
	v_mbcnt_lo_u32_b32 v9, -1, 0
	v_mbcnt_hi_u32_b32 v9, -1, v9
	v_lshl_or_b32 v9, v9, 2, v13
	ds_bpermute_b32 v8, v9, v8
.LBB520_6:
	s_cbranch_execz .LBB520_10
	s_branch .LBB520_12
.LBB520_7:
                                        ; implicit-def: $vgpr8
	s_branch .LBB520_16
.LBB520_8:
                                        ; implicit-def: $vgpr8
	s_branch .LBB520_13
.LBB520_9:
                                        ; implicit-def: $vgpr8
.LBB520_10:
	s_cmp_eq_u32 s6, 32
	s_waitcnt lgkmcnt(0)
	v_mov_b32_e32 v8, v1
	s_cbranch_scc0 .LBB520_12
; %bb.11:
	s_nop 0
	v_mov_b32_dpp v8, v1 quad_perm:[1,0,3,2] row_mask:0xf bank_mask:0xf
	v_cmp_gt_f32_e32 vcc, v1, v8
	v_mov_b32_e32 v13, 0x7c
	s_nop 0
	v_cndmask_b32_e32 v8, v8, v1, vcc
	s_nop 1
	v_mov_b32_dpp v9, v8 quad_perm:[2,3,0,1] row_mask:0xf bank_mask:0xf
	v_cmp_gt_f32_e32 vcc, v8, v9
	s_nop 1
	v_cndmask_b32_e32 v8, v9, v8, vcc
	s_nop 1
	v_mov_b32_dpp v9, v8 row_half_mirror row_mask:0xf bank_mask:0xf
	v_cmp_gt_f32_e32 vcc, v8, v9
	s_nop 1
	v_cndmask_b32_e32 v8, v9, v8, vcc
	s_nop 1
	v_mov_b32_dpp v9, v8 row_mirror row_mask:0xf bank_mask:0xf
	v_cmp_gt_f32_e32 vcc, v8, v9
	s_nop 1
	v_cndmask_b32_e32 v8, v9, v8, vcc
	s_nop 1
	v_mov_b32_dpp v9, v8 row_bcast:15 row_mask:0xa bank_mask:0xf
	v_cmp_gt_f32_e32 vcc, v8, v9
	s_nop 1
	v_cndmask_b32_e32 v8, v9, v8, vcc
	v_mbcnt_lo_u32_b32 v9, -1, 0
	v_mbcnt_hi_u32_b32 v9, -1, v9
	v_lshl_or_b32 v9, v9, 2, v13
	ds_bpermute_b32 v8, v9, v8
.LBB520_12:
	s_cbranch_execnz .LBB520_15
.LBB520_13:
	s_cmp_eq_u32 s6, 16
	s_waitcnt lgkmcnt(0)
	v_mov_b32_e32 v8, v1
	s_cbranch_scc0 .LBB520_15
; %bb.14:
	s_nop 0
	v_mov_b32_dpp v8, v1 quad_perm:[1,0,3,2] row_mask:0xf bank_mask:0xf
	v_cmp_gt_f32_e32 vcc, v1, v8
	s_nop 1
	v_cndmask_b32_e32 v8, v8, v1, vcc
	s_nop 1
	v_mov_b32_dpp v9, v8 quad_perm:[2,3,0,1] row_mask:0xf bank_mask:0xf
	v_cmp_gt_f32_e32 vcc, v8, v9
	s_nop 1
	v_cndmask_b32_e32 v8, v9, v8, vcc
	s_nop 1
	v_mov_b32_dpp v9, v8 row_half_mirror row_mask:0xf bank_mask:0xf
	v_cmp_gt_f32_e32 vcc, v8, v9
	s_nop 1
	v_cndmask_b32_e32 v8, v9, v8, vcc
	s_nop 1
	v_mov_b32_dpp v9, v8 row_mirror row_mask:0xf bank_mask:0xf
	v_cmp_gt_f32_e32 vcc, v8, v9
	s_nop 1
	v_cndmask_b32_e32 v8, v9, v8, vcc
.LBB520_15:
	s_cbranch_execnz .LBB520_29
.LBB520_16:
	s_cmp_lt_i32 s6, 4
	s_cbranch_scc1 .LBB520_20
; %bb.17:
	s_cmp_lt_i32 s6, 8
	s_cbranch_scc1 .LBB520_21
; %bb.18:
	s_cmp_eq_u32 s6, 8
	s_waitcnt lgkmcnt(0)
	v_mov_b32_e32 v8, v1
	s_cbranch_scc0 .LBB520_22
; %bb.19:
	s_nop 0
	v_mov_b32_dpp v8, v1 quad_perm:[1,0,3,2] row_mask:0xf bank_mask:0xf
	v_cmp_gt_f32_e32 vcc, v1, v8
	s_nop 1
	v_cndmask_b32_e32 v8, v8, v1, vcc
	s_nop 1
	v_mov_b32_dpp v9, v8 quad_perm:[2,3,0,1] row_mask:0xf bank_mask:0xf
	v_cmp_gt_f32_e32 vcc, v8, v9
	s_nop 1
	v_cndmask_b32_e32 v8, v9, v8, vcc
	s_nop 1
	v_mov_b32_dpp v9, v8 row_half_mirror row_mask:0xf bank_mask:0xf
	v_cmp_gt_f32_e32 vcc, v8, v9
	s_nop 1
	v_cndmask_b32_e32 v8, v9, v8, vcc
	s_cbranch_execz .LBB520_23
	s_branch .LBB520_25
.LBB520_20:
                                        ; implicit-def: $vgpr8
	s_branch .LBB520_26
.LBB520_21:
                                        ; implicit-def: $vgpr8
	s_branch .LBB520_23
.LBB520_22:
	s_cbranch_execnz .LBB520_25
.LBB520_23:
	s_cmp_eq_u32 s6, 4
	s_waitcnt lgkmcnt(0)
	v_mov_b32_e32 v8, v1
	s_cbranch_scc0 .LBB520_25
; %bb.24:
	s_nop 0
	v_mov_b32_dpp v8, v1 quad_perm:[1,0,3,2] row_mask:0xf bank_mask:0xf
	v_cmp_gt_f32_e32 vcc, v1, v8
	s_nop 1
	v_cndmask_b32_e32 v8, v8, v1, vcc
	s_nop 1
	v_mov_b32_dpp v9, v8 quad_perm:[2,3,0,1] row_mask:0xf bank_mask:0xf
	v_cmp_gt_f32_e32 vcc, v8, v9
	s_nop 1
	v_cndmask_b32_e32 v8, v9, v8, vcc
.LBB520_25:
	s_cbranch_execnz .LBB520_29
.LBB520_26:
	s_cmp_lg_u32 s6, 2
	s_cbranch_scc1 .LBB520_28
; %bb.27:
	s_waitcnt lgkmcnt(0)
	v_mov_b32_dpp v8, v1 quad_perm:[1,0,3,2] row_mask:0xf bank_mask:0xf
	v_cmp_gt_f32_e32 vcc, v1, v8
	s_nop 1
	v_cndmask_b32_e32 v1, v8, v1, vcc
.LBB520_28:
	s_waitcnt lgkmcnt(0)
	v_mov_b32_e32 v8, v1
.LBB520_29:
	s_abs_i32 s10, s6
	v_cvt_f32_u32_e32 v1, s10
	s_sub_i32 s16, 0, s10
	s_waitcnt lgkmcnt(0)
	v_mul_f32_e32 v13, 0x3b888889, v8
	s_ashr_i32 s11, s6, 31
	v_rcp_iflag_f32_e32 v1, v1
	s_nop 0
	v_mul_f32_e32 v1, 0x4f7ffffe, v1
	v_cvt_u32_f32_e32 v1, v1
	v_mul_lo_u32 v8, s16, v1
	v_mul_hi_u32 v8, v1, v8
	v_add_u32_e32 v1, v1, v8
	v_mul_hi_u32 v1, v0, v1
	v_mul_lo_u32 v8, v1, s10
	v_sub_u32_e32 v8, v0, v8
	v_add_u32_e32 v9, 1, v1
	v_cmp_le_u32_e32 vcc, s10, v8
	s_nop 1
	v_cndmask_b32_e32 v1, v1, v9, vcc
	v_subrev_u32_e32 v9, s10, v8
	v_cndmask_b32_e32 v8, v8, v9, vcc
	v_add_u32_e32 v9, 1, v1
	v_cmp_le_u32_e32 vcc, s10, v8
	s_nop 1
	v_cndmask_b32_e32 v1, v1, v9, vcc
	v_xor_b32_e32 v1, s11, v1
	v_subrev_u32_e32 v8, s11, v1
	v_mul_lo_u32 v1, v8, s6
	v_sub_u32_e32 v0, v0, v1
	v_cmp_eq_u32_e32 vcc, 0, v0
	s_and_saveexec_b64 s[10:11], vcc
	s_cbranch_execz .LBB520_35
; %bb.30:
	s_bitcmp0_b32 s7, 0
	s_cbranch_scc0 .LBB520_32
; %bb.31:
	s_abs_i32 s6, s5
	v_cvt_f32_u32_e32 v0, s6
	s_sub_i32 s16, 0, s6
	s_abs_i32 s7, s12
	s_xor_b32 s5, s12, s5
	v_rcp_iflag_f32_e32 v0, v0
	s_ashr_i32 s5, s5, 31
	v_ashrrev_i32_e32 v9, 31, v8
	v_mov_b32_e32 v1, s2
	v_mul_f32_e32 v0, 0x4f7ffffe, v0
	v_cvt_u32_f32_e32 v0, v0
	s_nop 0
	v_readfirstlane_b32 s17, v0
	s_mul_i32 s16, s16, s17
	s_mul_hi_u32 s16, s17, s16
	s_add_i32 s17, s17, s16
	s_mul_hi_u32 s16, s7, s17
	s_mul_i32 s17, s16, s6
	s_sub_i32 s7, s7, s17
	s_add_i32 s18, s16, 1
	s_sub_i32 s17, s7, s6
	s_cmp_ge_u32 s7, s6
	s_cselect_b32 s16, s18, s16
	s_cselect_b32 s7, s17, s7
	s_add_i32 s17, s16, 1
	s_cmp_ge_u32 s7, s6
	s_cselect_b32 s6, s17, s16
	s_xor_b32 s6, s6, s5
	s_sub_i32 s5, s6, s5
	s_ashr_i32 s6, s5, 31
	s_mul_i32 s16, s6, s2
	v_mad_u64_u32 v[0:1], s[6:7], s5, v1, v[8:9]
	v_add_u32_e32 v1, s16, v1
	s_cbranch_execz .LBB520_33
	s_branch .LBB520_34
.LBB520_32:
                                        ; implicit-def: $vgpr0_vgpr1
.LBB520_33:
	s_load_dword s0, s[0:1], 0x28
	v_mov_b32_e32 v1, 0
	s_waitcnt lgkmcnt(0)
	v_mul_lo_u32 v0, s0, v8
	v_lshl_add_u64 v[0:1], v[0:1], 0, s[2:3]
.LBB520_34:
	v_lshl_add_u64 v[0:1], v[0:1], 2, s[14:15]
	global_store_dword v[0:1], v13, off
.LBB520_35:
	s_or_b64 exec, exec, s[10:11]
	s_add_i32 s0, s4, 3
	s_ashr_i32 s1, s0, 31
	s_lshr_b32 s1, s1, 30
	s_add_i32 s0, s0, s1
	s_and_b32 s6, s0, -4
	s_mul_i32 s0, s13, s2
	s_mul_hi_u32 s1, s12, s2
	s_add_i32 s1, s1, s0
	s_mul_i32 s0, s12, s2
	s_add_u32 s4, s8, s0
	;;#ASMSTART
	v_rcp_f32 v0, v13
	;;#ASMEND
	s_addc_u32 s0, s9, s1
	v_mov_b32_e32 v1, v0
	;;#ASMSTART
	v_pk_mul_f32 v[6:7], v[6:7], v[0:1]
	;;#ASMEND
	v_mov_b32_e32 v8, 0xc3700000
	v_mov_b32_e32 v9, 0x43700000
	;;#ASMSTART
	v_med3_f32 v6, v6, v8, v9
v_med3_f32 v7, v7, v8, v9
v_cvt_pk_fp8_f32 v13, v6, v7
	;;#ASMEND
	;;#ASMSTART
	v_pk_mul_f32 v[2:3], v[2:3], v[0:1]
	;;#ASMEND
	s_and_b32 s5, s0, 0xffff
	;;#ASMSTART
	v_med3_f32 v2, v2, v8, v9
v_med3_f32 v3, v3, v8, v9
v_cvt_pk_fp8_f32 v6, v2, v3
	;;#ASMEND
	s_mov_b32 s0, 0x5040100
	v_perm_b32 v3, v6, v13, s0
	s_movk_i32 s0, 0xff
	v_and_b32_e32 v2, 0xffffff00, v6
	v_and_b32_sdwa v6, v3, s0 dst_sel:DWORD dst_unused:UNUSED_PAD src0_sel:WORD_1 src1_sel:DWORD
	s_mov_b32 s1, 0xffff
	v_or_b32_sdwa v2, v6, v2 dst_sel:WORD_1 dst_unused:UNUSED_PAD src0_sel:DWORD src1_sel:DWORD
	;;#ASMSTART
	v_pk_mul_f32 v[6:7], v[10:11], v[0:1]
	;;#ASMEND
	s_mov_b32 s7, 0x20000
	v_and_or_b32 v2, v3, s1, v2
	v_mov_b32_e32 v3, v6
	;;#ASMSTART
	v_med3_f32 v3, v3, v8, v9
v_med3_f32 v7, v7, v8, v9
v_cvt_pk_fp8_f32 v6, v3, v7
	;;#ASMEND
	;;#ASMSTART
	v_pk_mul_f32 v[0:1], v[4:5], v[0:1]
	;;#ASMEND
	s_nop 0
	;;#ASMSTART
	v_med3_f32 v0, v0, v8, v9
v_med3_f32 v1, v1, v8, v9
v_cvt_pk_fp8_f32 v3, v0, v1
	;;#ASMEND
	s_nop 0
	v_lshlrev_b32_e32 v0, 16, v3
	v_and_or_b32 v3, v6, s1, v0
	buffer_store_dwordx2 v[2:3], v12, s[4:7], 0 offen
	;;#ASMSTART
	s_nop 0
	;;#ASMEND
.LBB520_36:
	s_endpgm
	.section	.rodata,"a",@progbits
	.p2align	6, 0x0
	.amdhsa_kernel _ZN5aiter24act_and_mul_quant_kernelItDB8_TnPFfRKT_EXadL_ZNS_11silu_kernelItEEfS4_EELi128ELi8ELb1EEEvPT0_PS3_Pfiifb
		.amdhsa_group_segment_fixed_size 0
		.amdhsa_private_segment_fixed_size 0
		.amdhsa_kernarg_size 296
		.amdhsa_user_sgpr_count 2
		.amdhsa_user_sgpr_dispatch_ptr 0
		.amdhsa_user_sgpr_queue_ptr 0
		.amdhsa_user_sgpr_kernarg_segment_ptr 1
		.amdhsa_user_sgpr_dispatch_id 0
		.amdhsa_user_sgpr_kernarg_preload_length 0
		.amdhsa_user_sgpr_kernarg_preload_offset 0
		.amdhsa_user_sgpr_private_segment_size 0
		.amdhsa_uses_dynamic_stack 0
		.amdhsa_enable_private_segment 0
		.amdhsa_system_sgpr_workgroup_id_x 1
		.amdhsa_system_sgpr_workgroup_id_y 0
		.amdhsa_system_sgpr_workgroup_id_z 0
		.amdhsa_system_sgpr_workgroup_info 0
		.amdhsa_system_vgpr_workitem_id 0
		.amdhsa_next_free_vgpr 28
		.amdhsa_next_free_sgpr 24
		.amdhsa_accum_offset 28
		.amdhsa_reserve_vcc 1
		.amdhsa_float_round_mode_32 0
		.amdhsa_float_round_mode_16_64 0
		.amdhsa_float_denorm_mode_32 3
		.amdhsa_float_denorm_mode_16_64 3
		.amdhsa_dx10_clamp 1
		.amdhsa_ieee_mode 1
		.amdhsa_fp16_overflow 0
		.amdhsa_tg_split 0
		.amdhsa_exception_fp_ieee_invalid_op 0
		.amdhsa_exception_fp_denorm_src 0
		.amdhsa_exception_fp_ieee_div_zero 0
		.amdhsa_exception_fp_ieee_overflow 0
		.amdhsa_exception_fp_ieee_underflow 0
		.amdhsa_exception_fp_ieee_inexact 0
		.amdhsa_exception_int_div_zero 0
	.end_amdhsa_kernel
	.section	.text._ZN5aiter24act_and_mul_quant_kernelItDB8_TnPFfRKT_EXadL_ZNS_11silu_kernelItEEfS4_EELi128ELi8ELb1EEEvPT0_PS3_Pfiifb,"axG",@progbits,_ZN5aiter24act_and_mul_quant_kernelItDB8_TnPFfRKT_EXadL_ZNS_11silu_kernelItEEfS4_EELi128ELi8ELb1EEEvPT0_PS3_Pfiifb,comdat
.Lfunc_end520:
	.size	_ZN5aiter24act_and_mul_quant_kernelItDB8_TnPFfRKT_EXadL_ZNS_11silu_kernelItEEfS4_EELi128ELi8ELb1EEEvPT0_PS3_Pfiifb, .Lfunc_end520-_ZN5aiter24act_and_mul_quant_kernelItDB8_TnPFfRKT_EXadL_ZNS_11silu_kernelItEEfS4_EELi128ELi8ELb1EEEvPT0_PS3_Pfiifb
                                        ; -- End function
	.section	.AMDGPU.csdata,"",@progbits
; Kernel info:
; codeLenInByte = 2768
; NumSgprs: 30
; NumVgprs: 28
; NumAgprs: 0
; TotalNumVgprs: 28
; ScratchSize: 0
; MemoryBound: 0
; FloatMode: 240
; IeeeMode: 1
; LDSByteSize: 0 bytes/workgroup (compile time only)
; SGPRBlocks: 3
; VGPRBlocks: 3
; NumSGPRsForWavesPerEU: 30
; NumVGPRsForWavesPerEU: 28
; AccumOffset: 28
; Occupancy: 8
; WaveLimiterHint : 0
; COMPUTE_PGM_RSRC2:SCRATCH_EN: 0
; COMPUTE_PGM_RSRC2:USER_SGPR: 2
; COMPUTE_PGM_RSRC2:TRAP_HANDLER: 0
; COMPUTE_PGM_RSRC2:TGID_X_EN: 1
; COMPUTE_PGM_RSRC2:TGID_Y_EN: 0
; COMPUTE_PGM_RSRC2:TGID_Z_EN: 0
; COMPUTE_PGM_RSRC2:TIDIG_COMP_CNT: 0
; COMPUTE_PGM_RSRC3_GFX90A:ACCUM_OFFSET: 6
; COMPUTE_PGM_RSRC3_GFX90A:TG_SPLIT: 0
	.section	.text._ZN5aiter24act_and_mul_quant_kernelIDF16_DB8_TnPFfRKT_EXadL_ZNS_11silu_kernelIDF16_EEfS4_EELi256ELi8ELb1EEEvPT0_PS3_Pfiifb,"axG",@progbits,_ZN5aiter24act_and_mul_quant_kernelIDF16_DB8_TnPFfRKT_EXadL_ZNS_11silu_kernelIDF16_EEfS4_EELi256ELi8ELb1EEEvPT0_PS3_Pfiifb,comdat
	.protected	_ZN5aiter24act_and_mul_quant_kernelIDF16_DB8_TnPFfRKT_EXadL_ZNS_11silu_kernelIDF16_EEfS4_EELi256ELi8ELb1EEEvPT0_PS3_Pfiifb ; -- Begin function _ZN5aiter24act_and_mul_quant_kernelIDF16_DB8_TnPFfRKT_EXadL_ZNS_11silu_kernelIDF16_EEfS4_EELi256ELi8ELb1EEEvPT0_PS3_Pfiifb
	.globl	_ZN5aiter24act_and_mul_quant_kernelIDF16_DB8_TnPFfRKT_EXadL_ZNS_11silu_kernelIDF16_EEfS4_EELi256ELi8ELb1EEEvPT0_PS3_Pfiifb
	.p2align	8
	.type	_ZN5aiter24act_and_mul_quant_kernelIDF16_DB8_TnPFfRKT_EXadL_ZNS_11silu_kernelIDF16_EEfS4_EELi256ELi8ELb1EEEvPT0_PS3_Pfiifb,@function
_ZN5aiter24act_and_mul_quant_kernelIDF16_DB8_TnPFfRKT_EXadL_ZNS_11silu_kernelIDF16_EEfS4_EELi256ELi8ELb1EEEvPT0_PS3_Pfiifb: ; @_ZN5aiter24act_and_mul_quant_kernelIDF16_DB8_TnPFfRKT_EXadL_ZNS_11silu_kernelIDF16_EEfS4_EELi256ELi8ELb1EEEvPT0_PS3_Pfiifb
; %bb.0:
	s_load_dwordx4 s[4:7], s[0:1], 0x18
	v_lshlrev_b32_e32 v12, 3, v0
	s_waitcnt lgkmcnt(0)
	v_cmp_gt_i32_e32 vcc, s4, v12
	s_and_saveexec_b64 s[8:9], vcc
	s_cbranch_execz .LBB521_36
; %bb.1:
	s_load_dwordx4 s[8:11], s[0:1], 0x0
	s_load_dwordx2 s[14:15], s[0:1], 0x10
	s_ashr_i32 s13, s4, 31
	s_mul_hi_u32 s3, s2, s4
	s_mul_i32 s16, s2, s13
	s_add_i32 s17, s3, s16
	s_mul_i32 s16, s2, s4
	s_lshl_b64 s[16:17], s[16:17], 2
	s_mov_b32 s12, s4
	s_waitcnt lgkmcnt(0)
	s_add_u32 s16, s10, s16
	s_addc_u32 s3, s11, s17
	s_lshl_b64 s[10:11], s[12:13], 1
	s_add_u32 s20, s16, s10
	s_addc_u32 s10, s3, s11
	s_lshl_b32 s11, s4, 1
	s_add_i32 s11, s11, 2
	s_and_b32 s22, s11, -4
	s_mov_b32 s23, 0x20000
	s_and_b32 s21, s10, 0xffff
	s_and_b32 s17, s3, 0xffff
	s_mov_b32 s18, s22
	v_lshlrev_b32_e32 v1, 4, v0
	s_mov_b32 s19, s23
	buffer_load_dwordx4 v[2:5], v1, s[20:23], 0 offen sc0 nt
	buffer_load_dwordx4 v[6:9], v1, s[16:19], 0 offen sc0 nt
	v_max_f32_e64 v10, s6, s6
	s_mov_b32 s11, 0xbfb8aa3b
	s_mov_b32 s17, 0xb2a5705f
	s_mov_b32 s10, 0x42ce8ed0
	s_mov_b32 s16, 0xc2b17218
	v_mov_b32_e32 v1, 0x7f800000
	s_mov_b32 s3, 0
	s_waitcnt vmcnt(1)
	v_cvt_f32_f16_e32 v11, v2
	v_cvt_f32_f16_sdwa v13, v2 dst_sel:DWORD dst_unused:UNUSED_PAD src0_sel:WORD_1
	s_waitcnt vmcnt(0)
	v_cvt_f32_f16_e32 v2, v6
	v_cvt_f32_f16_sdwa v6, v6 dst_sel:DWORD dst_unused:UNUSED_PAD src0_sel:WORD_1
	v_cvt_f32_f16_sdwa v16, v7 dst_sel:DWORD dst_unused:UNUSED_PAD src0_sel:WORD_1
	v_cvt_f32_f16_e32 v7, v7
	v_cvt_f32_f16_e32 v17, v8
	v_min_f32_e32 v18, v2, v10
	v_med3_f32 v2, -s6, v11, s6
	v_min_f32_e32 v6, v6, v10
	v_min_f32_e32 v11, v16, v10
	v_cvt_f16_f32_e32 v16, v18
	v_cvt_f32_f16_e32 v14, v3
	v_cvt_f32_f16_sdwa v15, v3 dst_sel:DWORD dst_unused:UNUSED_PAD src0_sel:WORD_1
	v_med3_f32 v3, -s6, v13, s6
	v_min_f32_e32 v7, v7, v10
	v_min_f32_e32 v13, v17, v10
	v_cvt_f16_f32_e32 v17, v6
	v_cvt_f16_f32_e32 v18, v7
	;; [unrolled: 1-line block ×3, first 2 shown]
	v_cvt_f32_f16_e32 v19, v16
	v_cvt_f32_f16_e32 v20, v17
	;; [unrolled: 1-line block ×4, first 2 shown]
	v_mul_f32_e32 v21, 0xbfb8aa3b, v19
	v_mul_f32_e32 v22, 0xbfb8aa3b, v20
	v_fma_mix_f32 v25, v16, s11, -v21 op_sel_hi:[1,0,0]
	v_rndne_f32_e32 v26, v21
	v_mul_f32_e32 v23, 0xbfb8aa3b, v6
	v_fma_mix_f32 v27, v17, s11, -v22 op_sel_hi:[1,0,0]
	v_rndne_f32_e32 v28, v22
	v_fma_mix_f32 v16, v16, s17, v25 op_sel_hi:[1,0,0]
	v_sub_f32_e32 v21, v21, v26
	v_mul_f32_e32 v24, 0xbfb8aa3b, v7
	v_fma_mix_f32 v29, v18, s11, -v23 op_sel_hi:[1,0,0]
	v_rndne_f32_e32 v30, v23
	v_fma_mix_f32 v17, v17, s17, v27 op_sel_hi:[1,0,0]
	v_sub_f32_e32 v22, v22, v28
	v_add_f32_e32 v16, v21, v16
	v_fma_mix_f32 v31, v11, s11, -v24 op_sel_hi:[1,0,0]
	v_rndne_f32_e32 v32, v24
	v_cvt_i32_f32_e32 v25, v26
	v_fma_mix_f32 v18, v18, s17, v29 op_sel_hi:[1,0,0]
	v_sub_f32_e32 v23, v23, v30
	v_add_f32_e32 v17, v22, v17
	v_exp_f32_e32 v16, v16
	v_cvt_i32_f32_e32 v26, v28
	v_fma_mix_f32 v11, v11, s17, v31 op_sel_hi:[1,0,0]
	v_sub_f32_e32 v24, v24, v32
	v_add_f32_e32 v18, v23, v18
	v_exp_f32_e32 v17, v17
	v_cvt_i32_f32_e32 v27, v30
	v_add_f32_e32 v11, v24, v11
	v_exp_f32_e32 v18, v18
	v_cvt_i32_f32_e32 v28, v32
	v_exp_f32_e32 v11, v11
	v_ldexp_f32 v16, v16, v25
	v_cmp_nlt_f32_e32 vcc, s10, v19
	v_ldexp_f32 v17, v17, v26
	v_ldexp_f32 v18, v18, v27
	v_cndmask_b32_e32 v16, 0, v16, vcc
	v_cmp_nlt_f32_e32 vcc, s10, v20
	v_ldexp_f32 v11, v11, v28
	v_med3_f32 v14, -s6, v14, s6
	v_cndmask_b32_e32 v17, 0, v17, vcc
	v_cmp_nlt_f32_e32 vcc, s10, v6
	v_cvt_f32_f16_sdwa v8, v8 dst_sel:DWORD dst_unused:UNUSED_PAD src0_sel:WORD_1
	v_med3_f32 v15, -s6, v15, s6
	v_cndmask_b32_e32 v18, 0, v18, vcc
	v_cmp_nlt_f32_e32 vcc, s10, v7
	v_min_f32_e32 v8, v8, v10
	s_nop 0
	v_cndmask_b32_e32 v11, 0, v11, vcc
	v_cmp_ngt_f32_e32 vcc, s16, v19
	s_nop 1
	v_cndmask_b32_e32 v16, v1, v16, vcc
	v_cmp_ngt_f32_e32 vcc, s16, v20
	v_add_f32_e32 v16, 1.0, v16
	v_rcp_f32_e32 v21, v16
	v_cndmask_b32_e32 v17, v1, v17, vcc
	v_cmp_ngt_f32_e32 vcc, s16, v6
	v_add_f32_e32 v17, 1.0, v17
	v_rcp_f32_e32 v22, v17
	;; [unrolled: 4-line block ×3, first 2 shown]
	v_cndmask_b32_e32 v11, v1, v11, vcc
	v_add_f32_e32 v11, 1.0, v11
	v_rcp_f32_e32 v17, v11
	v_cvt_f16_f32_e32 v11, v13
	v_mul_f32_e32 v18, v21, v19
	v_mul_f32_e32 v19, v22, v20
	v_pk_mul_f32 v[16:17], v[16:17], v[6:7]
	;;#ASMSTART
	v_pk_mul_f32 v[6:7], v[18:19], v[2:3]
	;;#ASMEND
	v_cvt_f32_f16_e32 v13, v4
	;;#ASMSTART
	v_pk_mul_f32 v[2:3], v[16:17], v[14:15]
	;;#ASMEND
	v_cvt_f32_f16_e32 v14, v11
	v_cvt_f16_f32_e32 v16, v8
	v_cvt_f32_f16_sdwa v4, v4 dst_sel:DWORD dst_unused:UNUSED_PAD src0_sel:WORD_1
	v_mul_f32_e32 v8, 0xbfb8aa3b, v14
	v_fma_mix_f32 v15, v11, s11, -v8 op_sel_hi:[1,0,0]
	v_cmp_nlt_f32_e32 vcc, s10, v14
	v_fma_mix_f32 v11, v11, s17, v15 op_sel_hi:[1,0,0]
	v_rndne_f32_e32 v15, v8
	v_sub_f32_e32 v8, v8, v15
	v_add_f32_e32 v8, v8, v11
	v_cvt_i32_f32_e32 v17, v15
	v_cvt_f32_f16_e32 v15, v16
	v_exp_f32_e32 v11, v8
	v_med3_f32 v8, -s6, v13, s6
	v_mul_f32_e32 v13, 0xbfb8aa3b, v15
	v_ldexp_f32 v11, v11, v17
	v_fma_mix_f32 v17, v16, s11, -v13 op_sel_hi:[1,0,0]
	v_cndmask_b32_e32 v11, 0, v11, vcc
	v_fma_mix_f32 v16, v16, s17, v17 op_sel_hi:[1,0,0]
	v_rndne_f32_e32 v17, v13
	v_sub_f32_e32 v13, v13, v17
	v_add_f32_e32 v13, v13, v16
	v_exp_f32_e32 v13, v13
	v_cvt_i32_f32_e32 v17, v17
	v_cmp_ngt_f32_e32 vcc, s16, v14
	s_nop 1
	v_cndmask_b32_e32 v11, v1, v11, vcc
	v_add_f32_e32 v11, 1.0, v11
	v_rcp_f32_e32 v16, v11
	v_ldexp_f32 v11, v13, v17
	v_cvt_f32_f16_e32 v13, v9
	v_cmp_nlt_f32_e32 vcc, s10, v15
	v_min_f32_e32 v13, v13, v10
	v_cvt_f16_f32_e32 v13, v13
	v_cndmask_b32_e32 v11, 0, v11, vcc
	v_cmp_ngt_f32_e32 vcc, s16, v15
	v_cvt_f32_f16_e32 v18, v13
	s_nop 0
	v_cndmask_b32_e32 v11, v1, v11, vcc
	v_add_f32_e32 v11, 1.0, v11
	v_rcp_f32_e32 v17, v11
	v_cvt_f32_f16_sdwa v11, v9 dst_sel:DWORD dst_unused:UNUSED_PAD src0_sel:WORD_1
	v_med3_f32 v9, -s6, v4, s6
	v_cmp_nlt_f32_e32 vcc, s10, v18
	v_pk_mul_f32 v[14:15], v[16:17], v[14:15]
	v_min_f32_e32 v4, v11, v10
	v_mul_f32_e32 v10, 0xbfb8aa3b, v18
	v_cvt_f16_f32_e32 v4, v4
	v_fma_mix_f32 v11, v13, s11, -v10 op_sel_hi:[1,0,0]
	v_cvt_f32_f16_sdwa v16, v5 dst_sel:DWORD dst_unused:UNUSED_PAD src0_sel:WORD_1
	v_fma_mix_f32 v11, v13, s17, v11 op_sel_hi:[1,0,0]
	v_rndne_f32_e32 v13, v10
	v_sub_f32_e32 v10, v10, v13
	v_add_f32_e32 v10, v10, v11
	v_exp_f32_e32 v10, v10
	v_cvt_i32_f32_e32 v11, v13
	v_cvt_f32_f16_e32 v19, v4
	v_cvt_f32_f16_e32 v13, v5
	v_ldexp_f32 v5, v10, v11
	v_mul_f32_e32 v10, 0xbfb8aa3b, v19
	v_fma_mix_f32 v11, v4, s11, -v10 op_sel_hi:[1,0,0]
	v_cndmask_b32_e32 v5, 0, v5, vcc
	v_fma_mix_f32 v4, v4, s17, v11 op_sel_hi:[1,0,0]
	v_rndne_f32_e32 v11, v10
	v_sub_f32_e32 v10, v10, v11
	v_add_f32_e32 v4, v10, v4
	v_exp_f32_e32 v4, v4
	v_cvt_i32_f32_e32 v11, v11
	v_cmp_ngt_f32_e32 vcc, s16, v18
	v_ldexp_f32 v4, v4, v11
	s_nop 0
	v_cndmask_b32_e32 v5, v1, v5, vcc
	v_cmp_nlt_f32_e32 vcc, s10, v19
	v_add_f32_e32 v5, 1.0, v5
	v_rcp_f32_e32 v10, v5
	v_cndmask_b32_e32 v4, 0, v4, vcc
	v_cmp_ngt_f32_e32 vcc, s16, v19
	s_nop 1
	v_cndmask_b32_e32 v1, v1, v4, vcc
	v_add_f32_e32 v1, 1.0, v1
	v_rcp_f32_e32 v11, v1
	;;#ASMSTART
	v_pk_mul_f32 v[4:5], v[14:15], v[8:9]
	;;#ASMEND
	v_med3_f32 v8, -s6, v13, s6
	v_med3_f32 v9, -s6, v16, s6
	s_ashr_i32 s6, s5, 31
	v_pk_mul_f32 v[10:11], v[10:11], v[18:19]
	v_and_b32_e32 v1, 0x7fffffff, v6
	s_lshr_b32 s6, s6, 29
	;;#ASMSTART
	v_pk_mul_f32 v[8:9], v[10:11], v[8:9]
	;;#ASMEND
	v_and_b32_e32 v10, 0x7fffffff, v7
	v_mov_b32_e32 v11, 0x2edbe6ff
	;;#ASMSTART
	v_max3_f32 v1, v11, v1, v10

	;;#ASMEND
	s_add_i32 s6, s5, s6
	v_and_b32_e32 v10, 0x7fffffff, v2
	v_and_b32_e32 v11, 0x7fffffff, v3
	;;#ASMSTART
	v_max3_f32 v1, v1, v10, v11

	;;#ASMEND
	s_ashr_i32 s6, s6, 3
	v_and_b32_e32 v10, 0x7fffffff, v4
	v_and_b32_e32 v11, 0x7fffffff, v5
	;;#ASMSTART
	v_max3_f32 v1, v1, v10, v11

	;;#ASMEND
	s_cmp_lt_i32 s6, 16
	v_and_b32_e32 v10, 0x7fffffff, v8
	v_and_b32_e32 v11, 0x7fffffff, v9
	;;#ASMSTART
	v_max3_f32 v1, v1, v10, v11

	;;#ASMEND
	s_cbranch_scc1 .LBB521_7
; %bb.2:
	s_cmp_lt_i32 s6, 32
	s_cbranch_scc1 .LBB521_8
; %bb.3:
	s_cmp_lt_i32 s6, 64
	s_cbranch_scc1 .LBB521_9
; %bb.4:
	s_cmp_eq_u32 s6, 64
	v_mov_b32_e32 v10, v1
	s_cbranch_scc0 .LBB521_6
; %bb.5:
	s_nop 0
	v_mov_b32_dpp v10, v1 quad_perm:[1,0,3,2] row_mask:0xf bank_mask:0xf
	v_cmp_gt_f32_e32 vcc, v1, v10
	v_bfrev_b32_e32 v13, 0.5
	s_nop 0
	v_cndmask_b32_e32 v10, v10, v1, vcc
	s_nop 1
	v_mov_b32_dpp v11, v10 quad_perm:[2,3,0,1] row_mask:0xf bank_mask:0xf
	v_cmp_gt_f32_e32 vcc, v10, v11
	s_nop 1
	v_cndmask_b32_e32 v10, v11, v10, vcc
	s_nop 1
	v_mov_b32_dpp v11, v10 row_ror:4 row_mask:0xf bank_mask:0xf
	v_cmp_gt_f32_e32 vcc, v10, v11
	s_nop 1
	v_cndmask_b32_e32 v10, v11, v10, vcc
	s_nop 1
	v_mov_b32_dpp v11, v10 row_ror:8 row_mask:0xf bank_mask:0xf
	v_cmp_gt_f32_e32 vcc, v10, v11
	s_nop 1
	v_cndmask_b32_e32 v10, v11, v10, vcc
	s_nop 1
	v_mov_b32_dpp v11, v10 row_bcast:15 row_mask:0xf bank_mask:0xf
	v_cmp_gt_f32_e32 vcc, v10, v11
	s_nop 1
	v_cndmask_b32_e32 v10, v11, v10, vcc
	s_nop 1
	v_mov_b32_dpp v11, v10 row_bcast:31 row_mask:0xf bank_mask:0xf
	v_cmp_gt_f32_e32 vcc, v10, v11
	s_nop 1
	v_cndmask_b32_e32 v10, v11, v10, vcc
	v_mbcnt_lo_u32_b32 v11, -1, 0
	v_mbcnt_hi_u32_b32 v11, -1, v11
	v_lshl_or_b32 v11, v11, 2, v13
	ds_bpermute_b32 v10, v11, v10
.LBB521_6:
	s_cbranch_execz .LBB521_10
	s_branch .LBB521_12
.LBB521_7:
                                        ; implicit-def: $vgpr10
	s_branch .LBB521_16
.LBB521_8:
                                        ; implicit-def: $vgpr10
	s_branch .LBB521_13
.LBB521_9:
                                        ; implicit-def: $vgpr10
.LBB521_10:
	s_cmp_eq_u32 s6, 32
	s_waitcnt lgkmcnt(0)
	v_mov_b32_e32 v10, v1
	s_cbranch_scc0 .LBB521_12
; %bb.11:
	s_nop 0
	v_mov_b32_dpp v10, v1 quad_perm:[1,0,3,2] row_mask:0xf bank_mask:0xf
	v_cmp_gt_f32_e32 vcc, v1, v10
	v_mov_b32_e32 v13, 0x7c
	s_nop 0
	v_cndmask_b32_e32 v10, v10, v1, vcc
	s_nop 1
	v_mov_b32_dpp v11, v10 quad_perm:[2,3,0,1] row_mask:0xf bank_mask:0xf
	v_cmp_gt_f32_e32 vcc, v10, v11
	s_nop 1
	v_cndmask_b32_e32 v10, v11, v10, vcc
	s_nop 1
	v_mov_b32_dpp v11, v10 row_half_mirror row_mask:0xf bank_mask:0xf
	v_cmp_gt_f32_e32 vcc, v10, v11
	s_nop 1
	v_cndmask_b32_e32 v10, v11, v10, vcc
	s_nop 1
	v_mov_b32_dpp v11, v10 row_mirror row_mask:0xf bank_mask:0xf
	v_cmp_gt_f32_e32 vcc, v10, v11
	s_nop 1
	v_cndmask_b32_e32 v10, v11, v10, vcc
	s_nop 1
	v_mov_b32_dpp v11, v10 row_bcast:15 row_mask:0xa bank_mask:0xf
	v_cmp_gt_f32_e32 vcc, v10, v11
	s_nop 1
	v_cndmask_b32_e32 v10, v11, v10, vcc
	v_mbcnt_lo_u32_b32 v11, -1, 0
	v_mbcnt_hi_u32_b32 v11, -1, v11
	v_lshl_or_b32 v11, v11, 2, v13
	ds_bpermute_b32 v10, v11, v10
.LBB521_12:
	s_cbranch_execnz .LBB521_15
.LBB521_13:
	s_cmp_eq_u32 s6, 16
	s_waitcnt lgkmcnt(0)
	v_mov_b32_e32 v10, v1
	s_cbranch_scc0 .LBB521_15
; %bb.14:
	s_nop 0
	v_mov_b32_dpp v10, v1 quad_perm:[1,0,3,2] row_mask:0xf bank_mask:0xf
	v_cmp_gt_f32_e32 vcc, v1, v10
	s_nop 1
	v_cndmask_b32_e32 v10, v10, v1, vcc
	s_nop 1
	v_mov_b32_dpp v11, v10 quad_perm:[2,3,0,1] row_mask:0xf bank_mask:0xf
	v_cmp_gt_f32_e32 vcc, v10, v11
	s_nop 1
	v_cndmask_b32_e32 v10, v11, v10, vcc
	s_nop 1
	v_mov_b32_dpp v11, v10 row_half_mirror row_mask:0xf bank_mask:0xf
	v_cmp_gt_f32_e32 vcc, v10, v11
	s_nop 1
	v_cndmask_b32_e32 v10, v11, v10, vcc
	s_nop 1
	v_mov_b32_dpp v11, v10 row_mirror row_mask:0xf bank_mask:0xf
	v_cmp_gt_f32_e32 vcc, v10, v11
	s_nop 1
	v_cndmask_b32_e32 v10, v11, v10, vcc
.LBB521_15:
	s_cbranch_execnz .LBB521_29
.LBB521_16:
	s_cmp_lt_i32 s6, 4
	s_cbranch_scc1 .LBB521_20
; %bb.17:
	s_cmp_lt_i32 s6, 8
	s_cbranch_scc1 .LBB521_21
; %bb.18:
	s_cmp_eq_u32 s6, 8
	s_waitcnt lgkmcnt(0)
	v_mov_b32_e32 v10, v1
	s_cbranch_scc0 .LBB521_22
; %bb.19:
	s_nop 0
	v_mov_b32_dpp v10, v1 quad_perm:[1,0,3,2] row_mask:0xf bank_mask:0xf
	v_cmp_gt_f32_e32 vcc, v1, v10
	s_nop 1
	v_cndmask_b32_e32 v10, v10, v1, vcc
	s_nop 1
	v_mov_b32_dpp v11, v10 quad_perm:[2,3,0,1] row_mask:0xf bank_mask:0xf
	v_cmp_gt_f32_e32 vcc, v10, v11
	s_nop 1
	v_cndmask_b32_e32 v10, v11, v10, vcc
	s_nop 1
	v_mov_b32_dpp v11, v10 row_half_mirror row_mask:0xf bank_mask:0xf
	v_cmp_gt_f32_e32 vcc, v10, v11
	s_nop 1
	v_cndmask_b32_e32 v10, v11, v10, vcc
	s_cbranch_execz .LBB521_23
	s_branch .LBB521_25
.LBB521_20:
                                        ; implicit-def: $vgpr10
	s_branch .LBB521_26
.LBB521_21:
                                        ; implicit-def: $vgpr10
	s_branch .LBB521_23
.LBB521_22:
	s_cbranch_execnz .LBB521_25
.LBB521_23:
	s_cmp_eq_u32 s6, 4
	s_waitcnt lgkmcnt(0)
	v_mov_b32_e32 v10, v1
	s_cbranch_scc0 .LBB521_25
; %bb.24:
	s_nop 0
	v_mov_b32_dpp v10, v1 quad_perm:[1,0,3,2] row_mask:0xf bank_mask:0xf
	v_cmp_gt_f32_e32 vcc, v1, v10
	s_nop 1
	v_cndmask_b32_e32 v10, v10, v1, vcc
	s_nop 1
	v_mov_b32_dpp v11, v10 quad_perm:[2,3,0,1] row_mask:0xf bank_mask:0xf
	v_cmp_gt_f32_e32 vcc, v10, v11
	s_nop 1
	v_cndmask_b32_e32 v10, v11, v10, vcc
.LBB521_25:
	s_cbranch_execnz .LBB521_29
.LBB521_26:
	s_cmp_lg_u32 s6, 2
	s_cbranch_scc1 .LBB521_28
; %bb.27:
	s_waitcnt lgkmcnt(0)
	v_mov_b32_dpp v10, v1 quad_perm:[1,0,3,2] row_mask:0xf bank_mask:0xf
	v_cmp_gt_f32_e32 vcc, v1, v10
	s_nop 1
	v_cndmask_b32_e32 v1, v10, v1, vcc
.LBB521_28:
	s_waitcnt lgkmcnt(0)
	v_mov_b32_e32 v10, v1
.LBB521_29:
	s_abs_i32 s10, s6
	v_cvt_f32_u32_e32 v1, s10
	s_sub_i32 s16, 0, s10
	s_waitcnt lgkmcnt(0)
	v_mul_f32_e32 v13, 0x3b888889, v10
	s_ashr_i32 s11, s6, 31
	v_rcp_iflag_f32_e32 v1, v1
	s_nop 0
	v_mul_f32_e32 v1, 0x4f7ffffe, v1
	v_cvt_u32_f32_e32 v1, v1
	v_mul_lo_u32 v10, s16, v1
	v_mul_hi_u32 v10, v1, v10
	v_add_u32_e32 v1, v1, v10
	v_mul_hi_u32 v1, v0, v1
	v_mul_lo_u32 v10, v1, s10
	v_sub_u32_e32 v10, v0, v10
	v_add_u32_e32 v11, 1, v1
	v_cmp_le_u32_e32 vcc, s10, v10
	s_nop 1
	v_cndmask_b32_e32 v1, v1, v11, vcc
	v_subrev_u32_e32 v11, s10, v10
	v_cndmask_b32_e32 v10, v10, v11, vcc
	v_add_u32_e32 v11, 1, v1
	v_cmp_le_u32_e32 vcc, s10, v10
	s_nop 1
	v_cndmask_b32_e32 v1, v1, v11, vcc
	v_xor_b32_e32 v1, s11, v1
	v_subrev_u32_e32 v10, s11, v1
	v_mul_lo_u32 v1, v10, s6
	v_sub_u32_e32 v0, v0, v1
	v_cmp_eq_u32_e32 vcc, 0, v0
	s_and_saveexec_b64 s[10:11], vcc
	s_cbranch_execz .LBB521_35
; %bb.30:
	s_bitcmp0_b32 s7, 0
	s_cbranch_scc0 .LBB521_32
; %bb.31:
	s_abs_i32 s6, s5
	v_cvt_f32_u32_e32 v0, s6
	s_sub_i32 s16, 0, s6
	s_abs_i32 s7, s12
	s_xor_b32 s5, s12, s5
	v_rcp_iflag_f32_e32 v0, v0
	s_ashr_i32 s5, s5, 31
	v_ashrrev_i32_e32 v11, 31, v10
	v_mov_b32_e32 v1, s2
	v_mul_f32_e32 v0, 0x4f7ffffe, v0
	v_cvt_u32_f32_e32 v0, v0
	s_nop 0
	v_readfirstlane_b32 s17, v0
	s_mul_i32 s16, s16, s17
	s_mul_hi_u32 s16, s17, s16
	s_add_i32 s17, s17, s16
	s_mul_hi_u32 s16, s7, s17
	s_mul_i32 s17, s16, s6
	s_sub_i32 s7, s7, s17
	s_add_i32 s18, s16, 1
	s_sub_i32 s17, s7, s6
	s_cmp_ge_u32 s7, s6
	s_cselect_b32 s16, s18, s16
	s_cselect_b32 s7, s17, s7
	s_add_i32 s17, s16, 1
	s_cmp_ge_u32 s7, s6
	s_cselect_b32 s6, s17, s16
	s_xor_b32 s6, s6, s5
	s_sub_i32 s5, s6, s5
	s_ashr_i32 s6, s5, 31
	s_mul_i32 s16, s6, s2
	v_mad_u64_u32 v[0:1], s[6:7], s5, v1, v[10:11]
	v_add_u32_e32 v1, s16, v1
	s_cbranch_execz .LBB521_33
	s_branch .LBB521_34
.LBB521_32:
                                        ; implicit-def: $vgpr0_vgpr1
.LBB521_33:
	s_load_dword s0, s[0:1], 0x28
	v_mov_b32_e32 v1, 0
	s_waitcnt lgkmcnt(0)
	v_mul_lo_u32 v0, s0, v10
	v_lshl_add_u64 v[0:1], v[0:1], 0, s[2:3]
.LBB521_34:
	v_lshl_add_u64 v[0:1], v[0:1], 2, s[14:15]
	global_store_dword v[0:1], v13, off
.LBB521_35:
	s_or_b64 exec, exec, s[10:11]
	s_add_i32 s0, s4, 3
	s_ashr_i32 s1, s0, 31
	s_lshr_b32 s1, s1, 30
	s_add_i32 s0, s0, s1
	s_and_b32 s6, s0, -4
	s_mul_i32 s0, s13, s2
	s_mul_hi_u32 s1, s12, s2
	s_add_i32 s1, s1, s0
	s_mul_i32 s0, s12, s2
	s_add_u32 s4, s8, s0
	;;#ASMSTART
	v_rcp_f32 v0, v13
	;;#ASMEND
	s_addc_u32 s0, s9, s1
	v_mov_b32_e32 v1, v0
	;;#ASMSTART
	v_pk_mul_f32 v[6:7], v[6:7], v[0:1]
	;;#ASMEND
	v_mov_b32_e32 v10, 0xc3700000
	v_mov_b32_e32 v11, 0x43700000
	;;#ASMSTART
	v_med3_f32 v6, v6, v10, v11
v_med3_f32 v7, v7, v10, v11
v_cvt_pk_fp8_f32 v13, v6, v7
	;;#ASMEND
	;;#ASMSTART
	v_pk_mul_f32 v[2:3], v[2:3], v[0:1]
	;;#ASMEND
	s_and_b32 s5, s0, 0xffff
	;;#ASMSTART
	v_med3_f32 v2, v2, v10, v11
v_med3_f32 v3, v3, v10, v11
v_cvt_pk_fp8_f32 v6, v2, v3
	;;#ASMEND
	s_mov_b32 s0, 0x5040100
	v_perm_b32 v3, v6, v13, s0
	s_movk_i32 s0, 0xff
	v_and_b32_e32 v2, 0xffffff00, v6
	v_and_b32_sdwa v6, v3, s0 dst_sel:DWORD dst_unused:UNUSED_PAD src0_sel:WORD_1 src1_sel:DWORD
	s_mov_b32 s1, 0xffff
	v_or_b32_sdwa v2, v6, v2 dst_sel:WORD_1 dst_unused:UNUSED_PAD src0_sel:DWORD src1_sel:DWORD
	;;#ASMSTART
	v_pk_mul_f32 v[4:5], v[4:5], v[0:1]
	;;#ASMEND
	s_mov_b32 s7, 0x20000
	v_and_or_b32 v2, v3, s1, v2
	v_mov_b32_e32 v3, v5
	;;#ASMSTART
	v_med3_f32 v4, v4, v10, v11
v_med3_f32 v3, v3, v10, v11
v_cvt_pk_fp8_f32 v5, v4, v3
	;;#ASMEND
	;;#ASMSTART
	v_pk_mul_f32 v[0:1], v[8:9], v[0:1]
	;;#ASMEND
	s_nop 0
	;;#ASMSTART
	v_med3_f32 v0, v0, v10, v11
v_med3_f32 v1, v1, v10, v11
v_cvt_pk_fp8_f32 v3, v0, v1
	;;#ASMEND
	s_nop 0
	v_lshlrev_b32_e32 v0, 16, v3
	v_and_or_b32 v3, v5, s1, v0
	buffer_store_dwordx2 v[2:3], v12, s[4:7], 0 offen
	;;#ASMSTART
	s_nop 0
	;;#ASMEND
.LBB521_36:
	s_endpgm
	.section	.rodata,"a",@progbits
	.p2align	6, 0x0
	.amdhsa_kernel _ZN5aiter24act_and_mul_quant_kernelIDF16_DB8_TnPFfRKT_EXadL_ZNS_11silu_kernelIDF16_EEfS4_EELi256ELi8ELb1EEEvPT0_PS3_Pfiifb
		.amdhsa_group_segment_fixed_size 0
		.amdhsa_private_segment_fixed_size 0
		.amdhsa_kernarg_size 296
		.amdhsa_user_sgpr_count 2
		.amdhsa_user_sgpr_dispatch_ptr 0
		.amdhsa_user_sgpr_queue_ptr 0
		.amdhsa_user_sgpr_kernarg_segment_ptr 1
		.amdhsa_user_sgpr_dispatch_id 0
		.amdhsa_user_sgpr_kernarg_preload_length 0
		.amdhsa_user_sgpr_kernarg_preload_offset 0
		.amdhsa_user_sgpr_private_segment_size 0
		.amdhsa_uses_dynamic_stack 0
		.amdhsa_enable_private_segment 0
		.amdhsa_system_sgpr_workgroup_id_x 1
		.amdhsa_system_sgpr_workgroup_id_y 0
		.amdhsa_system_sgpr_workgroup_id_z 0
		.amdhsa_system_sgpr_workgroup_info 0
		.amdhsa_system_vgpr_workitem_id 0
		.amdhsa_next_free_vgpr 33
		.amdhsa_next_free_sgpr 24
		.amdhsa_accum_offset 36
		.amdhsa_reserve_vcc 1
		.amdhsa_float_round_mode_32 0
		.amdhsa_float_round_mode_16_64 0
		.amdhsa_float_denorm_mode_32 3
		.amdhsa_float_denorm_mode_16_64 3
		.amdhsa_dx10_clamp 1
		.amdhsa_ieee_mode 1
		.amdhsa_fp16_overflow 0
		.amdhsa_tg_split 0
		.amdhsa_exception_fp_ieee_invalid_op 0
		.amdhsa_exception_fp_denorm_src 0
		.amdhsa_exception_fp_ieee_div_zero 0
		.amdhsa_exception_fp_ieee_overflow 0
		.amdhsa_exception_fp_ieee_underflow 0
		.amdhsa_exception_fp_ieee_inexact 0
		.amdhsa_exception_int_div_zero 0
	.end_amdhsa_kernel
	.section	.text._ZN5aiter24act_and_mul_quant_kernelIDF16_DB8_TnPFfRKT_EXadL_ZNS_11silu_kernelIDF16_EEfS4_EELi256ELi8ELb1EEEvPT0_PS3_Pfiifb,"axG",@progbits,_ZN5aiter24act_and_mul_quant_kernelIDF16_DB8_TnPFfRKT_EXadL_ZNS_11silu_kernelIDF16_EEfS4_EELi256ELi8ELb1EEEvPT0_PS3_Pfiifb,comdat
.Lfunc_end521:
	.size	_ZN5aiter24act_and_mul_quant_kernelIDF16_DB8_TnPFfRKT_EXadL_ZNS_11silu_kernelIDF16_EEfS4_EELi256ELi8ELb1EEEvPT0_PS3_Pfiifb, .Lfunc_end521-_ZN5aiter24act_and_mul_quant_kernelIDF16_DB8_TnPFfRKT_EXadL_ZNS_11silu_kernelIDF16_EEfS4_EELi256ELi8ELb1EEEvPT0_PS3_Pfiifb
                                        ; -- End function
	.section	.AMDGPU.csdata,"",@progbits
; Kernel info:
; codeLenInByte = 2740
; NumSgprs: 30
; NumVgprs: 33
; NumAgprs: 0
; TotalNumVgprs: 33
; ScratchSize: 0
; MemoryBound: 0
; FloatMode: 240
; IeeeMode: 1
; LDSByteSize: 0 bytes/workgroup (compile time only)
; SGPRBlocks: 3
; VGPRBlocks: 4
; NumSGPRsForWavesPerEU: 30
; NumVGPRsForWavesPerEU: 33
; AccumOffset: 36
; Occupancy: 8
; WaveLimiterHint : 0
; COMPUTE_PGM_RSRC2:SCRATCH_EN: 0
; COMPUTE_PGM_RSRC2:USER_SGPR: 2
; COMPUTE_PGM_RSRC2:TRAP_HANDLER: 0
; COMPUTE_PGM_RSRC2:TGID_X_EN: 1
; COMPUTE_PGM_RSRC2:TGID_Y_EN: 0
; COMPUTE_PGM_RSRC2:TGID_Z_EN: 0
; COMPUTE_PGM_RSRC2:TIDIG_COMP_CNT: 0
; COMPUTE_PGM_RSRC3_GFX90A:ACCUM_OFFSET: 8
; COMPUTE_PGM_RSRC3_GFX90A:TG_SPLIT: 0
	.section	.text._ZN5aiter24act_and_mul_quant_kernelItDB8_TnPFfRKT_EXadL_ZNS_11silu_kernelItEEfS4_EELi256ELi8ELb1EEEvPT0_PS3_Pfiifb,"axG",@progbits,_ZN5aiter24act_and_mul_quant_kernelItDB8_TnPFfRKT_EXadL_ZNS_11silu_kernelItEEfS4_EELi256ELi8ELb1EEEvPT0_PS3_Pfiifb,comdat
	.protected	_ZN5aiter24act_and_mul_quant_kernelItDB8_TnPFfRKT_EXadL_ZNS_11silu_kernelItEEfS4_EELi256ELi8ELb1EEEvPT0_PS3_Pfiifb ; -- Begin function _ZN5aiter24act_and_mul_quant_kernelItDB8_TnPFfRKT_EXadL_ZNS_11silu_kernelItEEfS4_EELi256ELi8ELb1EEEvPT0_PS3_Pfiifb
	.globl	_ZN5aiter24act_and_mul_quant_kernelItDB8_TnPFfRKT_EXadL_ZNS_11silu_kernelItEEfS4_EELi256ELi8ELb1EEEvPT0_PS3_Pfiifb
	.p2align	8
	.type	_ZN5aiter24act_and_mul_quant_kernelItDB8_TnPFfRKT_EXadL_ZNS_11silu_kernelItEEfS4_EELi256ELi8ELb1EEEvPT0_PS3_Pfiifb,@function
_ZN5aiter24act_and_mul_quant_kernelItDB8_TnPFfRKT_EXadL_ZNS_11silu_kernelItEEfS4_EELi256ELi8ELb1EEEvPT0_PS3_Pfiifb: ; @_ZN5aiter24act_and_mul_quant_kernelItDB8_TnPFfRKT_EXadL_ZNS_11silu_kernelItEEfS4_EELi256ELi8ELb1EEEvPT0_PS3_Pfiifb
; %bb.0:
	s_load_dwordx4 s[4:7], s[0:1], 0x18
	v_lshlrev_b32_e32 v12, 3, v0
	s_waitcnt lgkmcnt(0)
	v_cmp_gt_i32_e32 vcc, s4, v12
	s_and_saveexec_b64 s[8:9], vcc
	s_cbranch_execz .LBB522_36
; %bb.1:
	s_load_dwordx4 s[8:11], s[0:1], 0x0
	s_load_dwordx2 s[14:15], s[0:1], 0x10
	s_ashr_i32 s13, s4, 31
	s_mul_hi_u32 s3, s2, s4
	s_mul_i32 s16, s2, s13
	s_add_i32 s17, s3, s16
	s_mul_i32 s16, s2, s4
	s_lshl_b64 s[16:17], s[16:17], 2
	s_mov_b32 s12, s4
	s_waitcnt lgkmcnt(0)
	s_add_u32 s16, s10, s16
	s_addc_u32 s3, s11, s17
	s_lshl_b64 s[10:11], s[12:13], 1
	s_add_u32 s20, s16, s10
	s_addc_u32 s10, s3, s11
	s_lshl_b32 s11, s4, 1
	s_add_i32 s11, s11, 2
	s_and_b32 s22, s11, -4
	s_mov_b32 s23, 0x20000
	s_and_b32 s21, s10, 0xffff
	s_and_b32 s17, s3, 0xffff
	s_mov_b32 s18, s22
	v_lshlrev_b32_e32 v1, 4, v0
	s_mov_b32 s19, s23
	buffer_load_dwordx4 v[2:5], v1, s[20:23], 0 offen sc0 nt
	buffer_load_dwordx4 v[6:9], v1, s[16:19], 0 offen sc0 nt
	v_max_f32_e64 v13, s6, s6
	s_mov_b32 s16, 0xbfb8aa3b
	s_mov_b32 s10, 0x42ce8ed0
	s_mov_b32 s11, 0xc2b17218
	v_mov_b32_e32 v1, 0x7f800000
	s_mov_b32 s3, 0
	s_waitcnt vmcnt(1)
	v_lshlrev_b32_e32 v10, 16, v2
	v_and_b32_e32 v2, 0xffff0000, v2
	s_waitcnt vmcnt(0)
	v_and_b32_e32 v11, 0xffff0000, v6
	v_lshlrev_b32_e32 v14, 16, v6
	v_and_b32_e32 v15, 0xffff0000, v7
	v_lshlrev_b32_e32 v16, 16, v7
	v_med3_f32 v6, -s6, v10, s6
	v_med3_f32 v7, -s6, v2, s6
	v_max_f32_e32 v2, v14, v14
	v_max_f32_e32 v10, v11, v11
	;; [unrolled: 1-line block ×3, first 2 shown]
	v_min_f32_e32 v2, v2, v13
	v_min_f32_e32 v10, v10, v13
	v_max_f32_e32 v14, v15, v15
	v_min_f32_e32 v16, v11, v13
	v_and_b32_e32 v11, 0xffff0000, v10
	v_and_b32_e32 v10, 0xffff0000, v2
	v_min_f32_e32 v14, v14, v13
	v_mul_f32_e32 v2, 0xbfb8aa3b, v10
	v_and_b32_e32 v15, 0xffff0000, v14
	v_and_b32_e32 v14, 0xffff0000, v16
	v_mul_f32_e32 v16, 0xbfb8aa3b, v11
	v_fma_f32 v19, v10, s16, -v2
	v_rndne_f32_e32 v21, v2
	v_mul_f32_e32 v17, 0xbfb8aa3b, v14
	v_fma_f32 v22, v11, s16, -v16
	v_rndne_f32_e32 v23, v16
	v_fmac_f32_e32 v19, 0xb2a5705f, v10
	v_sub_f32_e32 v2, v2, v21
	v_mul_f32_e32 v18, 0xbfb8aa3b, v15
	v_fma_f32 v24, v14, s16, -v17
	v_rndne_f32_e32 v25, v17
	v_fmac_f32_e32 v22, 0xb2a5705f, v11
	v_sub_f32_e32 v16, v16, v23
	v_add_f32_e32 v2, v2, v19
	v_fma_f32 v26, v15, s16, -v18
	v_rndne_f32_e32 v27, v18
	v_cvt_i32_f32_e32 v21, v21
	v_fmac_f32_e32 v24, 0xb2a5705f, v14
	v_sub_f32_e32 v17, v17, v25
	v_add_f32_e32 v16, v16, v22
	v_exp_f32_e32 v2, v2
	v_cvt_i32_f32_e32 v23, v23
	v_fmac_f32_e32 v26, 0xb2a5705f, v15
	v_sub_f32_e32 v18, v18, v27
	v_add_f32_e32 v17, v17, v24
	v_exp_f32_e32 v16, v16
	v_cvt_i32_f32_e32 v25, v25
	v_add_f32_e32 v18, v18, v26
	v_exp_f32_e32 v17, v17
	v_cvt_i32_f32_e32 v27, v27
	v_exp_f32_e32 v18, v18
	v_ldexp_f32 v2, v2, v21
	v_cmp_nlt_f32_e32 vcc, s10, v10
	v_ldexp_f32 v16, v16, v23
	v_ldexp_f32 v17, v17, v25
	v_cndmask_b32_e32 v2, 0, v2, vcc
	v_cmp_nlt_f32_e32 vcc, s10, v11
	v_ldexp_f32 v18, v18, v27
	v_lshlrev_b32_e32 v20, 16, v3
	v_cndmask_b32_e32 v16, 0, v16, vcc
	v_cmp_nlt_f32_e32 vcc, s10, v14
	v_and_b32_e32 v3, 0xffff0000, v3
	v_med3_f32 v3, -s6, v3, s6
	v_cndmask_b32_e32 v17, 0, v17, vcc
	v_cmp_nlt_f32_e32 vcc, s10, v15
	s_nop 1
	v_cndmask_b32_e32 v18, 0, v18, vcc
	v_cmp_ngt_f32_e32 vcc, s11, v10
	s_nop 1
	v_cndmask_b32_e32 v2, v1, v2, vcc
	v_cmp_ngt_f32_e32 vcc, s11, v11
	v_add_f32_e32 v2, 1.0, v2
	s_nop 0
	v_cndmask_b32_e32 v16, v1, v16, vcc
	v_cmp_ngt_f32_e32 vcc, s11, v14
	v_add_f32_e32 v19, 1.0, v16
	v_rcp_f32_e32 v16, v2
	v_cndmask_b32_e32 v17, v1, v17, vcc
	v_cmp_ngt_f32_e32 vcc, s11, v15
	v_add_f32_e32 v21, 1.0, v17
	v_rcp_f32_e32 v17, v19
	v_cndmask_b32_e32 v18, v1, v18, vcc
	v_add_f32_e32 v2, 1.0, v18
	v_rcp_f32_e32 v18, v21
	v_rcp_f32_e32 v19, v2
	v_pk_mul_f32 v[10:11], v[16:17], v[10:11]
	v_med3_f32 v2, -s6, v20, s6
	;;#ASMSTART
	v_pk_mul_f32 v[6:7], v[10:11], v[6:7]
	;;#ASMEND
	v_pk_mul_f32 v[10:11], v[18:19], v[14:15]
	v_lshlrev_b32_e32 v16, 16, v4
	;;#ASMSTART
	v_pk_mul_f32 v[2:3], v[10:11], v[2:3]
	;;#ASMEND
	v_and_b32_e32 v11, 0xffff0000, v8
	v_lshlrev_b32_e32 v8, 16, v8
	v_max_f32_e32 v8, v8, v8
	v_min_f32_e32 v8, v8, v13
	v_and_b32_e32 v10, 0xffff0000, v8
	v_mul_f32_e32 v8, 0xbfb8aa3b, v10
	v_fma_f32 v14, v10, s16, -v8
	v_rndne_f32_e32 v15, v8
	v_fmac_f32_e32 v14, 0xb2a5705f, v10
	v_sub_f32_e32 v8, v8, v15
	v_add_f32_e32 v8, v8, v14
	v_exp_f32_e32 v8, v8
	v_cvt_i32_f32_e32 v14, v15
	v_max_f32_e32 v11, v11, v11
	v_min_f32_e32 v11, v11, v13
	v_and_b32_e32 v11, 0xffff0000, v11
	v_ldexp_f32 v8, v8, v14
	v_mul_f32_e32 v14, 0xbfb8aa3b, v11
	v_fma_f32 v15, v11, s16, -v14
	v_rndne_f32_e32 v17, v14
	v_fmac_f32_e32 v15, 0xb2a5705f, v11
	v_sub_f32_e32 v14, v14, v17
	v_add_f32_e32 v14, v14, v15
	v_cmp_nlt_f32_e32 vcc, s10, v10
	v_exp_f32_e32 v15, v14
	v_cvt_i32_f32_e32 v17, v17
	v_cndmask_b32_e32 v8, 0, v8, vcc
	v_cmp_ngt_f32_e32 vcc, s11, v10
	v_and_b32_e32 v4, 0xffff0000, v4
	v_med3_f32 v16, -s6, v16, s6
	v_cndmask_b32_e32 v8, v1, v8, vcc
	v_add_f32_e32 v8, 1.0, v8
	v_rcp_f32_e32 v14, v8
	v_ldexp_f32 v8, v15, v17
	v_cmp_nlt_f32_e32 vcc, s10, v11
	v_med3_f32 v17, -s6, v4, s6
	v_lshlrev_b32_e32 v4, 16, v5
	v_cndmask_b32_e32 v8, 0, v8, vcc
	v_cmp_ngt_f32_e32 vcc, s11, v11
	v_med3_f32 v4, -s6, v4, s6
	s_nop 0
	v_cndmask_b32_e32 v8, v1, v8, vcc
	v_add_f32_e32 v8, 1.0, v8
	v_rcp_f32_e32 v15, v8
	v_lshlrev_b32_e32 v8, 16, v9
	v_max_f32_e32 v8, v8, v8
	v_min_f32_e32 v8, v8, v13
	v_and_b32_e32 v8, 0xffff0000, v8
	v_pk_mul_f32 v[10:11], v[14:15], v[10:11]
	v_and_b32_e32 v14, 0xffff0000, v9
	v_mul_f32_e32 v9, 0xbfb8aa3b, v8
	;;#ASMSTART
	v_pk_mul_f32 v[10:11], v[10:11], v[16:17]
	;;#ASMEND
	v_fma_f32 v15, v8, s16, -v9
	v_rndne_f32_e32 v16, v9
	v_fmac_f32_e32 v15, 0xb2a5705f, v8
	v_sub_f32_e32 v9, v9, v16
	v_add_f32_e32 v9, v9, v15
	v_exp_f32_e32 v15, v9
	v_cvt_i32_f32_e32 v16, v16
	v_max_f32_e32 v9, v14, v14
	v_min_f32_e32 v9, v9, v13
	v_and_b32_e32 v9, 0xffff0000, v9
	v_mul_f32_e32 v14, 0xbfb8aa3b, v9
	v_ldexp_f32 v13, v15, v16
	v_fma_f32 v15, v9, s16, -v14
	v_rndne_f32_e32 v16, v14
	v_fmac_f32_e32 v15, 0xb2a5705f, v9
	v_sub_f32_e32 v14, v14, v16
	v_add_f32_e32 v14, v14, v15
	v_cmp_nlt_f32_e32 vcc, s10, v8
	v_exp_f32_e32 v15, v14
	v_cvt_i32_f32_e32 v16, v16
	v_cndmask_b32_e32 v13, 0, v13, vcc
	v_cmp_ngt_f32_e32 vcc, s11, v8
	s_nop 1
	v_cndmask_b32_e32 v13, v1, v13, vcc
	v_add_f32_e32 v13, 1.0, v13
	v_rcp_f32_e32 v14, v13
	v_ldexp_f32 v13, v15, v16
	v_cmp_nlt_f32_e32 vcc, s10, v9
	s_nop 1
	v_cndmask_b32_e32 v13, 0, v13, vcc
	v_cmp_ngt_f32_e32 vcc, s11, v9
	s_nop 1
	v_cndmask_b32_e32 v1, v1, v13, vcc
	v_add_f32_e32 v1, 1.0, v1
	v_rcp_f32_e32 v15, v1
	v_and_b32_e32 v1, 0xffff0000, v5
	v_med3_f32 v5, -s6, v1, s6
	s_ashr_i32 s6, s5, 31
	v_pk_mul_f32 v[8:9], v[14:15], v[8:9]
	v_and_b32_e32 v1, 0x7fffffff, v6
	s_lshr_b32 s6, s6, 29
	;;#ASMSTART
	v_pk_mul_f32 v[4:5], v[8:9], v[4:5]
	;;#ASMEND
	v_and_b32_e32 v8, 0x7fffffff, v7
	v_mov_b32_e32 v9, 0x2edbe6ff
	;;#ASMSTART
	v_max3_f32 v1, v9, v1, v8

	;;#ASMEND
	s_add_i32 s6, s5, s6
	v_and_b32_e32 v8, 0x7fffffff, v2
	v_and_b32_e32 v9, 0x7fffffff, v3
	;;#ASMSTART
	v_max3_f32 v1, v1, v8, v9

	;;#ASMEND
	s_ashr_i32 s6, s6, 3
	v_and_b32_e32 v8, 0x7fffffff, v10
	v_and_b32_e32 v9, 0x7fffffff, v11
	;;#ASMSTART
	v_max3_f32 v1, v1, v8, v9

	;;#ASMEND
	s_cmp_lt_i32 s6, 16
	v_and_b32_e32 v8, 0x7fffffff, v4
	v_and_b32_e32 v9, 0x7fffffff, v5
	;;#ASMSTART
	v_max3_f32 v1, v1, v8, v9

	;;#ASMEND
	s_cbranch_scc1 .LBB522_7
; %bb.2:
	s_cmp_lt_i32 s6, 32
	s_cbranch_scc1 .LBB522_8
; %bb.3:
	s_cmp_lt_i32 s6, 64
	s_cbranch_scc1 .LBB522_9
; %bb.4:
	s_cmp_eq_u32 s6, 64
	v_mov_b32_e32 v8, v1
	s_cbranch_scc0 .LBB522_6
; %bb.5:
	s_nop 0
	v_mov_b32_dpp v8, v1 quad_perm:[1,0,3,2] row_mask:0xf bank_mask:0xf
	v_cmp_gt_f32_e32 vcc, v1, v8
	v_bfrev_b32_e32 v13, 0.5
	s_nop 0
	v_cndmask_b32_e32 v8, v8, v1, vcc
	s_nop 1
	v_mov_b32_dpp v9, v8 quad_perm:[2,3,0,1] row_mask:0xf bank_mask:0xf
	v_cmp_gt_f32_e32 vcc, v8, v9
	s_nop 1
	v_cndmask_b32_e32 v8, v9, v8, vcc
	s_nop 1
	v_mov_b32_dpp v9, v8 row_ror:4 row_mask:0xf bank_mask:0xf
	v_cmp_gt_f32_e32 vcc, v8, v9
	s_nop 1
	v_cndmask_b32_e32 v8, v9, v8, vcc
	s_nop 1
	v_mov_b32_dpp v9, v8 row_ror:8 row_mask:0xf bank_mask:0xf
	v_cmp_gt_f32_e32 vcc, v8, v9
	s_nop 1
	v_cndmask_b32_e32 v8, v9, v8, vcc
	s_nop 1
	v_mov_b32_dpp v9, v8 row_bcast:15 row_mask:0xf bank_mask:0xf
	v_cmp_gt_f32_e32 vcc, v8, v9
	s_nop 1
	v_cndmask_b32_e32 v8, v9, v8, vcc
	s_nop 1
	v_mov_b32_dpp v9, v8 row_bcast:31 row_mask:0xf bank_mask:0xf
	v_cmp_gt_f32_e32 vcc, v8, v9
	s_nop 1
	v_cndmask_b32_e32 v8, v9, v8, vcc
	v_mbcnt_lo_u32_b32 v9, -1, 0
	v_mbcnt_hi_u32_b32 v9, -1, v9
	v_lshl_or_b32 v9, v9, 2, v13
	ds_bpermute_b32 v8, v9, v8
.LBB522_6:
	s_cbranch_execz .LBB522_10
	s_branch .LBB522_12
.LBB522_7:
                                        ; implicit-def: $vgpr8
	s_branch .LBB522_16
.LBB522_8:
                                        ; implicit-def: $vgpr8
	s_branch .LBB522_13
.LBB522_9:
                                        ; implicit-def: $vgpr8
.LBB522_10:
	s_cmp_eq_u32 s6, 32
	s_waitcnt lgkmcnt(0)
	v_mov_b32_e32 v8, v1
	s_cbranch_scc0 .LBB522_12
; %bb.11:
	s_nop 0
	v_mov_b32_dpp v8, v1 quad_perm:[1,0,3,2] row_mask:0xf bank_mask:0xf
	v_cmp_gt_f32_e32 vcc, v1, v8
	v_mov_b32_e32 v13, 0x7c
	s_nop 0
	v_cndmask_b32_e32 v8, v8, v1, vcc
	s_nop 1
	v_mov_b32_dpp v9, v8 quad_perm:[2,3,0,1] row_mask:0xf bank_mask:0xf
	v_cmp_gt_f32_e32 vcc, v8, v9
	s_nop 1
	v_cndmask_b32_e32 v8, v9, v8, vcc
	s_nop 1
	v_mov_b32_dpp v9, v8 row_half_mirror row_mask:0xf bank_mask:0xf
	v_cmp_gt_f32_e32 vcc, v8, v9
	s_nop 1
	v_cndmask_b32_e32 v8, v9, v8, vcc
	s_nop 1
	v_mov_b32_dpp v9, v8 row_mirror row_mask:0xf bank_mask:0xf
	v_cmp_gt_f32_e32 vcc, v8, v9
	s_nop 1
	v_cndmask_b32_e32 v8, v9, v8, vcc
	s_nop 1
	v_mov_b32_dpp v9, v8 row_bcast:15 row_mask:0xa bank_mask:0xf
	v_cmp_gt_f32_e32 vcc, v8, v9
	s_nop 1
	v_cndmask_b32_e32 v8, v9, v8, vcc
	v_mbcnt_lo_u32_b32 v9, -1, 0
	v_mbcnt_hi_u32_b32 v9, -1, v9
	v_lshl_or_b32 v9, v9, 2, v13
	ds_bpermute_b32 v8, v9, v8
.LBB522_12:
	s_cbranch_execnz .LBB522_15
.LBB522_13:
	s_cmp_eq_u32 s6, 16
	s_waitcnt lgkmcnt(0)
	v_mov_b32_e32 v8, v1
	s_cbranch_scc0 .LBB522_15
; %bb.14:
	s_nop 0
	v_mov_b32_dpp v8, v1 quad_perm:[1,0,3,2] row_mask:0xf bank_mask:0xf
	v_cmp_gt_f32_e32 vcc, v1, v8
	s_nop 1
	v_cndmask_b32_e32 v8, v8, v1, vcc
	s_nop 1
	v_mov_b32_dpp v9, v8 quad_perm:[2,3,0,1] row_mask:0xf bank_mask:0xf
	v_cmp_gt_f32_e32 vcc, v8, v9
	s_nop 1
	v_cndmask_b32_e32 v8, v9, v8, vcc
	s_nop 1
	v_mov_b32_dpp v9, v8 row_half_mirror row_mask:0xf bank_mask:0xf
	v_cmp_gt_f32_e32 vcc, v8, v9
	s_nop 1
	v_cndmask_b32_e32 v8, v9, v8, vcc
	s_nop 1
	v_mov_b32_dpp v9, v8 row_mirror row_mask:0xf bank_mask:0xf
	v_cmp_gt_f32_e32 vcc, v8, v9
	s_nop 1
	v_cndmask_b32_e32 v8, v9, v8, vcc
.LBB522_15:
	s_cbranch_execnz .LBB522_29
.LBB522_16:
	s_cmp_lt_i32 s6, 4
	s_cbranch_scc1 .LBB522_20
; %bb.17:
	s_cmp_lt_i32 s6, 8
	s_cbranch_scc1 .LBB522_21
; %bb.18:
	s_cmp_eq_u32 s6, 8
	s_waitcnt lgkmcnt(0)
	v_mov_b32_e32 v8, v1
	s_cbranch_scc0 .LBB522_22
; %bb.19:
	s_nop 0
	v_mov_b32_dpp v8, v1 quad_perm:[1,0,3,2] row_mask:0xf bank_mask:0xf
	v_cmp_gt_f32_e32 vcc, v1, v8
	s_nop 1
	v_cndmask_b32_e32 v8, v8, v1, vcc
	s_nop 1
	v_mov_b32_dpp v9, v8 quad_perm:[2,3,0,1] row_mask:0xf bank_mask:0xf
	v_cmp_gt_f32_e32 vcc, v8, v9
	s_nop 1
	v_cndmask_b32_e32 v8, v9, v8, vcc
	s_nop 1
	v_mov_b32_dpp v9, v8 row_half_mirror row_mask:0xf bank_mask:0xf
	v_cmp_gt_f32_e32 vcc, v8, v9
	s_nop 1
	v_cndmask_b32_e32 v8, v9, v8, vcc
	s_cbranch_execz .LBB522_23
	s_branch .LBB522_25
.LBB522_20:
                                        ; implicit-def: $vgpr8
	s_branch .LBB522_26
.LBB522_21:
                                        ; implicit-def: $vgpr8
	s_branch .LBB522_23
.LBB522_22:
	s_cbranch_execnz .LBB522_25
.LBB522_23:
	s_cmp_eq_u32 s6, 4
	s_waitcnt lgkmcnt(0)
	v_mov_b32_e32 v8, v1
	s_cbranch_scc0 .LBB522_25
; %bb.24:
	s_nop 0
	v_mov_b32_dpp v8, v1 quad_perm:[1,0,3,2] row_mask:0xf bank_mask:0xf
	v_cmp_gt_f32_e32 vcc, v1, v8
	s_nop 1
	v_cndmask_b32_e32 v8, v8, v1, vcc
	s_nop 1
	v_mov_b32_dpp v9, v8 quad_perm:[2,3,0,1] row_mask:0xf bank_mask:0xf
	v_cmp_gt_f32_e32 vcc, v8, v9
	s_nop 1
	v_cndmask_b32_e32 v8, v9, v8, vcc
.LBB522_25:
	s_cbranch_execnz .LBB522_29
.LBB522_26:
	s_cmp_lg_u32 s6, 2
	s_cbranch_scc1 .LBB522_28
; %bb.27:
	s_waitcnt lgkmcnt(0)
	v_mov_b32_dpp v8, v1 quad_perm:[1,0,3,2] row_mask:0xf bank_mask:0xf
	v_cmp_gt_f32_e32 vcc, v1, v8
	s_nop 1
	v_cndmask_b32_e32 v1, v8, v1, vcc
.LBB522_28:
	s_waitcnt lgkmcnt(0)
	v_mov_b32_e32 v8, v1
.LBB522_29:
	s_abs_i32 s10, s6
	v_cvt_f32_u32_e32 v1, s10
	s_sub_i32 s16, 0, s10
	s_waitcnt lgkmcnt(0)
	v_mul_f32_e32 v13, 0x3b888889, v8
	s_ashr_i32 s11, s6, 31
	v_rcp_iflag_f32_e32 v1, v1
	s_nop 0
	v_mul_f32_e32 v1, 0x4f7ffffe, v1
	v_cvt_u32_f32_e32 v1, v1
	v_mul_lo_u32 v8, s16, v1
	v_mul_hi_u32 v8, v1, v8
	v_add_u32_e32 v1, v1, v8
	v_mul_hi_u32 v1, v0, v1
	v_mul_lo_u32 v8, v1, s10
	v_sub_u32_e32 v8, v0, v8
	v_add_u32_e32 v9, 1, v1
	v_cmp_le_u32_e32 vcc, s10, v8
	s_nop 1
	v_cndmask_b32_e32 v1, v1, v9, vcc
	v_subrev_u32_e32 v9, s10, v8
	v_cndmask_b32_e32 v8, v8, v9, vcc
	v_add_u32_e32 v9, 1, v1
	v_cmp_le_u32_e32 vcc, s10, v8
	s_nop 1
	v_cndmask_b32_e32 v1, v1, v9, vcc
	v_xor_b32_e32 v1, s11, v1
	v_subrev_u32_e32 v8, s11, v1
	v_mul_lo_u32 v1, v8, s6
	v_sub_u32_e32 v0, v0, v1
	v_cmp_eq_u32_e32 vcc, 0, v0
	s_and_saveexec_b64 s[10:11], vcc
	s_cbranch_execz .LBB522_35
; %bb.30:
	s_bitcmp0_b32 s7, 0
	s_cbranch_scc0 .LBB522_32
; %bb.31:
	s_abs_i32 s6, s5
	v_cvt_f32_u32_e32 v0, s6
	s_sub_i32 s16, 0, s6
	s_abs_i32 s7, s12
	s_xor_b32 s5, s12, s5
	v_rcp_iflag_f32_e32 v0, v0
	s_ashr_i32 s5, s5, 31
	v_ashrrev_i32_e32 v9, 31, v8
	v_mov_b32_e32 v1, s2
	v_mul_f32_e32 v0, 0x4f7ffffe, v0
	v_cvt_u32_f32_e32 v0, v0
	s_nop 0
	v_readfirstlane_b32 s17, v0
	s_mul_i32 s16, s16, s17
	s_mul_hi_u32 s16, s17, s16
	s_add_i32 s17, s17, s16
	s_mul_hi_u32 s16, s7, s17
	s_mul_i32 s17, s16, s6
	s_sub_i32 s7, s7, s17
	s_add_i32 s18, s16, 1
	s_sub_i32 s17, s7, s6
	s_cmp_ge_u32 s7, s6
	s_cselect_b32 s16, s18, s16
	s_cselect_b32 s7, s17, s7
	s_add_i32 s17, s16, 1
	s_cmp_ge_u32 s7, s6
	s_cselect_b32 s6, s17, s16
	s_xor_b32 s6, s6, s5
	s_sub_i32 s5, s6, s5
	s_ashr_i32 s6, s5, 31
	s_mul_i32 s16, s6, s2
	v_mad_u64_u32 v[0:1], s[6:7], s5, v1, v[8:9]
	v_add_u32_e32 v1, s16, v1
	s_cbranch_execz .LBB522_33
	s_branch .LBB522_34
.LBB522_32:
                                        ; implicit-def: $vgpr0_vgpr1
.LBB522_33:
	s_load_dword s0, s[0:1], 0x28
	v_mov_b32_e32 v1, 0
	s_waitcnt lgkmcnt(0)
	v_mul_lo_u32 v0, s0, v8
	v_lshl_add_u64 v[0:1], v[0:1], 0, s[2:3]
.LBB522_34:
	v_lshl_add_u64 v[0:1], v[0:1], 2, s[14:15]
	global_store_dword v[0:1], v13, off
.LBB522_35:
	s_or_b64 exec, exec, s[10:11]
	s_add_i32 s0, s4, 3
	s_ashr_i32 s1, s0, 31
	s_lshr_b32 s1, s1, 30
	s_add_i32 s0, s0, s1
	s_and_b32 s6, s0, -4
	s_mul_i32 s0, s13, s2
	s_mul_hi_u32 s1, s12, s2
	s_add_i32 s1, s1, s0
	s_mul_i32 s0, s12, s2
	s_add_u32 s4, s8, s0
	;;#ASMSTART
	v_rcp_f32 v0, v13
	;;#ASMEND
	s_addc_u32 s0, s9, s1
	v_mov_b32_e32 v1, v0
	;;#ASMSTART
	v_pk_mul_f32 v[6:7], v[6:7], v[0:1]
	;;#ASMEND
	v_mov_b32_e32 v8, 0xc3700000
	v_mov_b32_e32 v9, 0x43700000
	;;#ASMSTART
	v_med3_f32 v6, v6, v8, v9
v_med3_f32 v7, v7, v8, v9
v_cvt_pk_fp8_f32 v13, v6, v7
	;;#ASMEND
	;;#ASMSTART
	v_pk_mul_f32 v[2:3], v[2:3], v[0:1]
	;;#ASMEND
	s_and_b32 s5, s0, 0xffff
	;;#ASMSTART
	v_med3_f32 v2, v2, v8, v9
v_med3_f32 v3, v3, v8, v9
v_cvt_pk_fp8_f32 v6, v2, v3
	;;#ASMEND
	s_mov_b32 s0, 0x5040100
	v_perm_b32 v3, v6, v13, s0
	s_movk_i32 s0, 0xff
	v_and_b32_e32 v2, 0xffffff00, v6
	v_and_b32_sdwa v6, v3, s0 dst_sel:DWORD dst_unused:UNUSED_PAD src0_sel:WORD_1 src1_sel:DWORD
	s_mov_b32 s1, 0xffff
	v_or_b32_sdwa v2, v6, v2 dst_sel:WORD_1 dst_unused:UNUSED_PAD src0_sel:DWORD src1_sel:DWORD
	;;#ASMSTART
	v_pk_mul_f32 v[6:7], v[10:11], v[0:1]
	;;#ASMEND
	s_mov_b32 s7, 0x20000
	v_and_or_b32 v2, v3, s1, v2
	v_mov_b32_e32 v3, v6
	;;#ASMSTART
	v_med3_f32 v3, v3, v8, v9
v_med3_f32 v7, v7, v8, v9
v_cvt_pk_fp8_f32 v6, v3, v7
	;;#ASMEND
	;;#ASMSTART
	v_pk_mul_f32 v[0:1], v[4:5], v[0:1]
	;;#ASMEND
	s_nop 0
	;;#ASMSTART
	v_med3_f32 v0, v0, v8, v9
v_med3_f32 v1, v1, v8, v9
v_cvt_pk_fp8_f32 v3, v0, v1
	;;#ASMEND
	s_nop 0
	v_lshlrev_b32_e32 v0, 16, v3
	v_and_or_b32 v3, v6, s1, v0
	buffer_store_dwordx2 v[2:3], v12, s[4:7], 0 offen
	;;#ASMSTART
	s_nop 0
	;;#ASMEND
.LBB522_36:
	s_endpgm
	.section	.rodata,"a",@progbits
	.p2align	6, 0x0
	.amdhsa_kernel _ZN5aiter24act_and_mul_quant_kernelItDB8_TnPFfRKT_EXadL_ZNS_11silu_kernelItEEfS4_EELi256ELi8ELb1EEEvPT0_PS3_Pfiifb
		.amdhsa_group_segment_fixed_size 0
		.amdhsa_private_segment_fixed_size 0
		.amdhsa_kernarg_size 296
		.amdhsa_user_sgpr_count 2
		.amdhsa_user_sgpr_dispatch_ptr 0
		.amdhsa_user_sgpr_queue_ptr 0
		.amdhsa_user_sgpr_kernarg_segment_ptr 1
		.amdhsa_user_sgpr_dispatch_id 0
		.amdhsa_user_sgpr_kernarg_preload_length 0
		.amdhsa_user_sgpr_kernarg_preload_offset 0
		.amdhsa_user_sgpr_private_segment_size 0
		.amdhsa_uses_dynamic_stack 0
		.amdhsa_enable_private_segment 0
		.amdhsa_system_sgpr_workgroup_id_x 1
		.amdhsa_system_sgpr_workgroup_id_y 0
		.amdhsa_system_sgpr_workgroup_id_z 0
		.amdhsa_system_sgpr_workgroup_info 0
		.amdhsa_system_vgpr_workitem_id 0
		.amdhsa_next_free_vgpr 28
		.amdhsa_next_free_sgpr 24
		.amdhsa_accum_offset 28
		.amdhsa_reserve_vcc 1
		.amdhsa_float_round_mode_32 0
		.amdhsa_float_round_mode_16_64 0
		.amdhsa_float_denorm_mode_32 3
		.amdhsa_float_denorm_mode_16_64 3
		.amdhsa_dx10_clamp 1
		.amdhsa_ieee_mode 1
		.amdhsa_fp16_overflow 0
		.amdhsa_tg_split 0
		.amdhsa_exception_fp_ieee_invalid_op 0
		.amdhsa_exception_fp_denorm_src 0
		.amdhsa_exception_fp_ieee_div_zero 0
		.amdhsa_exception_fp_ieee_overflow 0
		.amdhsa_exception_fp_ieee_underflow 0
		.amdhsa_exception_fp_ieee_inexact 0
		.amdhsa_exception_int_div_zero 0
	.end_amdhsa_kernel
	.section	.text._ZN5aiter24act_and_mul_quant_kernelItDB8_TnPFfRKT_EXadL_ZNS_11silu_kernelItEEfS4_EELi256ELi8ELb1EEEvPT0_PS3_Pfiifb,"axG",@progbits,_ZN5aiter24act_and_mul_quant_kernelItDB8_TnPFfRKT_EXadL_ZNS_11silu_kernelItEEfS4_EELi256ELi8ELb1EEEvPT0_PS3_Pfiifb,comdat
.Lfunc_end522:
	.size	_ZN5aiter24act_and_mul_quant_kernelItDB8_TnPFfRKT_EXadL_ZNS_11silu_kernelItEEfS4_EELi256ELi8ELb1EEEvPT0_PS3_Pfiifb, .Lfunc_end522-_ZN5aiter24act_and_mul_quant_kernelItDB8_TnPFfRKT_EXadL_ZNS_11silu_kernelItEEfS4_EELi256ELi8ELb1EEEvPT0_PS3_Pfiifb
                                        ; -- End function
	.section	.AMDGPU.csdata,"",@progbits
; Kernel info:
; codeLenInByte = 2768
; NumSgprs: 30
; NumVgprs: 28
; NumAgprs: 0
; TotalNumVgprs: 28
; ScratchSize: 0
; MemoryBound: 0
; FloatMode: 240
; IeeeMode: 1
; LDSByteSize: 0 bytes/workgroup (compile time only)
; SGPRBlocks: 3
; VGPRBlocks: 3
; NumSGPRsForWavesPerEU: 30
; NumVGPRsForWavesPerEU: 28
; AccumOffset: 28
; Occupancy: 8
; WaveLimiterHint : 0
; COMPUTE_PGM_RSRC2:SCRATCH_EN: 0
; COMPUTE_PGM_RSRC2:USER_SGPR: 2
; COMPUTE_PGM_RSRC2:TRAP_HANDLER: 0
; COMPUTE_PGM_RSRC2:TGID_X_EN: 1
; COMPUTE_PGM_RSRC2:TGID_Y_EN: 0
; COMPUTE_PGM_RSRC2:TGID_Z_EN: 0
; COMPUTE_PGM_RSRC2:TIDIG_COMP_CNT: 0
; COMPUTE_PGM_RSRC3_GFX90A:ACCUM_OFFSET: 6
; COMPUTE_PGM_RSRC3_GFX90A:TG_SPLIT: 0
	.section	.text._ZN5aiter24act_and_mul_quant_kernelIDF16_DB8_TnPFfRKT_EXadL_ZNS_11silu_kernelIDF16_EEfS4_EELi256ELi16ELb1EEEvPT0_PS3_Pfiifb,"axG",@progbits,_ZN5aiter24act_and_mul_quant_kernelIDF16_DB8_TnPFfRKT_EXadL_ZNS_11silu_kernelIDF16_EEfS4_EELi256ELi16ELb1EEEvPT0_PS3_Pfiifb,comdat
	.protected	_ZN5aiter24act_and_mul_quant_kernelIDF16_DB8_TnPFfRKT_EXadL_ZNS_11silu_kernelIDF16_EEfS4_EELi256ELi16ELb1EEEvPT0_PS3_Pfiifb ; -- Begin function _ZN5aiter24act_and_mul_quant_kernelIDF16_DB8_TnPFfRKT_EXadL_ZNS_11silu_kernelIDF16_EEfS4_EELi256ELi16ELb1EEEvPT0_PS3_Pfiifb
	.globl	_ZN5aiter24act_and_mul_quant_kernelIDF16_DB8_TnPFfRKT_EXadL_ZNS_11silu_kernelIDF16_EEfS4_EELi256ELi16ELb1EEEvPT0_PS3_Pfiifb
	.p2align	8
	.type	_ZN5aiter24act_and_mul_quant_kernelIDF16_DB8_TnPFfRKT_EXadL_ZNS_11silu_kernelIDF16_EEfS4_EELi256ELi16ELb1EEEvPT0_PS3_Pfiifb,@function
_ZN5aiter24act_and_mul_quant_kernelIDF16_DB8_TnPFfRKT_EXadL_ZNS_11silu_kernelIDF16_EEfS4_EELi256ELi16ELb1EEEvPT0_PS3_Pfiifb: ; @_ZN5aiter24act_and_mul_quant_kernelIDF16_DB8_TnPFfRKT_EXadL_ZNS_11silu_kernelIDF16_EEfS4_EELi256ELi16ELb1EEEvPT0_PS3_Pfiifb
; %bb.0:
	s_load_dwordx4 s[4:7], s[0:1], 0x18
	v_lshlrev_b32_e32 v20, 4, v0
	s_waitcnt lgkmcnt(0)
	v_cmp_gt_i32_e32 vcc, s4, v20
	s_and_saveexec_b64 s[8:9], vcc
	s_cbranch_execz .LBB523_36
; %bb.1:
	s_load_dwordx4 s[8:11], s[0:1], 0x0
	s_load_dwordx2 s[22:23], s[0:1], 0x10
	s_ashr_i32 s21, s4, 31
	s_mul_hi_u32 s3, s2, s4
	s_mul_i32 s12, s2, s21
	s_add_i32 s13, s3, s12
	s_mul_i32 s12, s2, s4
	s_lshl_b64 s[12:13], s[12:13], 2
	s_mov_b32 s20, s4
	s_waitcnt lgkmcnt(0)
	s_add_u32 s12, s10, s12
	s_addc_u32 s3, s11, s13
	s_lshl_b64 s[10:11], s[20:21], 1
	s_add_u32 s16, s12, s10
	s_addc_u32 s10, s3, s11
	s_lshl_b32 s11, s4, 1
	s_add_i32 s11, s11, 2
	s_and_b32 s18, s11, -4
	s_mov_b32 s19, 0x20000
	s_and_b32 s17, s10, 0xffff
	v_lshlrev_b32_e32 v19, 5, v0
	s_and_b32 s13, s3, 0xffff
	s_mov_b32 s14, s18
	s_mov_b32 s15, s19
	buffer_load_dwordx4 v[10:13], v19, s[16:19], 0 offen sc0 nt
	buffer_load_dwordx4 v[14:17], v19, s[12:15], 0 offen sc0 nt
	;; [unrolled: 1-line block ×4, first 2 shown]
	v_max_f32_e64 v18, s6, s6
	s_mov_b32 s11, 0xbfb8aa3b
	s_mov_b32 s25, 0xb2a5705f
	;; [unrolled: 1-line block ×4, first 2 shown]
	v_mov_b32_e32 v1, 0x7f800000
	s_mov_b32 s3, 0
	s_waitcnt vmcnt(3)
	v_cvt_f32_f16_e32 v19, v10
	s_waitcnt vmcnt(2)
	v_cvt_f32_f16_e32 v24, v14
	v_cvt_f32_f16_sdwa v14, v14 dst_sel:DWORD dst_unused:UNUSED_PAD src0_sel:WORD_1
	v_cvt_f32_f16_sdwa v25, v15 dst_sel:DWORD dst_unused:UNUSED_PAD src0_sel:WORD_1
	v_cvt_f32_f16_e32 v15, v15
	v_cvt_f32_f16_sdwa v21, v10 dst_sel:DWORD dst_unused:UNUSED_PAD src0_sel:WORD_1
	v_med3_f32 v10, -s6, v19, s6
	v_min_f32_e32 v19, v24, v18
	v_min_f32_e32 v14, v14, v18
	v_cvt_f16_f32_e32 v19, v19
	v_min_f32_e32 v15, v15, v18
	v_cvt_f16_f32_e32 v14, v14
	v_cvt_f32_f16_e32 v22, v11
	v_cvt_f32_f16_sdwa v23, v11 dst_sel:DWORD dst_unused:UNUSED_PAD src0_sel:WORD_1
	v_med3_f32 v11, -s6, v21, s6
	v_min_f32_e32 v21, v25, v18
	v_cvt_f16_f32_e32 v15, v15
	v_cvt_f16_f32_e32 v21, v21
	v_cvt_f32_f16_e32 v26, v16
	v_cvt_f32_f16_e32 v29, v19
	;; [unrolled: 1-line block ×5, first 2 shown]
	v_min_f32_e32 v28, v26, v18
	v_mul_f32_e32 v26, 0xbfb8aa3b, v29
	v_mul_f32_e32 v27, 0xbfb8aa3b, v30
	v_fma_mix_f32 v33, v19, s11, -v26 op_sel_hi:[1,0,0]
	v_rndne_f32_e32 v34, v26
	v_mul_f32_e32 v31, 0xbfb8aa3b, v24
	v_fma_mix_f32 v35, v14, s11, -v27 op_sel_hi:[1,0,0]
	v_rndne_f32_e32 v36, v27
	v_fma_mix_f32 v19, v19, s25, v33 op_sel_hi:[1,0,0]
	v_sub_f32_e32 v26, v26, v34
	v_mul_f32_e32 v32, 0xbfb8aa3b, v25
	v_fma_mix_f32 v37, v15, s11, -v31 op_sel_hi:[1,0,0]
	v_rndne_f32_e32 v38, v31
	v_fma_mix_f32 v14, v14, s25, v35 op_sel_hi:[1,0,0]
	v_sub_f32_e32 v27, v27, v36
	v_add_f32_e32 v19, v26, v19
	v_fma_mix_f32 v39, v21, s11, -v32 op_sel_hi:[1,0,0]
	v_rndne_f32_e32 v40, v32
	v_cvt_i32_f32_e32 v33, v34
	v_fma_mix_f32 v15, v15, s25, v37 op_sel_hi:[1,0,0]
	v_sub_f32_e32 v31, v31, v38
	v_add_f32_e32 v14, v27, v14
	v_exp_f32_e32 v19, v19
	v_cvt_i32_f32_e32 v34, v36
	v_fma_mix_f32 v21, v21, s25, v39 op_sel_hi:[1,0,0]
	v_sub_f32_e32 v32, v32, v40
	v_add_f32_e32 v15, v31, v15
	v_exp_f32_e32 v14, v14
	v_cvt_i32_f32_e32 v35, v38
	v_add_f32_e32 v21, v32, v21
	v_exp_f32_e32 v15, v15
	v_cvt_i32_f32_e32 v36, v40
	v_exp_f32_e32 v21, v21
	v_ldexp_f32 v19, v19, v33
	v_cmp_nlt_f32_e32 vcc, s10, v29
	v_ldexp_f32 v14, v14, v34
	v_ldexp_f32 v15, v15, v35
	v_cndmask_b32_e32 v19, 0, v19, vcc
	v_cmp_nlt_f32_e32 vcc, s10, v30
	v_ldexp_f32 v21, v21, v36
	v_med3_f32 v22, -s6, v22, s6
	v_cndmask_b32_e32 v14, 0, v14, vcc
	v_cmp_nlt_f32_e32 vcc, s10, v24
	v_cvt_f32_f16_sdwa v16, v16 dst_sel:DWORD dst_unused:UNUSED_PAD src0_sel:WORD_1
	v_med3_f32 v23, -s6, v23, s6
	v_cndmask_b32_e32 v15, 0, v15, vcc
	v_cmp_nlt_f32_e32 vcc, s10, v25
	v_min_f32_e32 v16, v16, v18
	v_cvt_f16_f32_e32 v16, v16
	v_cndmask_b32_e32 v21, 0, v21, vcc
	v_cmp_ngt_f32_e32 vcc, s24, v29
	s_nop 1
	v_cndmask_b32_e32 v19, v1, v19, vcc
	v_cmp_ngt_f32_e32 vcc, s24, v30
	v_add_f32_e32 v19, 1.0, v19
	v_rcp_f32_e32 v19, v19
	v_cndmask_b32_e32 v14, v1, v14, vcc
	v_cmp_ngt_f32_e32 vcc, s24, v24
	v_add_f32_e32 v14, 1.0, v14
	v_rcp_f32_e32 v31, v14
	;; [unrolled: 4-line block ×3, first 2 shown]
	v_cndmask_b32_e32 v21, v1, v21, vcc
	v_add_f32_e32 v21, 1.0, v21
	v_rcp_f32_e32 v27, v21
	v_mul_f32_e32 v14, v19, v29
	v_cvt_f16_f32_e32 v19, v28
	v_mul_f32_e32 v15, v31, v30
	;;#ASMSTART
	v_pk_mul_f32 v[14:15], v[14:15], v[10:11]
	;;#ASMEND
	v_pk_mul_f32 v[10:11], v[26:27], v[24:25]
	v_cvt_f32_f16_e32 v21, v12
	;;#ASMSTART
	v_pk_mul_f32 v[10:11], v[10:11], v[22:23]
	;;#ASMEND
	v_cvt_f32_f16_e32 v22, v19
	v_cvt_f32_f16_sdwa v12, v12 dst_sel:DWORD dst_unused:UNUSED_PAD src0_sel:WORD_1
	v_mul_f32_e32 v23, 0xbfb8aa3b, v22
	v_fma_mix_f32 v24, v19, s11, -v23 op_sel_hi:[1,0,0]
	v_cmp_nlt_f32_e32 vcc, s10, v22
	v_fma_mix_f32 v19, v19, s25, v24 op_sel_hi:[1,0,0]
	v_rndne_f32_e32 v24, v23
	v_sub_f32_e32 v23, v23, v24
	v_add_f32_e32 v19, v23, v19
	v_cvt_f32_f16_e32 v23, v16
	v_exp_f32_e32 v19, v19
	v_cvt_i32_f32_e32 v25, v24
	v_med3_f32 v24, -s6, v21, s6
	v_mul_f32_e32 v21, 0xbfb8aa3b, v23
	v_ldexp_f32 v19, v19, v25
	v_fma_mix_f32 v25, v16, s11, -v21 op_sel_hi:[1,0,0]
	v_cndmask_b32_e32 v19, 0, v19, vcc
	v_fma_mix_f32 v16, v16, s25, v25 op_sel_hi:[1,0,0]
	v_rndne_f32_e32 v25, v21
	v_sub_f32_e32 v21, v21, v25
	v_add_f32_e32 v16, v21, v16
	v_exp_f32_e32 v16, v16
	v_cvt_i32_f32_e32 v21, v25
	v_cmp_ngt_f32_e32 vcc, s24, v22
	v_med3_f32 v25, -s6, v12, s6
	v_ldexp_f32 v16, v16, v21
	v_cndmask_b32_e32 v19, v1, v19, vcc
	v_add_f32_e32 v19, 1.0, v19
	v_rcp_f32_e32 v26, v19
	v_cmp_nlt_f32_e32 vcc, s10, v23
	v_cvt_f32_f16_e32 v19, v17
	v_cvt_f32_f16_sdwa v21, v17 dst_sel:DWORD dst_unused:UNUSED_PAD src0_sel:WORD_1
	v_cndmask_b32_e32 v16, 0, v16, vcc
	v_cmp_ngt_f32_e32 vcc, s24, v23
	v_min_f32_e32 v21, v21, v18
	s_nop 0
	v_cndmask_b32_e32 v16, v1, v16, vcc
	v_add_f32_e32 v16, 1.0, v16
	v_rcp_f32_e32 v27, v16
	v_min_f32_e32 v16, v19, v18
	v_cvt_f16_f32_e32 v19, v16
	v_cvt_f16_f32_e32 v21, v21
	v_pk_mul_f32 v[16:17], v[26:27], v[22:23]
	s_waitcnt vmcnt(1)
	v_cvt_f32_f16_sdwa v26, v3 dst_sel:DWORD dst_unused:UNUSED_PAD src0_sel:WORD_1
	v_cvt_f32_f16_e32 v12, v19
	;;#ASMSTART
	v_pk_mul_f32 v[16:17], v[16:17], v[24:25]
	;;#ASMEND
	v_cvt_f32_f16_e32 v24, v13
	v_cvt_f32_f16_sdwa v25, v13 dst_sel:DWORD dst_unused:UNUSED_PAD src0_sel:WORD_1
	v_mul_f32_e32 v22, 0xbfb8aa3b, v12
	v_fma_mix_f32 v23, v19, s11, -v22 op_sel_hi:[1,0,0]
	v_cvt_f32_f16_e32 v13, v21
	v_fma_mix_f32 v19, v19, s25, v23 op_sel_hi:[1,0,0]
	v_rndne_f32_e32 v23, v22
	v_sub_f32_e32 v22, v22, v23
	v_add_f32_e32 v19, v22, v19
	v_exp_f32_e32 v19, v19
	v_cvt_i32_f32_e32 v22, v23
	v_cmp_nlt_f32_e32 vcc, s10, v12
	v_med3_f32 v24, -s6, v24, s6
	v_med3_f32 v25, -s6, v25, s6
	v_ldexp_f32 v19, v19, v22
	v_mul_f32_e32 v22, 0xbfb8aa3b, v13
	v_fma_mix_f32 v23, v21, s11, -v22 op_sel_hi:[1,0,0]
	v_cndmask_b32_e32 v19, 0, v19, vcc
	v_fma_mix_f32 v21, v21, s25, v23 op_sel_hi:[1,0,0]
	v_rndne_f32_e32 v23, v22
	v_sub_f32_e32 v22, v22, v23
	v_add_f32_e32 v21, v22, v21
	v_exp_f32_e32 v21, v21
	v_cvt_i32_f32_e32 v23, v23
	v_cmp_ngt_f32_e32 vcc, s24, v12
	s_nop 1
	v_cndmask_b32_e32 v19, v1, v19, vcc
	v_add_f32_e32 v19, 1.0, v19
	v_rcp_f32_e32 v22, v19
	v_ldexp_f32 v19, v21, v23
	v_cmp_nlt_f32_e32 vcc, s10, v13
	v_cvt_f32_f16_e32 v21, v2
	v_cvt_f32_f16_sdwa v2, v2 dst_sel:DWORD dst_unused:UNUSED_PAD src0_sel:WORD_1
	v_cndmask_b32_e32 v19, 0, v19, vcc
	v_cmp_ngt_f32_e32 vcc, s24, v13
	s_nop 1
	v_cndmask_b32_e32 v19, v1, v19, vcc
	v_add_f32_e32 v19, 1.0, v19
	v_rcp_f32_e32 v23, v19
	s_waitcnt vmcnt(0)
	v_cvt_f32_f16_e32 v19, v6
	v_cvt_f32_f16_sdwa v6, v6 dst_sel:DWORD dst_unused:UNUSED_PAD src0_sel:WORD_1
	v_pk_mul_f32 v[12:13], v[22:23], v[12:13]
	v_min_f32_e32 v19, v19, v18
	v_cvt_f16_f32_e32 v19, v19
	;;#ASMSTART
	v_pk_mul_f32 v[12:13], v[12:13], v[24:25]
	;;#ASMEND
	v_min_f32_e32 v6, v6, v18
	v_cvt_f16_f32_e32 v6, v6
	v_cvt_f32_f16_e32 v24, v19
	v_mul_f32_e32 v22, 0xbfb8aa3b, v24
	v_fma_mix_f32 v23, v19, s11, -v22 op_sel_hi:[1,0,0]
	v_cmp_nlt_f32_e32 vcc, s10, v24
	v_fma_mix_f32 v19, v19, s25, v23 op_sel_hi:[1,0,0]
	v_rndne_f32_e32 v23, v22
	v_sub_f32_e32 v22, v22, v23
	v_add_f32_e32 v19, v22, v19
	v_cvt_i32_f32_e32 v25, v23
	v_med3_f32 v23, -s6, v2, s6
	v_cvt_f32_f16_e32 v2, v6
	v_exp_f32_e32 v19, v19
	v_med3_f32 v22, -s6, v21, s6
	v_mul_f32_e32 v21, 0xbfb8aa3b, v2
	v_ldexp_f32 v19, v19, v25
	v_fma_mix_f32 v25, v6, s11, -v21 op_sel_hi:[1,0,0]
	v_cndmask_b32_e32 v19, 0, v19, vcc
	v_fma_mix_f32 v6, v6, s25, v25 op_sel_hi:[1,0,0]
	v_rndne_f32_e32 v25, v21
	v_sub_f32_e32 v21, v21, v25
	v_add_f32_e32 v6, v21, v6
	v_exp_f32_e32 v6, v6
	v_cvt_i32_f32_e32 v21, v25
	v_cmp_ngt_f32_e32 vcc, s24, v24
	v_ldexp_f32 v6, v6, v21
	s_nop 0
	v_cndmask_b32_e32 v19, v1, v19, vcc
	v_add_f32_e32 v19, 1.0, v19
	v_rcp_f32_e32 v19, v19
	v_cvt_f32_f16_e32 v21, v7
	v_cmp_nlt_f32_e32 vcc, s10, v2
	v_mul_f32_e32 v24, v19, v24
	s_nop 0
	v_cndmask_b32_e32 v6, 0, v6, vcc
	v_cmp_ngt_f32_e32 vcc, s24, v2
	v_min_f32_e32 v19, v21, v18
	v_cvt_f16_f32_e32 v19, v19
	v_cndmask_b32_e32 v6, v1, v6, vcc
	v_add_f32_e32 v6, 1.0, v6
	v_rcp_f32_e32 v6, v6
	v_cvt_f32_f16_sdwa v21, v7 dst_sel:DWORD dst_unused:UNUSED_PAD src0_sel:WORD_1
	v_mul_f32_e32 v25, v6, v2
	v_cvt_f32_f16_e32 v2, v19
	;;#ASMSTART
	v_pk_mul_f32 v[6:7], v[24:25], v[22:23]
	;;#ASMEND
	v_min_f32_e32 v21, v21, v18
	v_cvt_f16_f32_e32 v21, v21
	v_mul_f32_e32 v23, 0xbfb8aa3b, v2
	v_fma_mix_f32 v24, v19, s11, -v23 op_sel_hi:[1,0,0]
	v_cvt_f32_f16_e32 v22, v3
	v_fma_mix_f32 v19, v19, s25, v24 op_sel_hi:[1,0,0]
	v_rndne_f32_e32 v24, v23
	v_sub_f32_e32 v23, v23, v24
	v_add_f32_e32 v19, v23, v19
	v_exp_f32_e32 v19, v19
	v_cvt_i32_f32_e32 v23, v24
	v_cvt_f32_f16_e32 v3, v21
	v_cmp_nlt_f32_e32 vcc, s10, v2
	v_med3_f32 v22, -s6, v22, s6
	v_ldexp_f32 v19, v19, v23
	v_mul_f32_e32 v23, 0xbfb8aa3b, v3
	v_fma_mix_f32 v24, v21, s11, -v23 op_sel_hi:[1,0,0]
	v_cndmask_b32_e32 v19, 0, v19, vcc
	v_fma_mix_f32 v21, v21, s25, v24 op_sel_hi:[1,0,0]
	v_rndne_f32_e32 v24, v23
	v_sub_f32_e32 v23, v23, v24
	v_add_f32_e32 v21, v23, v21
	v_exp_f32_e32 v21, v21
	v_cvt_i32_f32_e32 v23, v24
	v_cmp_ngt_f32_e32 vcc, s24, v2
	s_nop 1
	v_cndmask_b32_e32 v19, v1, v19, vcc
	v_add_f32_e32 v19, 1.0, v19
	v_rcp_f32_e32 v24, v19
	v_ldexp_f32 v19, v21, v23
	v_cmp_nlt_f32_e32 vcc, s10, v3
	v_cvt_f32_f16_e32 v21, v8
	v_cvt_f32_f16_sdwa v8, v8 dst_sel:DWORD dst_unused:UNUSED_PAD src0_sel:WORD_1
	v_cndmask_b32_e32 v19, 0, v19, vcc
	v_cmp_ngt_f32_e32 vcc, s24, v3
	v_med3_f32 v23, -s6, v26, s6
	v_min_f32_e32 v8, v8, v18
	v_cndmask_b32_e32 v19, v1, v19, vcc
	v_add_f32_e32 v19, 1.0, v19
	v_rcp_f32_e32 v25, v19
	v_min_f32_e32 v19, v21, v18
	v_cvt_f16_f32_e32 v19, v19
	v_cvt_f32_f16_e32 v21, v4
	v_pk_mul_f32 v[2:3], v[24:25], v[2:3]
	v_cvt_f16_f32_e32 v24, v8
	;;#ASMSTART
	v_pk_mul_f32 v[2:3], v[2:3], v[22:23]
	;;#ASMEND
	v_cvt_f32_f16_e32 v22, v19
	v_cvt_f32_f16_sdwa v4, v4 dst_sel:DWORD dst_unused:UNUSED_PAD src0_sel:WORD_1
	v_mul_f32_e32 v8, 0xbfb8aa3b, v22
	v_fma_mix_f32 v23, v19, s11, -v8 op_sel_hi:[1,0,0]
	v_cmp_nlt_f32_e32 vcc, s10, v22
	v_fma_mix_f32 v19, v19, s25, v23 op_sel_hi:[1,0,0]
	v_rndne_f32_e32 v23, v8
	v_sub_f32_e32 v8, v8, v23
	v_add_f32_e32 v8, v8, v19
	v_cvt_i32_f32_e32 v25, v23
	v_cvt_f32_f16_e32 v23, v24
	v_exp_f32_e32 v19, v8
	v_med3_f32 v8, -s6, v21, s6
	v_mul_f32_e32 v21, 0xbfb8aa3b, v23
	v_ldexp_f32 v19, v19, v25
	v_fma_mix_f32 v25, v24, s11, -v21 op_sel_hi:[1,0,0]
	v_cndmask_b32_e32 v19, 0, v19, vcc
	v_fma_mix_f32 v24, v24, s25, v25 op_sel_hi:[1,0,0]
	v_rndne_f32_e32 v25, v21
	v_sub_f32_e32 v21, v21, v25
	v_add_f32_e32 v21, v21, v24
	v_exp_f32_e32 v21, v21
	v_cvt_i32_f32_e32 v25, v25
	v_cmp_ngt_f32_e32 vcc, s24, v22
	s_nop 1
	v_cndmask_b32_e32 v19, v1, v19, vcc
	v_add_f32_e32 v19, 1.0, v19
	v_rcp_f32_e32 v24, v19
	v_ldexp_f32 v19, v21, v25
	v_cvt_f32_f16_e32 v21, v9
	v_cmp_nlt_f32_e32 vcc, s10, v23
	v_min_f32_e32 v21, v21, v18
	v_cvt_f16_f32_e32 v21, v21
	v_cndmask_b32_e32 v19, 0, v19, vcc
	v_cmp_ngt_f32_e32 vcc, s24, v23
	v_cvt_f32_f16_e32 v26, v21
	s_nop 0
	v_cndmask_b32_e32 v19, v1, v19, vcc
	v_add_f32_e32 v19, 1.0, v19
	v_rcp_f32_e32 v25, v19
	v_cvt_f32_f16_sdwa v19, v9 dst_sel:DWORD dst_unused:UNUSED_PAD src0_sel:WORD_1
	v_med3_f32 v9, -s6, v4, s6
	v_cmp_nlt_f32_e32 vcc, s10, v26
	v_pk_mul_f32 v[22:23], v[24:25], v[22:23]
	v_min_f32_e32 v4, v19, v18
	v_mul_f32_e32 v18, 0xbfb8aa3b, v26
	v_cvt_f16_f32_e32 v4, v4
	v_fma_mix_f32 v19, v21, s11, -v18 op_sel_hi:[1,0,0]
	v_cvt_f32_f16_sdwa v24, v5 dst_sel:DWORD dst_unused:UNUSED_PAD src0_sel:WORD_1
	v_fma_mix_f32 v19, v21, s25, v19 op_sel_hi:[1,0,0]
	v_rndne_f32_e32 v21, v18
	v_sub_f32_e32 v18, v18, v21
	v_add_f32_e32 v18, v18, v19
	v_exp_f32_e32 v18, v18
	v_cvt_i32_f32_e32 v19, v21
	v_cvt_f32_f16_e32 v27, v4
	v_cvt_f32_f16_e32 v21, v5
	v_ldexp_f32 v5, v18, v19
	v_mul_f32_e32 v18, 0xbfb8aa3b, v27
	v_fma_mix_f32 v19, v4, s11, -v18 op_sel_hi:[1,0,0]
	v_cndmask_b32_e32 v5, 0, v5, vcc
	v_fma_mix_f32 v4, v4, s25, v19 op_sel_hi:[1,0,0]
	v_rndne_f32_e32 v19, v18
	v_sub_f32_e32 v18, v18, v19
	v_add_f32_e32 v4, v18, v4
	v_exp_f32_e32 v4, v4
	v_cvt_i32_f32_e32 v19, v19
	v_cmp_ngt_f32_e32 vcc, s24, v26
	v_ldexp_f32 v4, v4, v19
	s_nop 0
	v_cndmask_b32_e32 v5, v1, v5, vcc
	v_cmp_nlt_f32_e32 vcc, s10, v27
	v_add_f32_e32 v5, 1.0, v5
	v_rcp_f32_e32 v18, v5
	v_cndmask_b32_e32 v4, 0, v4, vcc
	v_cmp_ngt_f32_e32 vcc, s24, v27
	s_nop 1
	v_cndmask_b32_e32 v1, v1, v4, vcc
	v_add_f32_e32 v1, 1.0, v1
	v_rcp_f32_e32 v19, v1
	;;#ASMSTART
	v_pk_mul_f32 v[4:5], v[22:23], v[8:9]
	;;#ASMEND
	v_med3_f32 v8, -s6, v21, s6
	v_med3_f32 v9, -s6, v24, s6
	v_pk_mul_f32 v[18:19], v[18:19], v[26:27]
	v_and_b32_e32 v1, 0x7fffffff, v14
	;;#ASMSTART
	v_pk_mul_f32 v[8:9], v[18:19], v[8:9]
	;;#ASMEND
	v_and_b32_e32 v18, 0x7fffffff, v15
	v_mov_b32_e32 v19, 0x2edbe6ff
	;;#ASMSTART
	v_max3_f32 v1, v19, v1, v18

	;;#ASMEND
	v_and_b32_e32 v18, 0x7fffffff, v10
	v_and_b32_e32 v19, 0x7fffffff, v11
	;;#ASMSTART
	v_max3_f32 v1, v1, v18, v19

	;;#ASMEND
	v_and_b32_e32 v18, 0x7fffffff, v16
	v_and_b32_e32 v19, 0x7fffffff, v17
	;;#ASMSTART
	v_max3_f32 v1, v1, v18, v19

	;;#ASMEND
	s_ashr_i32 s6, s5, 31
	v_and_b32_e32 v18, 0x7fffffff, v12
	v_and_b32_e32 v19, 0x7fffffff, v13
	;;#ASMSTART
	v_max3_f32 v1, v1, v18, v19

	;;#ASMEND
	s_lshr_b32 s6, s6, 28
	v_and_b32_e32 v18, 0x7fffffff, v6
	v_and_b32_e32 v19, 0x7fffffff, v7
	;;#ASMSTART
	v_max3_f32 v1, v1, v18, v19

	;;#ASMEND
	s_add_i32 s6, s5, s6
	v_and_b32_e32 v18, 0x7fffffff, v2
	v_and_b32_e32 v19, 0x7fffffff, v3
	;;#ASMSTART
	v_max3_f32 v1, v1, v18, v19

	;;#ASMEND
	s_ashr_i32 s6, s6, 4
	v_and_b32_e32 v18, 0x7fffffff, v4
	v_and_b32_e32 v19, 0x7fffffff, v5
	;;#ASMSTART
	v_max3_f32 v1, v1, v18, v19

	;;#ASMEND
	s_cmp_lt_i32 s6, 16
	v_and_b32_e32 v18, 0x7fffffff, v8
	v_and_b32_e32 v19, 0x7fffffff, v9
	;;#ASMSTART
	v_max3_f32 v1, v1, v18, v19

	;;#ASMEND
	s_cbranch_scc1 .LBB523_7
; %bb.2:
	s_cmp_lt_i32 s6, 32
	s_cbranch_scc1 .LBB523_8
; %bb.3:
	s_cmp_lt_i32 s6, 64
	s_cbranch_scc1 .LBB523_9
; %bb.4:
	s_cmp_eq_u32 s6, 64
	v_mov_b32_e32 v18, v1
	s_cbranch_scc0 .LBB523_6
; %bb.5:
	s_nop 0
	v_mov_b32_dpp v18, v1 quad_perm:[1,0,3,2] row_mask:0xf bank_mask:0xf
	v_cmp_gt_f32_e32 vcc, v1, v18
	v_bfrev_b32_e32 v21, 0.5
	s_nop 0
	v_cndmask_b32_e32 v18, v18, v1, vcc
	s_nop 1
	v_mov_b32_dpp v19, v18 quad_perm:[2,3,0,1] row_mask:0xf bank_mask:0xf
	v_cmp_gt_f32_e32 vcc, v18, v19
	s_nop 1
	v_cndmask_b32_e32 v18, v19, v18, vcc
	s_nop 1
	v_mov_b32_dpp v19, v18 row_ror:4 row_mask:0xf bank_mask:0xf
	v_cmp_gt_f32_e32 vcc, v18, v19
	s_nop 1
	v_cndmask_b32_e32 v18, v19, v18, vcc
	s_nop 1
	v_mov_b32_dpp v19, v18 row_ror:8 row_mask:0xf bank_mask:0xf
	v_cmp_gt_f32_e32 vcc, v18, v19
	s_nop 1
	v_cndmask_b32_e32 v18, v19, v18, vcc
	s_nop 1
	v_mov_b32_dpp v19, v18 row_bcast:15 row_mask:0xf bank_mask:0xf
	v_cmp_gt_f32_e32 vcc, v18, v19
	s_nop 1
	v_cndmask_b32_e32 v18, v19, v18, vcc
	s_nop 1
	v_mov_b32_dpp v19, v18 row_bcast:31 row_mask:0xf bank_mask:0xf
	v_cmp_gt_f32_e32 vcc, v18, v19
	s_nop 1
	v_cndmask_b32_e32 v18, v19, v18, vcc
	v_mbcnt_lo_u32_b32 v19, -1, 0
	v_mbcnt_hi_u32_b32 v19, -1, v19
	v_lshl_or_b32 v19, v19, 2, v21
	ds_bpermute_b32 v18, v19, v18
.LBB523_6:
	s_cbranch_execz .LBB523_10
	s_branch .LBB523_12
.LBB523_7:
                                        ; implicit-def: $vgpr18
	s_branch .LBB523_16
.LBB523_8:
                                        ; implicit-def: $vgpr18
	s_branch .LBB523_13
.LBB523_9:
                                        ; implicit-def: $vgpr18
.LBB523_10:
	s_cmp_eq_u32 s6, 32
	s_waitcnt lgkmcnt(0)
	v_mov_b32_e32 v18, v1
	s_cbranch_scc0 .LBB523_12
; %bb.11:
	s_nop 0
	v_mov_b32_dpp v18, v1 quad_perm:[1,0,3,2] row_mask:0xf bank_mask:0xf
	v_cmp_gt_f32_e32 vcc, v1, v18
	v_mov_b32_e32 v21, 0x7c
	s_nop 0
	v_cndmask_b32_e32 v18, v18, v1, vcc
	s_nop 1
	v_mov_b32_dpp v19, v18 quad_perm:[2,3,0,1] row_mask:0xf bank_mask:0xf
	v_cmp_gt_f32_e32 vcc, v18, v19
	s_nop 1
	v_cndmask_b32_e32 v18, v19, v18, vcc
	s_nop 1
	v_mov_b32_dpp v19, v18 row_half_mirror row_mask:0xf bank_mask:0xf
	v_cmp_gt_f32_e32 vcc, v18, v19
	s_nop 1
	v_cndmask_b32_e32 v18, v19, v18, vcc
	s_nop 1
	v_mov_b32_dpp v19, v18 row_mirror row_mask:0xf bank_mask:0xf
	v_cmp_gt_f32_e32 vcc, v18, v19
	s_nop 1
	v_cndmask_b32_e32 v18, v19, v18, vcc
	s_nop 1
	v_mov_b32_dpp v19, v18 row_bcast:15 row_mask:0xa bank_mask:0xf
	v_cmp_gt_f32_e32 vcc, v18, v19
	s_nop 1
	v_cndmask_b32_e32 v18, v19, v18, vcc
	v_mbcnt_lo_u32_b32 v19, -1, 0
	v_mbcnt_hi_u32_b32 v19, -1, v19
	v_lshl_or_b32 v19, v19, 2, v21
	ds_bpermute_b32 v18, v19, v18
.LBB523_12:
	s_cbranch_execnz .LBB523_15
.LBB523_13:
	s_cmp_eq_u32 s6, 16
	s_waitcnt lgkmcnt(0)
	v_mov_b32_e32 v18, v1
	s_cbranch_scc0 .LBB523_15
; %bb.14:
	s_nop 0
	v_mov_b32_dpp v18, v1 quad_perm:[1,0,3,2] row_mask:0xf bank_mask:0xf
	v_cmp_gt_f32_e32 vcc, v1, v18
	s_nop 1
	v_cndmask_b32_e32 v18, v18, v1, vcc
	s_nop 1
	v_mov_b32_dpp v19, v18 quad_perm:[2,3,0,1] row_mask:0xf bank_mask:0xf
	v_cmp_gt_f32_e32 vcc, v18, v19
	s_nop 1
	v_cndmask_b32_e32 v18, v19, v18, vcc
	s_nop 1
	v_mov_b32_dpp v19, v18 row_half_mirror row_mask:0xf bank_mask:0xf
	v_cmp_gt_f32_e32 vcc, v18, v19
	s_nop 1
	v_cndmask_b32_e32 v18, v19, v18, vcc
	s_nop 1
	v_mov_b32_dpp v19, v18 row_mirror row_mask:0xf bank_mask:0xf
	v_cmp_gt_f32_e32 vcc, v18, v19
	s_nop 1
	v_cndmask_b32_e32 v18, v19, v18, vcc
.LBB523_15:
	s_cbranch_execnz .LBB523_29
.LBB523_16:
	s_cmp_lt_i32 s6, 4
	s_cbranch_scc1 .LBB523_20
; %bb.17:
	s_cmp_lt_i32 s6, 8
	s_cbranch_scc1 .LBB523_21
; %bb.18:
	s_cmp_eq_u32 s6, 8
	s_waitcnt lgkmcnt(0)
	v_mov_b32_e32 v18, v1
	s_cbranch_scc0 .LBB523_22
; %bb.19:
	s_nop 0
	v_mov_b32_dpp v18, v1 quad_perm:[1,0,3,2] row_mask:0xf bank_mask:0xf
	v_cmp_gt_f32_e32 vcc, v1, v18
	s_nop 1
	v_cndmask_b32_e32 v18, v18, v1, vcc
	s_nop 1
	v_mov_b32_dpp v19, v18 quad_perm:[2,3,0,1] row_mask:0xf bank_mask:0xf
	v_cmp_gt_f32_e32 vcc, v18, v19
	s_nop 1
	v_cndmask_b32_e32 v18, v19, v18, vcc
	s_nop 1
	v_mov_b32_dpp v19, v18 row_half_mirror row_mask:0xf bank_mask:0xf
	v_cmp_gt_f32_e32 vcc, v18, v19
	s_nop 1
	v_cndmask_b32_e32 v18, v19, v18, vcc
	s_cbranch_execz .LBB523_23
	s_branch .LBB523_25
.LBB523_20:
                                        ; implicit-def: $vgpr18
	s_branch .LBB523_26
.LBB523_21:
                                        ; implicit-def: $vgpr18
	s_branch .LBB523_23
.LBB523_22:
	s_cbranch_execnz .LBB523_25
.LBB523_23:
	s_cmp_eq_u32 s6, 4
	s_waitcnt lgkmcnt(0)
	v_mov_b32_e32 v18, v1
	s_cbranch_scc0 .LBB523_25
; %bb.24:
	s_nop 0
	v_mov_b32_dpp v18, v1 quad_perm:[1,0,3,2] row_mask:0xf bank_mask:0xf
	v_cmp_gt_f32_e32 vcc, v1, v18
	s_nop 1
	v_cndmask_b32_e32 v18, v18, v1, vcc
	s_nop 1
	v_mov_b32_dpp v19, v18 quad_perm:[2,3,0,1] row_mask:0xf bank_mask:0xf
	v_cmp_gt_f32_e32 vcc, v18, v19
	s_nop 1
	v_cndmask_b32_e32 v18, v19, v18, vcc
.LBB523_25:
	s_cbranch_execnz .LBB523_29
.LBB523_26:
	s_cmp_lg_u32 s6, 2
	s_cbranch_scc1 .LBB523_28
; %bb.27:
	s_waitcnt lgkmcnt(0)
	v_mov_b32_dpp v18, v1 quad_perm:[1,0,3,2] row_mask:0xf bank_mask:0xf
	v_cmp_gt_f32_e32 vcc, v1, v18
	s_nop 1
	v_cndmask_b32_e32 v1, v18, v1, vcc
.LBB523_28:
	s_waitcnt lgkmcnt(0)
	v_mov_b32_e32 v18, v1
.LBB523_29:
	s_abs_i32 s10, s6
	v_cvt_f32_u32_e32 v1, s10
	s_sub_i32 s12, 0, s10
	s_waitcnt lgkmcnt(0)
	v_mul_f32_e32 v21, 0x3b888889, v18
	s_ashr_i32 s11, s6, 31
	v_rcp_iflag_f32_e32 v1, v1
	s_nop 0
	v_mul_f32_e32 v1, 0x4f7ffffe, v1
	v_cvt_u32_f32_e32 v1, v1
	v_mul_lo_u32 v18, s12, v1
	v_mul_hi_u32 v18, v1, v18
	v_add_u32_e32 v1, v1, v18
	v_mul_hi_u32 v1, v0, v1
	v_mul_lo_u32 v18, v1, s10
	v_sub_u32_e32 v18, v0, v18
	v_add_u32_e32 v19, 1, v1
	v_cmp_le_u32_e32 vcc, s10, v18
	s_nop 1
	v_cndmask_b32_e32 v1, v1, v19, vcc
	v_subrev_u32_e32 v19, s10, v18
	v_cndmask_b32_e32 v18, v18, v19, vcc
	v_add_u32_e32 v19, 1, v1
	v_cmp_le_u32_e32 vcc, s10, v18
	s_nop 1
	v_cndmask_b32_e32 v1, v1, v19, vcc
	v_xor_b32_e32 v1, s11, v1
	v_subrev_u32_e32 v18, s11, v1
	v_mul_lo_u32 v1, v18, s6
	v_sub_u32_e32 v0, v0, v1
	v_cmp_eq_u32_e32 vcc, 0, v0
	s_and_saveexec_b64 s[10:11], vcc
	s_cbranch_execz .LBB523_35
; %bb.30:
	s_bitcmp0_b32 s7, 0
	s_cbranch_scc0 .LBB523_32
; %bb.31:
	s_abs_i32 s6, s5
	v_cvt_f32_u32_e32 v0, s6
	s_sub_i32 s12, 0, s6
	s_abs_i32 s7, s20
	s_xor_b32 s5, s20, s5
	v_rcp_iflag_f32_e32 v0, v0
	s_ashr_i32 s5, s5, 31
	v_ashrrev_i32_e32 v19, 31, v18
	v_mov_b32_e32 v1, s2
	v_mul_f32_e32 v0, 0x4f7ffffe, v0
	v_cvt_u32_f32_e32 v0, v0
	s_nop 0
	v_readfirstlane_b32 s13, v0
	s_mul_i32 s12, s12, s13
	s_mul_hi_u32 s12, s13, s12
	s_add_i32 s13, s13, s12
	s_mul_hi_u32 s12, s7, s13
	s_mul_i32 s13, s12, s6
	s_sub_i32 s7, s7, s13
	s_add_i32 s14, s12, 1
	s_sub_i32 s13, s7, s6
	s_cmp_ge_u32 s7, s6
	s_cselect_b32 s12, s14, s12
	s_cselect_b32 s7, s13, s7
	s_add_i32 s13, s12, 1
	s_cmp_ge_u32 s7, s6
	s_cselect_b32 s6, s13, s12
	s_xor_b32 s6, s6, s5
	s_sub_i32 s5, s6, s5
	s_ashr_i32 s6, s5, 31
	s_mul_i32 s12, s6, s2
	v_mad_u64_u32 v[0:1], s[6:7], s5, v1, v[18:19]
	v_add_u32_e32 v1, s12, v1
	s_cbranch_execz .LBB523_33
	s_branch .LBB523_34
.LBB523_32:
                                        ; implicit-def: $vgpr0_vgpr1
.LBB523_33:
	s_load_dword s0, s[0:1], 0x28
	v_mov_b32_e32 v1, 0
	s_waitcnt lgkmcnt(0)
	v_mul_lo_u32 v0, s0, v18
	v_lshl_add_u64 v[0:1], v[0:1], 0, s[2:3]
.LBB523_34:
	v_lshl_add_u64 v[0:1], v[0:1], 2, s[22:23]
	global_store_dword v[0:1], v21, off
.LBB523_35:
	s_or_b64 exec, exec, s[10:11]
	s_add_i32 s0, s4, 3
	s_ashr_i32 s1, s0, 31
	s_lshr_b32 s1, s1, 30
	s_add_i32 s0, s0, s1
	s_and_b32 s6, s0, -4
	s_mul_i32 s0, s21, s2
	s_mul_hi_u32 s1, s20, s2
	s_add_i32 s1, s1, s0
	s_mul_i32 s0, s20, s2
	;;#ASMSTART
	v_rcp_f32 v18, v21
	;;#ASMEND
	s_add_u32 s4, s8, s0
	v_mov_b32_e32 v19, v18
	;;#ASMSTART
	v_pk_mul_f32 v[0:1], v[14:15], v[18:19]
	;;#ASMEND
	v_mov_b32_e32 v14, 0xc3700000
	v_mov_b32_e32 v15, 0x43700000
	;;#ASMSTART
	v_med3_f32 v0, v0, v14, v15
v_med3_f32 v1, v1, v14, v15
v_cvt_pk_fp8_f32 v21, v0, v1
	;;#ASMEND
	s_addc_u32 s0, s9, s1
	;;#ASMSTART
	v_pk_mul_f32 v[0:1], v[10:11], v[18:19]
	;;#ASMEND
	s_and_b32 s5, s0, 0xffff
	;;#ASMSTART
	v_med3_f32 v0, v0, v14, v15
v_med3_f32 v1, v1, v14, v15
v_cvt_pk_fp8_f32 v10, v0, v1
	;;#ASMEND
	s_mov_b32 s0, 0x5040100
	v_perm_b32 v0, v10, v21, s0
	s_mov_b32 s0, 0x1060504
	v_perm_b32 v0, v0, v10, s0
	;;#ASMSTART
	v_pk_mul_f32 v[10:11], v[16:17], v[18:19]
	;;#ASMEND
	s_mov_b32 s0, 0x1000504
	v_mov_b32_e32 v1, v11
	;;#ASMSTART
	v_med3_f32 v10, v10, v14, v15
v_med3_f32 v1, v1, v14, v15
v_cvt_pk_fp8_f32 v16, v10, v1
	;;#ASMEND
	s_mov_b32 s7, 0x20000
	;;#ASMSTART
	v_pk_mul_f32 v[10:11], v[12:13], v[18:19]
	;;#ASMEND
	s_nop 0
	v_mov_b32_e32 v1, v11
	;;#ASMSTART
	v_med3_f32 v10, v10, v14, v15
v_med3_f32 v1, v1, v14, v15
v_cvt_pk_fp8_f32 v11, v10, v1
	;;#ASMEND
	;;#ASMSTART
	v_pk_mul_f32 v[6:7], v[6:7], v[18:19]
	;;#ASMEND
	s_nop 0
	;;#ASMSTART
	v_med3_f32 v6, v6, v14, v15
v_med3_f32 v7, v7, v14, v15
v_cvt_pk_fp8_f32 v10, v6, v7
	;;#ASMEND
	;;#ASMSTART
	v_pk_mul_f32 v[2:3], v[2:3], v[18:19]
	;;#ASMEND
	v_perm_b32 v1, v16, v11, s0
	;;#ASMSTART
	v_med3_f32 v2, v2, v14, v15
v_med3_f32 v3, v3, v14, v15
v_cvt_pk_fp8_f32 v6, v2, v3
	;;#ASMEND
	;;#ASMSTART
	v_pk_mul_f32 v[4:5], v[4:5], v[18:19]
	;;#ASMEND
	s_nop 0
	v_mov_b32_e32 v3, v5
	v_perm_b32 v2, v10, v6, s0
	;;#ASMSTART
	v_med3_f32 v4, v4, v14, v15
v_med3_f32 v3, v3, v14, v15
v_cvt_pk_fp8_f32 v6, v4, v3
	;;#ASMEND
	s_nop 0
	;;#ASMSTART
	v_pk_mul_f32 v[4:5], v[8:9], v[18:19]
	;;#ASMEND
	s_nop 0
	v_mov_b32_e32 v3, v5
	;;#ASMSTART
	v_med3_f32 v4, v4, v14, v15
v_med3_f32 v3, v3, v14, v15
v_cvt_pk_fp8_f32 v5, v4, v3
	;;#ASMEND
	s_nop 0
	v_perm_b32 v3, v6, v5, s0
	buffer_store_dwordx4 v[0:3], v20, s[4:7], 0 offen
	;;#ASMSTART
	s_nop 0
	;;#ASMEND
.LBB523_36:
	s_endpgm
	.section	.rodata,"a",@progbits
	.p2align	6, 0x0
	.amdhsa_kernel _ZN5aiter24act_and_mul_quant_kernelIDF16_DB8_TnPFfRKT_EXadL_ZNS_11silu_kernelIDF16_EEfS4_EELi256ELi16ELb1EEEvPT0_PS3_Pfiifb
		.amdhsa_group_segment_fixed_size 0
		.amdhsa_private_segment_fixed_size 0
		.amdhsa_kernarg_size 296
		.amdhsa_user_sgpr_count 2
		.amdhsa_user_sgpr_dispatch_ptr 0
		.amdhsa_user_sgpr_queue_ptr 0
		.amdhsa_user_sgpr_kernarg_segment_ptr 1
		.amdhsa_user_sgpr_dispatch_id 0
		.amdhsa_user_sgpr_kernarg_preload_length 0
		.amdhsa_user_sgpr_kernarg_preload_offset 0
		.amdhsa_user_sgpr_private_segment_size 0
		.amdhsa_uses_dynamic_stack 0
		.amdhsa_enable_private_segment 0
		.amdhsa_system_sgpr_workgroup_id_x 1
		.amdhsa_system_sgpr_workgroup_id_y 0
		.amdhsa_system_sgpr_workgroup_id_z 0
		.amdhsa_system_sgpr_workgroup_info 0
		.amdhsa_system_vgpr_workitem_id 0
		.amdhsa_next_free_vgpr 41
		.amdhsa_next_free_sgpr 26
		.amdhsa_accum_offset 44
		.amdhsa_reserve_vcc 1
		.amdhsa_float_round_mode_32 0
		.amdhsa_float_round_mode_16_64 0
		.amdhsa_float_denorm_mode_32 3
		.amdhsa_float_denorm_mode_16_64 3
		.amdhsa_dx10_clamp 1
		.amdhsa_ieee_mode 1
		.amdhsa_fp16_overflow 0
		.amdhsa_tg_split 0
		.amdhsa_exception_fp_ieee_invalid_op 0
		.amdhsa_exception_fp_denorm_src 0
		.amdhsa_exception_fp_ieee_div_zero 0
		.amdhsa_exception_fp_ieee_overflow 0
		.amdhsa_exception_fp_ieee_underflow 0
		.amdhsa_exception_fp_ieee_inexact 0
		.amdhsa_exception_int_div_zero 0
	.end_amdhsa_kernel
	.section	.text._ZN5aiter24act_and_mul_quant_kernelIDF16_DB8_TnPFfRKT_EXadL_ZNS_11silu_kernelIDF16_EEfS4_EELi256ELi16ELb1EEEvPT0_PS3_Pfiifb,"axG",@progbits,_ZN5aiter24act_and_mul_quant_kernelIDF16_DB8_TnPFfRKT_EXadL_ZNS_11silu_kernelIDF16_EEfS4_EELi256ELi16ELb1EEEvPT0_PS3_Pfiifb,comdat
.Lfunc_end523:
	.size	_ZN5aiter24act_and_mul_quant_kernelIDF16_DB8_TnPFfRKT_EXadL_ZNS_11silu_kernelIDF16_EEfS4_EELi256ELi16ELb1EEEvPT0_PS3_Pfiifb, .Lfunc_end523-_ZN5aiter24act_and_mul_quant_kernelIDF16_DB8_TnPFfRKT_EXadL_ZNS_11silu_kernelIDF16_EEfS4_EELi256ELi16ELb1EEEvPT0_PS3_Pfiifb
                                        ; -- End function
	.section	.AMDGPU.csdata,"",@progbits
; Kernel info:
; codeLenInByte = 3956
; NumSgprs: 32
; NumVgprs: 41
; NumAgprs: 0
; TotalNumVgprs: 41
; ScratchSize: 0
; MemoryBound: 0
; FloatMode: 240
; IeeeMode: 1
; LDSByteSize: 0 bytes/workgroup (compile time only)
; SGPRBlocks: 3
; VGPRBlocks: 5
; NumSGPRsForWavesPerEU: 32
; NumVGPRsForWavesPerEU: 41
; AccumOffset: 44
; Occupancy: 8
; WaveLimiterHint : 0
; COMPUTE_PGM_RSRC2:SCRATCH_EN: 0
; COMPUTE_PGM_RSRC2:USER_SGPR: 2
; COMPUTE_PGM_RSRC2:TRAP_HANDLER: 0
; COMPUTE_PGM_RSRC2:TGID_X_EN: 1
; COMPUTE_PGM_RSRC2:TGID_Y_EN: 0
; COMPUTE_PGM_RSRC2:TGID_Z_EN: 0
; COMPUTE_PGM_RSRC2:TIDIG_COMP_CNT: 0
; COMPUTE_PGM_RSRC3_GFX90A:ACCUM_OFFSET: 10
; COMPUTE_PGM_RSRC3_GFX90A:TG_SPLIT: 0
	.section	.text._ZN5aiter24act_and_mul_quant_kernelItDB8_TnPFfRKT_EXadL_ZNS_11silu_kernelItEEfS4_EELi256ELi16ELb1EEEvPT0_PS3_Pfiifb,"axG",@progbits,_ZN5aiter24act_and_mul_quant_kernelItDB8_TnPFfRKT_EXadL_ZNS_11silu_kernelItEEfS4_EELi256ELi16ELb1EEEvPT0_PS3_Pfiifb,comdat
	.protected	_ZN5aiter24act_and_mul_quant_kernelItDB8_TnPFfRKT_EXadL_ZNS_11silu_kernelItEEfS4_EELi256ELi16ELb1EEEvPT0_PS3_Pfiifb ; -- Begin function _ZN5aiter24act_and_mul_quant_kernelItDB8_TnPFfRKT_EXadL_ZNS_11silu_kernelItEEfS4_EELi256ELi16ELb1EEEvPT0_PS3_Pfiifb
	.globl	_ZN5aiter24act_and_mul_quant_kernelItDB8_TnPFfRKT_EXadL_ZNS_11silu_kernelItEEfS4_EELi256ELi16ELb1EEEvPT0_PS3_Pfiifb
	.p2align	8
	.type	_ZN5aiter24act_and_mul_quant_kernelItDB8_TnPFfRKT_EXadL_ZNS_11silu_kernelItEEfS4_EELi256ELi16ELb1EEEvPT0_PS3_Pfiifb,@function
_ZN5aiter24act_and_mul_quant_kernelItDB8_TnPFfRKT_EXadL_ZNS_11silu_kernelItEEfS4_EELi256ELi16ELb1EEEvPT0_PS3_Pfiifb: ; @_ZN5aiter24act_and_mul_quant_kernelItDB8_TnPFfRKT_EXadL_ZNS_11silu_kernelItEEfS4_EELi256ELi16ELb1EEEvPT0_PS3_Pfiifb
; %bb.0:
	s_load_dwordx4 s[4:7], s[0:1], 0x18
	v_lshlrev_b32_e32 v20, 4, v0
	s_waitcnt lgkmcnt(0)
	v_cmp_gt_i32_e32 vcc, s4, v20
	s_and_saveexec_b64 s[8:9], vcc
	s_cbranch_execz .LBB524_36
; %bb.1:
	s_load_dwordx4 s[8:11], s[0:1], 0x0
	s_load_dwordx2 s[22:23], s[0:1], 0x10
	s_ashr_i32 s21, s4, 31
	s_mul_hi_u32 s3, s2, s4
	s_mul_i32 s12, s2, s21
	s_add_i32 s13, s3, s12
	s_mul_i32 s12, s2, s4
	s_lshl_b64 s[12:13], s[12:13], 2
	s_mov_b32 s20, s4
	s_waitcnt lgkmcnt(0)
	s_add_u32 s12, s10, s12
	s_addc_u32 s3, s11, s13
	s_lshl_b64 s[10:11], s[20:21], 1
	s_add_u32 s16, s12, s10
	s_addc_u32 s10, s3, s11
	s_lshl_b32 s11, s4, 1
	s_add_i32 s11, s11, 2
	s_and_b32 s18, s11, -4
	s_and_b32 s17, s10, 0xffff
	s_mov_b32 s19, 0x20000
	v_lshlrev_b32_e32 v18, 5, v0
	buffer_load_dwordx4 v[10:13], v18, s[16:19], 0 offen sc0 nt
	s_and_b32 s13, s3, 0xffff
	s_mov_b32 s14, s18
	s_mov_b32 s15, s19
	buffer_load_dwordx4 v[14:17], v18, s[12:15], 0 offen sc0 nt
	buffer_load_dwordx4 v[2:5], v18, s[16:19], 16 offen sc0 nt
	;; [unrolled: 1-line block ×3, first 2 shown]
	v_max_f32_e64 v21, s6, s6
	s_mov_b32 s24, 0xbfb8aa3b
	s_mov_b32 s10, 0x42ce8ed0
	;; [unrolled: 1-line block ×3, first 2 shown]
	v_mov_b32_e32 v1, 0x7f800000
	s_mov_b32 s3, 0
	s_waitcnt vmcnt(3)
	v_lshlrev_b32_e32 v18, 16, v10
	v_and_b32_e32 v10, 0xffff0000, v10
	v_med3_f32 v19, -s6, v10, s6
	v_lshlrev_b32_e32 v28, 16, v11
	s_waitcnt vmcnt(2)
	v_and_b32_e32 v10, 0xffff0000, v14
	v_lshlrev_b32_e32 v14, 16, v14
	v_max_f32_e32 v14, v14, v14
	v_and_b32_e32 v22, 0xffff0000, v15
	v_lshlrev_b32_e32 v15, 16, v15
	v_max_f32_e32 v10, v10, v10
	v_min_f32_e32 v14, v14, v21
	v_max_f32_e32 v15, v15, v15
	v_max_f32_e32 v22, v22, v22
	v_min_f32_e32 v10, v10, v21
	v_and_b32_e32 v14, 0xffff0000, v14
	v_min_f32_e32 v24, v15, v21
	v_min_f32_e32 v22, v22, v21
	v_and_b32_e32 v15, 0xffff0000, v10
	v_mul_f32_e32 v10, 0xbfb8aa3b, v14
	v_and_b32_e32 v23, 0xffff0000, v22
	v_and_b32_e32 v22, 0xffff0000, v24
	v_mul_f32_e32 v24, 0xbfb8aa3b, v15
	v_fma_f32 v27, v14, s24, -v10
	v_rndne_f32_e32 v29, v10
	v_mul_f32_e32 v25, 0xbfb8aa3b, v22
	v_fma_f32 v30, v15, s24, -v24
	v_rndne_f32_e32 v31, v24
	v_fmac_f32_e32 v27, 0xb2a5705f, v14
	v_sub_f32_e32 v10, v10, v29
	v_mul_f32_e32 v26, 0xbfb8aa3b, v23
	v_fma_f32 v32, v22, s24, -v25
	v_rndne_f32_e32 v33, v25
	v_fmac_f32_e32 v30, 0xb2a5705f, v15
	v_sub_f32_e32 v24, v24, v31
	v_add_f32_e32 v10, v10, v27
	v_fma_f32 v34, v23, s24, -v26
	v_rndne_f32_e32 v35, v26
	v_cvt_i32_f32_e32 v29, v29
	v_fmac_f32_e32 v32, 0xb2a5705f, v22
	v_sub_f32_e32 v25, v25, v33
	v_add_f32_e32 v24, v24, v30
	v_exp_f32_e32 v10, v10
	v_cvt_i32_f32_e32 v31, v31
	v_fmac_f32_e32 v34, 0xb2a5705f, v23
	v_sub_f32_e32 v26, v26, v35
	v_add_f32_e32 v25, v25, v32
	v_exp_f32_e32 v24, v24
	v_cvt_i32_f32_e32 v33, v33
	v_add_f32_e32 v26, v26, v34
	v_exp_f32_e32 v25, v25
	v_cvt_i32_f32_e32 v35, v35
	v_exp_f32_e32 v26, v26
	v_ldexp_f32 v10, v10, v29
	v_cmp_nlt_f32_e32 vcc, s10, v14
	v_ldexp_f32 v24, v24, v31
	v_ldexp_f32 v25, v25, v33
	v_cndmask_b32_e32 v10, 0, v10, vcc
	v_cmp_nlt_f32_e32 vcc, s10, v15
	v_ldexp_f32 v26, v26, v35
	v_med3_f32 v18, -s6, v18, s6
	v_cndmask_b32_e32 v24, 0, v24, vcc
	v_cmp_nlt_f32_e32 vcc, s10, v22
	v_and_b32_e32 v11, 0xffff0000, v11
	v_med3_f32 v11, -s6, v11, s6
	v_cndmask_b32_e32 v25, 0, v25, vcc
	v_cmp_nlt_f32_e32 vcc, s10, v23
	s_nop 1
	v_cndmask_b32_e32 v26, 0, v26, vcc
	v_cmp_ngt_f32_e32 vcc, s11, v14
	s_nop 1
	v_cndmask_b32_e32 v10, v1, v10, vcc
	v_cmp_ngt_f32_e32 vcc, s11, v15
	v_add_f32_e32 v10, 1.0, v10
	s_nop 0
	v_cndmask_b32_e32 v24, v1, v24, vcc
	v_cmp_ngt_f32_e32 vcc, s11, v22
	s_nop 1
	v_cndmask_b32_e32 v27, v1, v25, vcc
	v_cmp_ngt_f32_e32 vcc, s11, v23
	v_add_f32_e32 v25, 1.0, v24
	v_rcp_f32_e32 v24, v10
	v_cndmask_b32_e32 v10, v1, v26, vcc
	v_rcp_f32_e32 v25, v25
	v_add_f32_e32 v26, 1.0, v27
	v_add_f32_e32 v10, 1.0, v10
	v_rcp_f32_e32 v26, v26
	v_rcp_f32_e32 v27, v10
	v_pk_mul_f32 v[14:15], v[24:25], v[14:15]
	v_med3_f32 v10, -s6, v28, s6
	;;#ASMSTART
	v_pk_mul_f32 v[14:15], v[14:15], v[18:19]
	;;#ASMEND
	v_pk_mul_f32 v[18:19], v[26:27], v[22:23]
	v_lshlrev_b32_e32 v24, 16, v12
	;;#ASMSTART
	v_pk_mul_f32 v[10:11], v[18:19], v[10:11]
	;;#ASMEND
	v_and_b32_e32 v19, 0xffff0000, v16
	v_lshlrev_b32_e32 v16, 16, v16
	v_max_f32_e32 v16, v16, v16
	v_min_f32_e32 v16, v16, v21
	v_and_b32_e32 v18, 0xffff0000, v16
	v_mul_f32_e32 v16, 0xbfb8aa3b, v18
	v_fma_f32 v22, v18, s24, -v16
	v_rndne_f32_e32 v23, v16
	v_fmac_f32_e32 v22, 0xb2a5705f, v18
	v_sub_f32_e32 v16, v16, v23
	v_add_f32_e32 v16, v16, v22
	v_exp_f32_e32 v16, v16
	v_cvt_i32_f32_e32 v22, v23
	v_max_f32_e32 v19, v19, v19
	v_min_f32_e32 v19, v19, v21
	v_and_b32_e32 v19, 0xffff0000, v19
	v_ldexp_f32 v16, v16, v22
	v_mul_f32_e32 v22, 0xbfb8aa3b, v19
	v_fma_f32 v23, v19, s24, -v22
	v_rndne_f32_e32 v25, v22
	v_fmac_f32_e32 v23, 0xb2a5705f, v19
	v_sub_f32_e32 v22, v22, v25
	v_add_f32_e32 v22, v22, v23
	v_cmp_nlt_f32_e32 vcc, s10, v18
	v_exp_f32_e32 v23, v22
	v_cvt_i32_f32_e32 v25, v25
	v_cndmask_b32_e32 v16, 0, v16, vcc
	v_cmp_ngt_f32_e32 vcc, s11, v18
	v_and_b32_e32 v12, 0xffff0000, v12
	v_med3_f32 v24, -s6, v24, s6
	v_cndmask_b32_e32 v16, v1, v16, vcc
	v_add_f32_e32 v16, 1.0, v16
	v_rcp_f32_e32 v22, v16
	v_ldexp_f32 v16, v23, v25
	v_cmp_nlt_f32_e32 vcc, s10, v19
	v_med3_f32 v25, -s6, v12, s6
	v_lshlrev_b32_e32 v12, 16, v13
	v_cndmask_b32_e32 v16, 0, v16, vcc
	v_cmp_ngt_f32_e32 vcc, s11, v19
	v_and_b32_e32 v13, 0xffff0000, v13
	v_med3_f32 v12, -s6, v12, s6
	v_cndmask_b32_e32 v16, v1, v16, vcc
	v_add_f32_e32 v16, 1.0, v16
	v_rcp_f32_e32 v23, v16
	v_lshlrev_b32_e32 v16, 16, v17
	v_max_f32_e32 v16, v16, v16
	v_min_f32_e32 v16, v16, v21
	v_and_b32_e32 v16, 0xffff0000, v16
	v_pk_mul_f32 v[18:19], v[22:23], v[18:19]
	v_and_b32_e32 v22, 0xffff0000, v17
	v_mul_f32_e32 v17, 0xbfb8aa3b, v16
	;;#ASMSTART
	v_pk_mul_f32 v[18:19], v[18:19], v[24:25]
	;;#ASMEND
	v_fma_f32 v23, v16, s24, -v17
	v_rndne_f32_e32 v24, v17
	v_fmac_f32_e32 v23, 0xb2a5705f, v16
	v_sub_f32_e32 v17, v17, v24
	v_add_f32_e32 v17, v17, v23
	v_exp_f32_e32 v23, v17
	v_cvt_i32_f32_e32 v24, v24
	v_max_f32_e32 v17, v22, v22
	v_min_f32_e32 v17, v17, v21
	v_and_b32_e32 v17, 0xffff0000, v17
	v_ldexp_f32 v22, v23, v24
	v_mul_f32_e32 v23, 0xbfb8aa3b, v17
	v_fma_f32 v24, v17, s24, -v23
	v_rndne_f32_e32 v25, v23
	v_fmac_f32_e32 v24, 0xb2a5705f, v17
	v_sub_f32_e32 v23, v23, v25
	v_add_f32_e32 v23, v23, v24
	v_exp_f32_e32 v23, v23
	v_cvt_i32_f32_e32 v24, v25
	v_cmp_nlt_f32_e32 vcc, s10, v16
	v_med3_f32 v13, -s6, v13, s6
	v_ldexp_f32 v23, v23, v24
	v_cndmask_b32_e32 v22, 0, v22, vcc
	v_cmp_ngt_f32_e32 vcc, s11, v16
	s_waitcnt vmcnt(1)
	v_lshlrev_b32_e32 v24, 16, v2
	v_and_b32_e32 v2, 0xffff0000, v2
	v_cndmask_b32_e32 v22, v1, v22, vcc
	v_cmp_nlt_f32_e32 vcc, s10, v17
	v_add_f32_e32 v22, 1.0, v22
	v_rcp_f32_e32 v22, v22
	v_cndmask_b32_e32 v23, 0, v23, vcc
	v_cmp_ngt_f32_e32 vcc, s11, v17
	v_med3_f32 v24, -s6, v24, s6
	s_nop 0
	v_cndmask_b32_e32 v23, v1, v23, vcc
	v_add_f32_e32 v23, 1.0, v23
	v_rcp_f32_e32 v23, v23
	s_nop 0
	v_pk_mul_f32 v[16:17], v[22:23], v[16:17]
	s_nop 0
	;;#ASMSTART
	v_pk_mul_f32 v[12:13], v[16:17], v[12:13]
	;;#ASMEND
	s_waitcnt vmcnt(0)
	v_and_b32_e32 v17, 0xffff0000, v6
	v_lshlrev_b32_e32 v6, 16, v6
	v_max_f32_e32 v6, v6, v6
	v_min_f32_e32 v6, v6, v21
	v_and_b32_e32 v16, 0xffff0000, v6
	v_mul_f32_e32 v6, 0xbfb8aa3b, v16
	v_fma_f32 v22, v16, s24, -v6
	v_rndne_f32_e32 v23, v6
	v_fmac_f32_e32 v22, 0xb2a5705f, v16
	v_sub_f32_e32 v6, v6, v23
	v_add_f32_e32 v6, v6, v22
	v_exp_f32_e32 v6, v6
	v_cvt_i32_f32_e32 v22, v23
	v_max_f32_e32 v17, v17, v17
	v_min_f32_e32 v17, v17, v21
	v_and_b32_e32 v17, 0xffff0000, v17
	v_ldexp_f32 v6, v6, v22
	v_mul_f32_e32 v22, 0xbfb8aa3b, v17
	v_fma_f32 v23, v17, s24, -v22
	v_rndne_f32_e32 v25, v22
	v_fmac_f32_e32 v23, 0xb2a5705f, v17
	v_sub_f32_e32 v22, v22, v25
	v_add_f32_e32 v22, v22, v23
	v_cmp_nlt_f32_e32 vcc, s10, v16
	v_exp_f32_e32 v23, v22
	v_cvt_i32_f32_e32 v25, v25
	v_cndmask_b32_e32 v6, 0, v6, vcc
	v_cmp_ngt_f32_e32 vcc, s11, v16
	s_nop 1
	v_cndmask_b32_e32 v6, v1, v6, vcc
	v_add_f32_e32 v6, 1.0, v6
	v_rcp_f32_e32 v22, v6
	v_ldexp_f32 v6, v23, v25
	v_cmp_nlt_f32_e32 vcc, s10, v17
	v_med3_f32 v25, -s6, v2, s6
	v_lshlrev_b32_e32 v2, 16, v3
	v_cndmask_b32_e32 v6, 0, v6, vcc
	v_cmp_ngt_f32_e32 vcc, s11, v17
	v_and_b32_e32 v3, 0xffff0000, v3
	v_med3_f32 v2, -s6, v2, s6
	v_cndmask_b32_e32 v6, v1, v6, vcc
	v_add_f32_e32 v6, 1.0, v6
	v_rcp_f32_e32 v23, v6
	v_lshlrev_b32_e32 v6, 16, v7
	v_max_f32_e32 v6, v6, v6
	v_min_f32_e32 v6, v6, v21
	v_and_b32_e32 v6, 0xffff0000, v6
	v_pk_mul_f32 v[16:17], v[22:23], v[16:17]
	v_and_b32_e32 v22, 0xffff0000, v7
	v_mul_f32_e32 v7, 0xbfb8aa3b, v6
	;;#ASMSTART
	v_pk_mul_f32 v[16:17], v[16:17], v[24:25]
	;;#ASMEND
	v_fma_f32 v23, v6, s24, -v7
	v_rndne_f32_e32 v24, v7
	v_fmac_f32_e32 v23, 0xb2a5705f, v6
	v_sub_f32_e32 v7, v7, v24
	v_add_f32_e32 v7, v7, v23
	v_exp_f32_e32 v23, v7
	v_cvt_i32_f32_e32 v24, v24
	v_max_f32_e32 v7, v22, v22
	v_min_f32_e32 v7, v7, v21
	v_and_b32_e32 v7, 0xffff0000, v7
	v_ldexp_f32 v22, v23, v24
	v_mul_f32_e32 v23, 0xbfb8aa3b, v7
	v_fma_f32 v24, v7, s24, -v23
	v_rndne_f32_e32 v25, v23
	v_fmac_f32_e32 v24, 0xb2a5705f, v7
	v_sub_f32_e32 v23, v23, v25
	v_add_f32_e32 v23, v23, v24
	v_exp_f32_e32 v23, v23
	v_cvt_i32_f32_e32 v24, v25
	v_cmp_nlt_f32_e32 vcc, s10, v6
	v_med3_f32 v3, -s6, v3, s6
	v_ldexp_f32 v23, v23, v24
	v_cndmask_b32_e32 v22, 0, v22, vcc
	v_cmp_ngt_f32_e32 vcc, s11, v6
	v_lshlrev_b32_e32 v24, 16, v4
	v_and_b32_e32 v4, 0xffff0000, v4
	v_cndmask_b32_e32 v22, v1, v22, vcc
	v_cmp_nlt_f32_e32 vcc, s10, v7
	v_add_f32_e32 v22, 1.0, v22
	v_rcp_f32_e32 v22, v22
	v_cndmask_b32_e32 v23, 0, v23, vcc
	v_cmp_ngt_f32_e32 vcc, s11, v7
	v_med3_f32 v24, -s6, v24, s6
	s_nop 0
	v_cndmask_b32_e32 v23, v1, v23, vcc
	v_add_f32_e32 v23, 1.0, v23
	v_rcp_f32_e32 v23, v23
	s_nop 0
	v_pk_mul_f32 v[6:7], v[22:23], v[6:7]
	s_nop 0
	;;#ASMSTART
	v_pk_mul_f32 v[2:3], v[6:7], v[2:3]
	;;#ASMEND
	v_lshlrev_b32_e32 v6, 16, v8
	v_max_f32_e32 v6, v6, v6
	v_min_f32_e32 v6, v6, v21
	v_and_b32_e32 v6, 0xffff0000, v6
	v_and_b32_e32 v7, 0xffff0000, v8
	v_mul_f32_e32 v8, 0xbfb8aa3b, v6
	v_fma_f32 v22, v6, s24, -v8
	v_rndne_f32_e32 v23, v8
	v_fmac_f32_e32 v22, 0xb2a5705f, v6
	v_sub_f32_e32 v8, v8, v23
	v_add_f32_e32 v8, v8, v22
	v_exp_f32_e32 v8, v8
	v_cvt_i32_f32_e32 v22, v23
	v_max_f32_e32 v7, v7, v7
	v_min_f32_e32 v7, v7, v21
	v_and_b32_e32 v7, 0xffff0000, v7
	v_ldexp_f32 v8, v8, v22
	v_mul_f32_e32 v22, 0xbfb8aa3b, v7
	v_fma_f32 v23, v7, s24, -v22
	v_rndne_f32_e32 v25, v22
	v_fmac_f32_e32 v23, 0xb2a5705f, v7
	v_sub_f32_e32 v22, v22, v25
	v_add_f32_e32 v22, v22, v23
	v_cmp_nlt_f32_e32 vcc, s10, v6
	v_exp_f32_e32 v23, v22
	v_cvt_i32_f32_e32 v25, v25
	v_cndmask_b32_e32 v8, 0, v8, vcc
	v_cmp_ngt_f32_e32 vcc, s11, v6
	s_nop 1
	v_cndmask_b32_e32 v8, v1, v8, vcc
	v_add_f32_e32 v8, 1.0, v8
	v_rcp_f32_e32 v22, v8
	v_ldexp_f32 v8, v23, v25
	v_cmp_nlt_f32_e32 vcc, s10, v7
	v_med3_f32 v25, -s6, v4, s6
	v_lshlrev_b32_e32 v4, 16, v5
	v_cndmask_b32_e32 v8, 0, v8, vcc
	v_cmp_ngt_f32_e32 vcc, s11, v7
	v_med3_f32 v4, -s6, v4, s6
	s_nop 0
	v_cndmask_b32_e32 v8, v1, v8, vcc
	v_add_f32_e32 v8, 1.0, v8
	v_rcp_f32_e32 v23, v8
	v_lshlrev_b32_e32 v8, 16, v9
	v_max_f32_e32 v8, v8, v8
	v_min_f32_e32 v8, v8, v21
	v_and_b32_e32 v8, 0xffff0000, v8
	v_pk_mul_f32 v[6:7], v[22:23], v[6:7]
	v_and_b32_e32 v22, 0xffff0000, v9
	v_mul_f32_e32 v9, 0xbfb8aa3b, v8
	;;#ASMSTART
	v_pk_mul_f32 v[6:7], v[6:7], v[24:25]
	;;#ASMEND
	v_fma_f32 v23, v8, s24, -v9
	v_rndne_f32_e32 v24, v9
	v_fmac_f32_e32 v23, 0xb2a5705f, v8
	v_sub_f32_e32 v9, v9, v24
	v_add_f32_e32 v9, v9, v23
	v_exp_f32_e32 v23, v9
	v_cvt_i32_f32_e32 v24, v24
	v_max_f32_e32 v9, v22, v22
	v_min_f32_e32 v9, v9, v21
	v_and_b32_e32 v9, 0xffff0000, v9
	v_mul_f32_e32 v22, 0xbfb8aa3b, v9
	v_ldexp_f32 v21, v23, v24
	v_fma_f32 v23, v9, s24, -v22
	v_rndne_f32_e32 v24, v22
	v_fmac_f32_e32 v23, 0xb2a5705f, v9
	v_sub_f32_e32 v22, v22, v24
	v_add_f32_e32 v22, v22, v23
	v_cmp_nlt_f32_e32 vcc, s10, v8
	v_exp_f32_e32 v23, v22
	v_cvt_i32_f32_e32 v24, v24
	v_cndmask_b32_e32 v21, 0, v21, vcc
	v_cmp_ngt_f32_e32 vcc, s11, v8
	s_nop 1
	v_cndmask_b32_e32 v21, v1, v21, vcc
	v_add_f32_e32 v21, 1.0, v21
	v_rcp_f32_e32 v22, v21
	v_ldexp_f32 v21, v23, v24
	v_cmp_nlt_f32_e32 vcc, s10, v9
	s_nop 1
	v_cndmask_b32_e32 v21, 0, v21, vcc
	v_cmp_ngt_f32_e32 vcc, s11, v9
	s_nop 1
	v_cndmask_b32_e32 v1, v1, v21, vcc
	v_add_f32_e32 v1, 1.0, v1
	v_rcp_f32_e32 v23, v1
	v_and_b32_e32 v1, 0xffff0000, v5
	v_med3_f32 v5, -s6, v1, s6
	v_and_b32_e32 v1, 0x7fffffff, v14
	v_pk_mul_f32 v[8:9], v[22:23], v[8:9]
	s_ashr_i32 s6, s5, 31
	;;#ASMSTART
	v_pk_mul_f32 v[4:5], v[8:9], v[4:5]
	;;#ASMEND
	v_and_b32_e32 v8, 0x7fffffff, v15
	v_mov_b32_e32 v9, 0x2edbe6ff
	;;#ASMSTART
	v_max3_f32 v1, v9, v1, v8

	;;#ASMEND
	v_and_b32_e32 v8, 0x7fffffff, v10
	v_and_b32_e32 v9, 0x7fffffff, v11
	;;#ASMSTART
	v_max3_f32 v1, v1, v8, v9

	;;#ASMEND
	v_and_b32_e32 v8, 0x7fffffff, v18
	v_and_b32_e32 v9, 0x7fffffff, v19
	;; [unrolled: 6-line block ×3, first 2 shown]
	;;#ASMSTART
	v_max3_f32 v1, v1, v8, v9

	;;#ASMEND
	s_lshr_b32 s6, s6, 28
	v_and_b32_e32 v8, 0x7fffffff, v16
	v_and_b32_e32 v9, 0x7fffffff, v17
	;;#ASMSTART
	v_max3_f32 v1, v1, v8, v9

	;;#ASMEND
	s_add_i32 s6, s5, s6
	v_and_b32_e32 v8, 0x7fffffff, v2
	v_and_b32_e32 v9, 0x7fffffff, v3
	;;#ASMSTART
	v_max3_f32 v1, v1, v8, v9

	;;#ASMEND
	s_ashr_i32 s6, s6, 4
	v_and_b32_e32 v8, 0x7fffffff, v6
	v_and_b32_e32 v9, 0x7fffffff, v7
	;;#ASMSTART
	v_max3_f32 v1, v1, v8, v9

	;;#ASMEND
	s_cmp_lt_i32 s6, 16
	v_and_b32_e32 v8, 0x7fffffff, v4
	v_and_b32_e32 v9, 0x7fffffff, v5
	;;#ASMSTART
	v_max3_f32 v1, v1, v8, v9

	;;#ASMEND
	s_cbranch_scc1 .LBB524_7
; %bb.2:
	s_cmp_lt_i32 s6, 32
	s_cbranch_scc1 .LBB524_8
; %bb.3:
	s_cmp_lt_i32 s6, 64
	s_cbranch_scc1 .LBB524_9
; %bb.4:
	s_cmp_eq_u32 s6, 64
	v_mov_b32_e32 v8, v1
	s_cbranch_scc0 .LBB524_6
; %bb.5:
	s_nop 0
	v_mov_b32_dpp v8, v1 quad_perm:[1,0,3,2] row_mask:0xf bank_mask:0xf
	v_cmp_gt_f32_e32 vcc, v1, v8
	v_bfrev_b32_e32 v21, 0.5
	s_nop 0
	v_cndmask_b32_e32 v8, v8, v1, vcc
	s_nop 1
	v_mov_b32_dpp v9, v8 quad_perm:[2,3,0,1] row_mask:0xf bank_mask:0xf
	v_cmp_gt_f32_e32 vcc, v8, v9
	s_nop 1
	v_cndmask_b32_e32 v8, v9, v8, vcc
	s_nop 1
	v_mov_b32_dpp v9, v8 row_ror:4 row_mask:0xf bank_mask:0xf
	v_cmp_gt_f32_e32 vcc, v8, v9
	s_nop 1
	v_cndmask_b32_e32 v8, v9, v8, vcc
	s_nop 1
	v_mov_b32_dpp v9, v8 row_ror:8 row_mask:0xf bank_mask:0xf
	v_cmp_gt_f32_e32 vcc, v8, v9
	s_nop 1
	v_cndmask_b32_e32 v8, v9, v8, vcc
	s_nop 1
	v_mov_b32_dpp v9, v8 row_bcast:15 row_mask:0xf bank_mask:0xf
	v_cmp_gt_f32_e32 vcc, v8, v9
	s_nop 1
	v_cndmask_b32_e32 v8, v9, v8, vcc
	s_nop 1
	v_mov_b32_dpp v9, v8 row_bcast:31 row_mask:0xf bank_mask:0xf
	v_cmp_gt_f32_e32 vcc, v8, v9
	s_nop 1
	v_cndmask_b32_e32 v8, v9, v8, vcc
	v_mbcnt_lo_u32_b32 v9, -1, 0
	v_mbcnt_hi_u32_b32 v9, -1, v9
	v_lshl_or_b32 v9, v9, 2, v21
	ds_bpermute_b32 v8, v9, v8
.LBB524_6:
	s_cbranch_execz .LBB524_10
	s_branch .LBB524_12
.LBB524_7:
                                        ; implicit-def: $vgpr8
	s_branch .LBB524_16
.LBB524_8:
                                        ; implicit-def: $vgpr8
	s_branch .LBB524_13
.LBB524_9:
                                        ; implicit-def: $vgpr8
.LBB524_10:
	s_cmp_eq_u32 s6, 32
	s_waitcnt lgkmcnt(0)
	v_mov_b32_e32 v8, v1
	s_cbranch_scc0 .LBB524_12
; %bb.11:
	s_nop 0
	v_mov_b32_dpp v8, v1 quad_perm:[1,0,3,2] row_mask:0xf bank_mask:0xf
	v_cmp_gt_f32_e32 vcc, v1, v8
	v_mov_b32_e32 v21, 0x7c
	s_nop 0
	v_cndmask_b32_e32 v8, v8, v1, vcc
	s_nop 1
	v_mov_b32_dpp v9, v8 quad_perm:[2,3,0,1] row_mask:0xf bank_mask:0xf
	v_cmp_gt_f32_e32 vcc, v8, v9
	s_nop 1
	v_cndmask_b32_e32 v8, v9, v8, vcc
	s_nop 1
	v_mov_b32_dpp v9, v8 row_half_mirror row_mask:0xf bank_mask:0xf
	v_cmp_gt_f32_e32 vcc, v8, v9
	s_nop 1
	v_cndmask_b32_e32 v8, v9, v8, vcc
	s_nop 1
	v_mov_b32_dpp v9, v8 row_mirror row_mask:0xf bank_mask:0xf
	v_cmp_gt_f32_e32 vcc, v8, v9
	s_nop 1
	v_cndmask_b32_e32 v8, v9, v8, vcc
	s_nop 1
	v_mov_b32_dpp v9, v8 row_bcast:15 row_mask:0xa bank_mask:0xf
	v_cmp_gt_f32_e32 vcc, v8, v9
	s_nop 1
	v_cndmask_b32_e32 v8, v9, v8, vcc
	v_mbcnt_lo_u32_b32 v9, -1, 0
	v_mbcnt_hi_u32_b32 v9, -1, v9
	v_lshl_or_b32 v9, v9, 2, v21
	ds_bpermute_b32 v8, v9, v8
.LBB524_12:
	s_cbranch_execnz .LBB524_15
.LBB524_13:
	s_cmp_eq_u32 s6, 16
	s_waitcnt lgkmcnt(0)
	v_mov_b32_e32 v8, v1
	s_cbranch_scc0 .LBB524_15
; %bb.14:
	s_nop 0
	v_mov_b32_dpp v8, v1 quad_perm:[1,0,3,2] row_mask:0xf bank_mask:0xf
	v_cmp_gt_f32_e32 vcc, v1, v8
	s_nop 1
	v_cndmask_b32_e32 v8, v8, v1, vcc
	s_nop 1
	v_mov_b32_dpp v9, v8 quad_perm:[2,3,0,1] row_mask:0xf bank_mask:0xf
	v_cmp_gt_f32_e32 vcc, v8, v9
	s_nop 1
	v_cndmask_b32_e32 v8, v9, v8, vcc
	s_nop 1
	v_mov_b32_dpp v9, v8 row_half_mirror row_mask:0xf bank_mask:0xf
	v_cmp_gt_f32_e32 vcc, v8, v9
	s_nop 1
	v_cndmask_b32_e32 v8, v9, v8, vcc
	s_nop 1
	v_mov_b32_dpp v9, v8 row_mirror row_mask:0xf bank_mask:0xf
	v_cmp_gt_f32_e32 vcc, v8, v9
	s_nop 1
	v_cndmask_b32_e32 v8, v9, v8, vcc
.LBB524_15:
	s_cbranch_execnz .LBB524_29
.LBB524_16:
	s_cmp_lt_i32 s6, 4
	s_cbranch_scc1 .LBB524_20
; %bb.17:
	s_cmp_lt_i32 s6, 8
	s_cbranch_scc1 .LBB524_21
; %bb.18:
	s_cmp_eq_u32 s6, 8
	s_waitcnt lgkmcnt(0)
	v_mov_b32_e32 v8, v1
	s_cbranch_scc0 .LBB524_22
; %bb.19:
	s_nop 0
	v_mov_b32_dpp v8, v1 quad_perm:[1,0,3,2] row_mask:0xf bank_mask:0xf
	v_cmp_gt_f32_e32 vcc, v1, v8
	s_nop 1
	v_cndmask_b32_e32 v8, v8, v1, vcc
	s_nop 1
	v_mov_b32_dpp v9, v8 quad_perm:[2,3,0,1] row_mask:0xf bank_mask:0xf
	v_cmp_gt_f32_e32 vcc, v8, v9
	s_nop 1
	v_cndmask_b32_e32 v8, v9, v8, vcc
	s_nop 1
	v_mov_b32_dpp v9, v8 row_half_mirror row_mask:0xf bank_mask:0xf
	v_cmp_gt_f32_e32 vcc, v8, v9
	s_nop 1
	v_cndmask_b32_e32 v8, v9, v8, vcc
	s_cbranch_execz .LBB524_23
	s_branch .LBB524_25
.LBB524_20:
                                        ; implicit-def: $vgpr8
	s_branch .LBB524_26
.LBB524_21:
                                        ; implicit-def: $vgpr8
	s_branch .LBB524_23
.LBB524_22:
	s_cbranch_execnz .LBB524_25
.LBB524_23:
	s_cmp_eq_u32 s6, 4
	s_waitcnt lgkmcnt(0)
	v_mov_b32_e32 v8, v1
	s_cbranch_scc0 .LBB524_25
; %bb.24:
	s_nop 0
	v_mov_b32_dpp v8, v1 quad_perm:[1,0,3,2] row_mask:0xf bank_mask:0xf
	v_cmp_gt_f32_e32 vcc, v1, v8
	s_nop 1
	v_cndmask_b32_e32 v8, v8, v1, vcc
	s_nop 1
	v_mov_b32_dpp v9, v8 quad_perm:[2,3,0,1] row_mask:0xf bank_mask:0xf
	v_cmp_gt_f32_e32 vcc, v8, v9
	s_nop 1
	v_cndmask_b32_e32 v8, v9, v8, vcc
.LBB524_25:
	s_cbranch_execnz .LBB524_29
.LBB524_26:
	s_cmp_lg_u32 s6, 2
	s_cbranch_scc1 .LBB524_28
; %bb.27:
	s_waitcnt lgkmcnt(0)
	v_mov_b32_dpp v8, v1 quad_perm:[1,0,3,2] row_mask:0xf bank_mask:0xf
	v_cmp_gt_f32_e32 vcc, v1, v8
	s_nop 1
	v_cndmask_b32_e32 v1, v8, v1, vcc
.LBB524_28:
	s_waitcnt lgkmcnt(0)
	v_mov_b32_e32 v8, v1
.LBB524_29:
	s_abs_i32 s10, s6
	v_cvt_f32_u32_e32 v1, s10
	s_sub_i32 s12, 0, s10
	s_waitcnt lgkmcnt(0)
	v_mul_f32_e32 v21, 0x3b888889, v8
	s_ashr_i32 s11, s6, 31
	v_rcp_iflag_f32_e32 v1, v1
	s_nop 0
	v_mul_f32_e32 v1, 0x4f7ffffe, v1
	v_cvt_u32_f32_e32 v1, v1
	v_mul_lo_u32 v8, s12, v1
	v_mul_hi_u32 v8, v1, v8
	v_add_u32_e32 v1, v1, v8
	v_mul_hi_u32 v1, v0, v1
	v_mul_lo_u32 v8, v1, s10
	v_sub_u32_e32 v8, v0, v8
	v_add_u32_e32 v9, 1, v1
	v_cmp_le_u32_e32 vcc, s10, v8
	s_nop 1
	v_cndmask_b32_e32 v1, v1, v9, vcc
	v_subrev_u32_e32 v9, s10, v8
	v_cndmask_b32_e32 v8, v8, v9, vcc
	v_add_u32_e32 v9, 1, v1
	v_cmp_le_u32_e32 vcc, s10, v8
	s_nop 1
	v_cndmask_b32_e32 v1, v1, v9, vcc
	v_xor_b32_e32 v1, s11, v1
	v_subrev_u32_e32 v8, s11, v1
	v_mul_lo_u32 v1, v8, s6
	v_sub_u32_e32 v0, v0, v1
	v_cmp_eq_u32_e32 vcc, 0, v0
	s_and_saveexec_b64 s[10:11], vcc
	s_cbranch_execz .LBB524_35
; %bb.30:
	s_bitcmp0_b32 s7, 0
	s_cbranch_scc0 .LBB524_32
; %bb.31:
	s_abs_i32 s6, s5
	v_cvt_f32_u32_e32 v0, s6
	s_sub_i32 s12, 0, s6
	s_abs_i32 s7, s20
	s_xor_b32 s5, s20, s5
	v_rcp_iflag_f32_e32 v0, v0
	s_ashr_i32 s5, s5, 31
	v_ashrrev_i32_e32 v9, 31, v8
	v_mov_b32_e32 v1, s2
	v_mul_f32_e32 v0, 0x4f7ffffe, v0
	v_cvt_u32_f32_e32 v0, v0
	s_nop 0
	v_readfirstlane_b32 s13, v0
	s_mul_i32 s12, s12, s13
	s_mul_hi_u32 s12, s13, s12
	s_add_i32 s13, s13, s12
	s_mul_hi_u32 s12, s7, s13
	s_mul_i32 s13, s12, s6
	s_sub_i32 s7, s7, s13
	s_add_i32 s14, s12, 1
	s_sub_i32 s13, s7, s6
	s_cmp_ge_u32 s7, s6
	s_cselect_b32 s12, s14, s12
	s_cselect_b32 s7, s13, s7
	s_add_i32 s13, s12, 1
	s_cmp_ge_u32 s7, s6
	s_cselect_b32 s6, s13, s12
	s_xor_b32 s6, s6, s5
	s_sub_i32 s5, s6, s5
	s_ashr_i32 s6, s5, 31
	s_mul_i32 s12, s6, s2
	v_mad_u64_u32 v[0:1], s[6:7], s5, v1, v[8:9]
	v_add_u32_e32 v1, s12, v1
	s_cbranch_execz .LBB524_33
	s_branch .LBB524_34
.LBB524_32:
                                        ; implicit-def: $vgpr0_vgpr1
.LBB524_33:
	s_load_dword s0, s[0:1], 0x28
	v_mov_b32_e32 v1, 0
	s_waitcnt lgkmcnt(0)
	v_mul_lo_u32 v0, s0, v8
	v_lshl_add_u64 v[0:1], v[0:1], 0, s[2:3]
.LBB524_34:
	v_lshl_add_u64 v[0:1], v[0:1], 2, s[22:23]
	global_store_dword v[0:1], v21, off
.LBB524_35:
	s_or_b64 exec, exec, s[10:11]
	s_add_i32 s0, s4, 3
	s_ashr_i32 s1, s0, 31
	s_lshr_b32 s1, s1, 30
	s_add_i32 s0, s0, s1
	s_and_b32 s6, s0, -4
	s_mul_i32 s0, s21, s2
	s_mul_hi_u32 s1, s20, s2
	s_add_i32 s1, s1, s0
	s_mul_i32 s0, s20, s2
	;;#ASMSTART
	v_rcp_f32 v8, v21
	;;#ASMEND
	s_add_u32 s4, s8, s0
	v_mov_b32_e32 v9, v8
	;;#ASMSTART
	v_pk_mul_f32 v[0:1], v[14:15], v[8:9]
	;;#ASMEND
	v_mov_b32_e32 v14, 0xc3700000
	v_mov_b32_e32 v15, 0x43700000
	;;#ASMSTART
	v_med3_f32 v0, v0, v14, v15
v_med3_f32 v1, v1, v14, v15
v_cvt_pk_fp8_f32 v21, v0, v1
	;;#ASMEND
	s_addc_u32 s0, s9, s1
	;;#ASMSTART
	v_pk_mul_f32 v[0:1], v[10:11], v[8:9]
	;;#ASMEND
	s_and_b32 s5, s0, 0xffff
	;;#ASMSTART
	v_med3_f32 v0, v0, v14, v15
v_med3_f32 v1, v1, v14, v15
v_cvt_pk_fp8_f32 v10, v0, v1
	;;#ASMEND
	s_mov_b32 s0, 0x5040100
	v_perm_b32 v0, v10, v21, s0
	s_mov_b32 s0, 0x1060504
	v_perm_b32 v0, v0, v10, s0
	;;#ASMSTART
	v_pk_mul_f32 v[10:11], v[18:19], v[8:9]
	;;#ASMEND
	s_mov_b32 s0, 0x1000504
	v_mov_b32_e32 v1, v11
	;;#ASMSTART
	v_med3_f32 v10, v10, v14, v15
v_med3_f32 v1, v1, v14, v15
v_cvt_pk_fp8_f32 v18, v10, v1
	;;#ASMEND
	s_mov_b32 s7, 0x20000
	;;#ASMSTART
	v_pk_mul_f32 v[10:11], v[12:13], v[8:9]
	;;#ASMEND
	s_nop 0
	v_mov_b32_e32 v1, v11
	;;#ASMSTART
	v_med3_f32 v10, v10, v14, v15
v_med3_f32 v1, v1, v14, v15
v_cvt_pk_fp8_f32 v11, v10, v1
	;;#ASMEND
	s_nop 0
	v_perm_b32 v1, v18, v11, s0
	;;#ASMSTART
	v_pk_mul_f32 v[10:11], v[16:17], v[8:9]
	;;#ASMEND
	s_nop 0
	;;#ASMSTART
	v_med3_f32 v10, v10, v14, v15
v_med3_f32 v11, v11, v14, v15
v_cvt_pk_fp8_f32 v12, v10, v11
	;;#ASMEND
	;;#ASMSTART
	v_pk_mul_f32 v[2:3], v[2:3], v[8:9]
	;;#ASMEND
	s_nop 0
	;;#ASMSTART
	v_med3_f32 v2, v2, v14, v15
v_med3_f32 v3, v3, v14, v15
v_cvt_pk_fp8_f32 v10, v2, v3
	;;#ASMEND
	;;#ASMSTART
	v_pk_mul_f32 v[6:7], v[6:7], v[8:9]
	;;#ASMEND
	s_nop 0
	v_mov_b32_e32 v3, v7
	;;#ASMSTART
	v_med3_f32 v6, v6, v14, v15
v_med3_f32 v3, v3, v14, v15
v_cvt_pk_fp8_f32 v7, v6, v3
	;;#ASMEND
	;;#ASMSTART
	v_pk_mul_f32 v[4:5], v[4:5], v[8:9]
	;;#ASMEND
	v_perm_b32 v2, v12, v10, s0
	v_mov_b32_e32 v3, v5
	;;#ASMSTART
	v_med3_f32 v4, v4, v14, v15
v_med3_f32 v3, v3, v14, v15
v_cvt_pk_fp8_f32 v5, v4, v3
	;;#ASMEND
	s_nop 0
	v_perm_b32 v3, v7, v5, s0
	buffer_store_dwordx4 v[0:3], v20, s[4:7], 0 offen
	;;#ASMSTART
	s_nop 0
	;;#ASMEND
.LBB524_36:
	s_endpgm
	.section	.rodata,"a",@progbits
	.p2align	6, 0x0
	.amdhsa_kernel _ZN5aiter24act_and_mul_quant_kernelItDB8_TnPFfRKT_EXadL_ZNS_11silu_kernelItEEfS4_EELi256ELi16ELb1EEEvPT0_PS3_Pfiifb
		.amdhsa_group_segment_fixed_size 0
		.amdhsa_private_segment_fixed_size 0
		.amdhsa_kernarg_size 296
		.amdhsa_user_sgpr_count 2
		.amdhsa_user_sgpr_dispatch_ptr 0
		.amdhsa_user_sgpr_queue_ptr 0
		.amdhsa_user_sgpr_kernarg_segment_ptr 1
		.amdhsa_user_sgpr_dispatch_id 0
		.amdhsa_user_sgpr_kernarg_preload_length 0
		.amdhsa_user_sgpr_kernarg_preload_offset 0
		.amdhsa_user_sgpr_private_segment_size 0
		.amdhsa_uses_dynamic_stack 0
		.amdhsa_enable_private_segment 0
		.amdhsa_system_sgpr_workgroup_id_x 1
		.amdhsa_system_sgpr_workgroup_id_y 0
		.amdhsa_system_sgpr_workgroup_id_z 0
		.amdhsa_system_sgpr_workgroup_info 0
		.amdhsa_system_vgpr_workitem_id 0
		.amdhsa_next_free_vgpr 36
		.amdhsa_next_free_sgpr 25
		.amdhsa_accum_offset 36
		.amdhsa_reserve_vcc 1
		.amdhsa_float_round_mode_32 0
		.amdhsa_float_round_mode_16_64 0
		.amdhsa_float_denorm_mode_32 3
		.amdhsa_float_denorm_mode_16_64 3
		.amdhsa_dx10_clamp 1
		.amdhsa_ieee_mode 1
		.amdhsa_fp16_overflow 0
		.amdhsa_tg_split 0
		.amdhsa_exception_fp_ieee_invalid_op 0
		.amdhsa_exception_fp_denorm_src 0
		.amdhsa_exception_fp_ieee_div_zero 0
		.amdhsa_exception_fp_ieee_overflow 0
		.amdhsa_exception_fp_ieee_underflow 0
		.amdhsa_exception_fp_ieee_inexact 0
		.amdhsa_exception_int_div_zero 0
	.end_amdhsa_kernel
	.section	.text._ZN5aiter24act_and_mul_quant_kernelItDB8_TnPFfRKT_EXadL_ZNS_11silu_kernelItEEfS4_EELi256ELi16ELb1EEEvPT0_PS3_Pfiifb,"axG",@progbits,_ZN5aiter24act_and_mul_quant_kernelItDB8_TnPFfRKT_EXadL_ZNS_11silu_kernelItEEfS4_EELi256ELi16ELb1EEEvPT0_PS3_Pfiifb,comdat
.Lfunc_end524:
	.size	_ZN5aiter24act_and_mul_quant_kernelItDB8_TnPFfRKT_EXadL_ZNS_11silu_kernelItEEfS4_EELi256ELi16ELb1EEEvPT0_PS3_Pfiifb, .Lfunc_end524-_ZN5aiter24act_and_mul_quant_kernelItDB8_TnPFfRKT_EXadL_ZNS_11silu_kernelItEEfS4_EELi256ELi16ELb1EEEvPT0_PS3_Pfiifb
                                        ; -- End function
	.section	.AMDGPU.csdata,"",@progbits
; Kernel info:
; codeLenInByte = 4032
; NumSgprs: 31
; NumVgprs: 36
; NumAgprs: 0
; TotalNumVgprs: 36
; ScratchSize: 0
; MemoryBound: 0
; FloatMode: 240
; IeeeMode: 1
; LDSByteSize: 0 bytes/workgroup (compile time only)
; SGPRBlocks: 3
; VGPRBlocks: 4
; NumSGPRsForWavesPerEU: 31
; NumVGPRsForWavesPerEU: 36
; AccumOffset: 36
; Occupancy: 8
; WaveLimiterHint : 0
; COMPUTE_PGM_RSRC2:SCRATCH_EN: 0
; COMPUTE_PGM_RSRC2:USER_SGPR: 2
; COMPUTE_PGM_RSRC2:TRAP_HANDLER: 0
; COMPUTE_PGM_RSRC2:TGID_X_EN: 1
; COMPUTE_PGM_RSRC2:TGID_Y_EN: 0
; COMPUTE_PGM_RSRC2:TGID_Z_EN: 0
; COMPUTE_PGM_RSRC2:TIDIG_COMP_CNT: 0
; COMPUTE_PGM_RSRC3_GFX90A:ACCUM_OFFSET: 8
; COMPUTE_PGM_RSRC3_GFX90A:TG_SPLIT: 0
	.section	.text._ZN5aiter24act_and_mul_quant_kernelIDF16_DB8_TnPFfRKT_EXadL_ZNS_11silu_kernelIDF16_EEfS4_EELi256ELi24ELb1EEEvPT0_PS3_Pfiifb,"axG",@progbits,_ZN5aiter24act_and_mul_quant_kernelIDF16_DB8_TnPFfRKT_EXadL_ZNS_11silu_kernelIDF16_EEfS4_EELi256ELi24ELb1EEEvPT0_PS3_Pfiifb,comdat
	.protected	_ZN5aiter24act_and_mul_quant_kernelIDF16_DB8_TnPFfRKT_EXadL_ZNS_11silu_kernelIDF16_EEfS4_EELi256ELi24ELb1EEEvPT0_PS3_Pfiifb ; -- Begin function _ZN5aiter24act_and_mul_quant_kernelIDF16_DB8_TnPFfRKT_EXadL_ZNS_11silu_kernelIDF16_EEfS4_EELi256ELi24ELb1EEEvPT0_PS3_Pfiifb
	.globl	_ZN5aiter24act_and_mul_quant_kernelIDF16_DB8_TnPFfRKT_EXadL_ZNS_11silu_kernelIDF16_EEfS4_EELi256ELi24ELb1EEEvPT0_PS3_Pfiifb
	.p2align	8
	.type	_ZN5aiter24act_and_mul_quant_kernelIDF16_DB8_TnPFfRKT_EXadL_ZNS_11silu_kernelIDF16_EEfS4_EELi256ELi24ELb1EEEvPT0_PS3_Pfiifb,@function
_ZN5aiter24act_and_mul_quant_kernelIDF16_DB8_TnPFfRKT_EXadL_ZNS_11silu_kernelIDF16_EEfS4_EELi256ELi24ELb1EEEvPT0_PS3_Pfiifb: ; @_ZN5aiter24act_and_mul_quant_kernelIDF16_DB8_TnPFfRKT_EXadL_ZNS_11silu_kernelIDF16_EEfS4_EELi256ELi24ELb1EEEvPT0_PS3_Pfiifb
; %bb.0:
	s_load_dwordx4 s[4:7], s[0:1], 0x18
	v_mul_u32_u24_e32 v28, 24, v0
	s_waitcnt lgkmcnt(0)
	v_cmp_gt_i32_e32 vcc, s4, v28
	s_and_saveexec_b64 s[8:9], vcc
	s_cbranch_execz .LBB525_36
; %bb.1:
	s_load_dwordx4 s[8:11], s[0:1], 0x0
	s_load_dwordx2 s[22:23], s[0:1], 0x10
	s_ashr_i32 s21, s4, 31
	s_mul_hi_u32 s3, s2, s4
	s_mul_i32 s12, s2, s21
	s_add_i32 s13, s3, s12
	s_mul_i32 s12, s2, s4
	s_lshl_b64 s[12:13], s[12:13], 2
	s_mov_b32 s20, s4
	s_waitcnt lgkmcnt(0)
	s_add_u32 s12, s10, s12
	s_addc_u32 s3, s11, s13
	s_lshl_b64 s[10:11], s[20:21], 1
	s_add_u32 s16, s12, s10
	s_addc_u32 s10, s3, s11
	s_lshl_b32 s11, s4, 1
	s_add_i32 s11, s11, 2
	s_and_b32 s18, s11, -4
	s_mov_b32 s19, 0x20000
	s_and_b32 s17, s10, 0xffff
	v_mul_u32_u24_e32 v27, 48, v0
	s_and_b32 s13, s3, 0xffff
	s_mov_b32 s14, s18
	s_mov_b32 s15, s19
	buffer_load_dwordx4 v[18:21], v27, s[16:19], 0 offen sc0 nt
	buffer_load_dwordx4 v[22:25], v27, s[12:15], 0 offen sc0 nt
	;; [unrolled: 1-line block ×6, first 2 shown]
	v_max_f32_e64 v26, s6, s6
	s_mov_b32 s11, 0xbfb8aa3b
	s_mov_b32 s25, 0xb2a5705f
	;; [unrolled: 1-line block ×4, first 2 shown]
	v_mov_b32_e32 v1, 0x7f800000
	s_mov_b32 s3, 0
	s_waitcnt vmcnt(5)
	v_cvt_f32_f16_e32 v27, v18
	s_waitcnt vmcnt(4)
	v_cvt_f32_f16_e32 v32, v22
	v_cvt_f32_f16_sdwa v22, v22 dst_sel:DWORD dst_unused:UNUSED_PAD src0_sel:WORD_1
	v_cvt_f32_f16_sdwa v33, v23 dst_sel:DWORD dst_unused:UNUSED_PAD src0_sel:WORD_1
	v_cvt_f32_f16_e32 v23, v23
	v_cvt_f32_f16_sdwa v29, v18 dst_sel:DWORD dst_unused:UNUSED_PAD src0_sel:WORD_1
	v_med3_f32 v18, -s6, v27, s6
	v_min_f32_e32 v27, v32, v26
	v_min_f32_e32 v22, v22, v26
	v_cvt_f16_f32_e32 v27, v27
	v_min_f32_e32 v23, v23, v26
	v_cvt_f16_f32_e32 v22, v22
	v_cvt_f32_f16_e32 v30, v19
	v_cvt_f32_f16_sdwa v31, v19 dst_sel:DWORD dst_unused:UNUSED_PAD src0_sel:WORD_1
	v_med3_f32 v19, -s6, v29, s6
	v_min_f32_e32 v29, v33, v26
	v_cvt_f16_f32_e32 v23, v23
	v_cvt_f16_f32_e32 v29, v29
	v_cvt_f32_f16_e32 v37, v27
	v_cvt_f32_f16_e32 v38, v22
	;; [unrolled: 1-line block ×4, first 2 shown]
	v_mul_f32_e32 v34, 0xbfb8aa3b, v37
	v_mul_f32_e32 v35, 0xbfb8aa3b, v38
	v_fma_mix_f32 v41, v27, s11, -v34 op_sel_hi:[1,0,0]
	v_rndne_f32_e32 v42, v34
	v_mul_f32_e32 v39, 0xbfb8aa3b, v32
	v_fma_mix_f32 v43, v22, s11, -v35 op_sel_hi:[1,0,0]
	v_rndne_f32_e32 v44, v35
	v_fma_mix_f32 v27, v27, s25, v41 op_sel_hi:[1,0,0]
	v_sub_f32_e32 v34, v34, v42
	v_mul_f32_e32 v40, 0xbfb8aa3b, v33
	v_fma_mix_f32 v45, v23, s11, -v39 op_sel_hi:[1,0,0]
	v_rndne_f32_e32 v46, v39
	v_fma_mix_f32 v22, v22, s25, v43 op_sel_hi:[1,0,0]
	v_sub_f32_e32 v35, v35, v44
	v_add_f32_e32 v27, v34, v27
	v_fma_mix_f32 v47, v29, s11, -v40 op_sel_hi:[1,0,0]
	v_rndne_f32_e32 v48, v40
	v_cvt_i32_f32_e32 v41, v42
	v_fma_mix_f32 v23, v23, s25, v45 op_sel_hi:[1,0,0]
	v_sub_f32_e32 v39, v39, v46
	v_add_f32_e32 v22, v35, v22
	v_exp_f32_e32 v27, v27
	v_cvt_i32_f32_e32 v42, v44
	v_fma_mix_f32 v29, v29, s25, v47 op_sel_hi:[1,0,0]
	v_sub_f32_e32 v40, v40, v48
	v_add_f32_e32 v23, v39, v23
	v_exp_f32_e32 v22, v22
	v_cvt_i32_f32_e32 v43, v46
	v_add_f32_e32 v29, v40, v29
	v_exp_f32_e32 v23, v23
	v_cvt_i32_f32_e32 v44, v48
	v_exp_f32_e32 v29, v29
	v_ldexp_f32 v27, v27, v41
	v_cmp_nlt_f32_e32 vcc, s10, v37
	v_ldexp_f32 v22, v22, v42
	v_ldexp_f32 v23, v23, v43
	v_cndmask_b32_e32 v27, 0, v27, vcc
	v_cmp_nlt_f32_e32 vcc, s10, v38
	v_ldexp_f32 v29, v29, v44
	v_cvt_f32_f16_e32 v36, v24
	v_cndmask_b32_e32 v22, 0, v22, vcc
	v_cmp_nlt_f32_e32 vcc, s10, v32
	v_med3_f32 v30, -s6, v30, s6
	v_cvt_f32_f16_sdwa v24, v24 dst_sel:DWORD dst_unused:UNUSED_PAD src0_sel:WORD_1
	v_cndmask_b32_e32 v23, 0, v23, vcc
	v_cmp_nlt_f32_e32 vcc, s10, v33
	v_med3_f32 v31, -s6, v31, s6
	v_min_f32_e32 v24, v24, v26
	v_cndmask_b32_e32 v29, 0, v29, vcc
	v_cmp_ngt_f32_e32 vcc, s24, v37
	v_cvt_f16_f32_e32 v24, v24
	s_nop 0
	v_cndmask_b32_e32 v27, v1, v27, vcc
	v_cmp_ngt_f32_e32 vcc, s24, v38
	v_add_f32_e32 v27, 1.0, v27
	v_rcp_f32_e32 v27, v27
	v_cndmask_b32_e32 v22, v1, v22, vcc
	v_add_f32_e32 v22, 1.0, v22
	v_rcp_f32_e32 v39, v22
	v_cmp_ngt_f32_e32 vcc, s24, v32
	v_mul_f32_e32 v22, v27, v37
	s_nop 0
	v_cndmask_b32_e32 v23, v1, v23, vcc
	v_cmp_ngt_f32_e32 vcc, s24, v33
	v_add_f32_e32 v23, 1.0, v23
	v_rcp_f32_e32 v34, v23
	v_cndmask_b32_e32 v29, v1, v29, vcc
	v_add_f32_e32 v29, 1.0, v29
	v_mul_f32_e32 v23, v39, v38
	v_rcp_f32_e32 v35, v29
	;;#ASMSTART
	v_pk_mul_f32 v[22:23], v[22:23], v[18:19]
	;;#ASMEND
	v_min_f32_e32 v18, v36, v26
	v_cvt_f16_f32_e32 v27, v18
	v_pk_mul_f32 v[18:19], v[34:35], v[32:33]
	v_cvt_f32_f16_e32 v29, v20
	;;#ASMSTART
	v_pk_mul_f32 v[18:19], v[18:19], v[30:31]
	;;#ASMEND
	v_cvt_f32_f16_e32 v30, v27
	v_cvt_f32_f16_sdwa v20, v20 dst_sel:DWORD dst_unused:UNUSED_PAD src0_sel:WORD_1
	v_mul_f32_e32 v31, 0xbfb8aa3b, v30
	v_fma_mix_f32 v32, v27, s11, -v31 op_sel_hi:[1,0,0]
	v_cmp_nlt_f32_e32 vcc, s10, v30
	v_fma_mix_f32 v27, v27, s25, v32 op_sel_hi:[1,0,0]
	v_rndne_f32_e32 v32, v31
	v_sub_f32_e32 v31, v31, v32
	v_add_f32_e32 v27, v31, v27
	v_cvt_f32_f16_e32 v31, v24
	v_exp_f32_e32 v27, v27
	v_cvt_i32_f32_e32 v33, v32
	v_med3_f32 v32, -s6, v29, s6
	v_mul_f32_e32 v29, 0xbfb8aa3b, v31
	v_ldexp_f32 v27, v27, v33
	v_fma_mix_f32 v33, v24, s11, -v29 op_sel_hi:[1,0,0]
	v_cndmask_b32_e32 v27, 0, v27, vcc
	v_fma_mix_f32 v24, v24, s25, v33 op_sel_hi:[1,0,0]
	v_rndne_f32_e32 v33, v29
	v_sub_f32_e32 v29, v29, v33
	v_add_f32_e32 v24, v29, v24
	v_exp_f32_e32 v24, v24
	v_cvt_i32_f32_e32 v29, v33
	v_cmp_ngt_f32_e32 vcc, s24, v30
	v_med3_f32 v33, -s6, v20, s6
	v_ldexp_f32 v24, v24, v29
	v_cndmask_b32_e32 v27, v1, v27, vcc
	v_add_f32_e32 v27, 1.0, v27
	v_rcp_f32_e32 v34, v27
	v_cmp_nlt_f32_e32 vcc, s10, v31
	v_cvt_f32_f16_e32 v27, v25
	v_cvt_f32_f16_sdwa v29, v25 dst_sel:DWORD dst_unused:UNUSED_PAD src0_sel:WORD_1
	v_cndmask_b32_e32 v24, 0, v24, vcc
	v_cmp_ngt_f32_e32 vcc, s24, v31
	v_min_f32_e32 v29, v29, v26
	s_nop 0
	v_cndmask_b32_e32 v24, v1, v24, vcc
	v_add_f32_e32 v24, 1.0, v24
	v_rcp_f32_e32 v35, v24
	v_min_f32_e32 v24, v27, v26
	v_cvt_f16_f32_e32 v27, v24
	v_cvt_f16_f32_e32 v29, v29
	v_pk_mul_f32 v[24:25], v[34:35], v[30:31]
	s_waitcnt vmcnt(3)
	v_cvt_f32_f16_sdwa v34, v11 dst_sel:DWORD dst_unused:UNUSED_PAD src0_sel:WORD_1
	v_cvt_f32_f16_e32 v20, v27
	;;#ASMSTART
	v_pk_mul_f32 v[24:25], v[24:25], v[32:33]
	;;#ASMEND
	v_cvt_f32_f16_e32 v32, v21
	v_cvt_f32_f16_sdwa v33, v21 dst_sel:DWORD dst_unused:UNUSED_PAD src0_sel:WORD_1
	v_mul_f32_e32 v30, 0xbfb8aa3b, v20
	v_fma_mix_f32 v31, v27, s11, -v30 op_sel_hi:[1,0,0]
	v_cvt_f32_f16_e32 v21, v29
	v_fma_mix_f32 v27, v27, s25, v31 op_sel_hi:[1,0,0]
	v_rndne_f32_e32 v31, v30
	v_sub_f32_e32 v30, v30, v31
	v_add_f32_e32 v27, v30, v27
	v_exp_f32_e32 v27, v27
	v_cvt_i32_f32_e32 v30, v31
	v_cmp_nlt_f32_e32 vcc, s10, v20
	v_med3_f32 v32, -s6, v32, s6
	v_med3_f32 v33, -s6, v33, s6
	v_ldexp_f32 v27, v27, v30
	v_mul_f32_e32 v30, 0xbfb8aa3b, v21
	v_fma_mix_f32 v31, v29, s11, -v30 op_sel_hi:[1,0,0]
	v_cndmask_b32_e32 v27, 0, v27, vcc
	v_fma_mix_f32 v29, v29, s25, v31 op_sel_hi:[1,0,0]
	v_rndne_f32_e32 v31, v30
	v_sub_f32_e32 v30, v30, v31
	v_add_f32_e32 v29, v30, v29
	v_exp_f32_e32 v29, v29
	v_cvt_i32_f32_e32 v31, v31
	v_cmp_ngt_f32_e32 vcc, s24, v20
	s_nop 1
	v_cndmask_b32_e32 v27, v1, v27, vcc
	v_add_f32_e32 v27, 1.0, v27
	v_rcp_f32_e32 v30, v27
	v_ldexp_f32 v27, v29, v31
	v_cmp_nlt_f32_e32 vcc, s10, v21
	v_cvt_f32_f16_e32 v29, v10
	v_cvt_f32_f16_sdwa v10, v10 dst_sel:DWORD dst_unused:UNUSED_PAD src0_sel:WORD_1
	v_cndmask_b32_e32 v27, 0, v27, vcc
	v_cmp_ngt_f32_e32 vcc, s24, v21
	s_nop 1
	v_cndmask_b32_e32 v27, v1, v27, vcc
	v_add_f32_e32 v27, 1.0, v27
	v_rcp_f32_e32 v31, v27
	s_waitcnt vmcnt(2)
	v_cvt_f32_f16_e32 v27, v14
	v_cvt_f32_f16_sdwa v14, v14 dst_sel:DWORD dst_unused:UNUSED_PAD src0_sel:WORD_1
	v_pk_mul_f32 v[20:21], v[30:31], v[20:21]
	v_min_f32_e32 v27, v27, v26
	v_cvt_f16_f32_e32 v27, v27
	;;#ASMSTART
	v_pk_mul_f32 v[20:21], v[20:21], v[32:33]
	;;#ASMEND
	v_min_f32_e32 v14, v14, v26
	v_cvt_f16_f32_e32 v14, v14
	v_cvt_f32_f16_e32 v32, v27
	v_mul_f32_e32 v30, 0xbfb8aa3b, v32
	v_fma_mix_f32 v31, v27, s11, -v30 op_sel_hi:[1,0,0]
	v_cmp_nlt_f32_e32 vcc, s10, v32
	v_fma_mix_f32 v27, v27, s25, v31 op_sel_hi:[1,0,0]
	v_rndne_f32_e32 v31, v30
	v_sub_f32_e32 v30, v30, v31
	v_add_f32_e32 v27, v30, v27
	v_cvt_i32_f32_e32 v33, v31
	v_med3_f32 v31, -s6, v10, s6
	v_cvt_f32_f16_e32 v10, v14
	v_exp_f32_e32 v27, v27
	v_med3_f32 v30, -s6, v29, s6
	v_mul_f32_e32 v29, 0xbfb8aa3b, v10
	v_ldexp_f32 v27, v27, v33
	v_fma_mix_f32 v33, v14, s11, -v29 op_sel_hi:[1,0,0]
	v_cndmask_b32_e32 v27, 0, v27, vcc
	v_fma_mix_f32 v14, v14, s25, v33 op_sel_hi:[1,0,0]
	v_rndne_f32_e32 v33, v29
	v_sub_f32_e32 v29, v29, v33
	v_add_f32_e32 v14, v29, v14
	v_exp_f32_e32 v14, v14
	v_cvt_i32_f32_e32 v29, v33
	v_cmp_ngt_f32_e32 vcc, s24, v32
	v_ldexp_f32 v14, v14, v29
	s_nop 0
	v_cndmask_b32_e32 v27, v1, v27, vcc
	v_add_f32_e32 v27, 1.0, v27
	v_rcp_f32_e32 v27, v27
	v_cvt_f32_f16_e32 v29, v15
	v_cmp_nlt_f32_e32 vcc, s10, v10
	v_mul_f32_e32 v32, v27, v32
	s_nop 0
	v_cndmask_b32_e32 v14, 0, v14, vcc
	v_cmp_ngt_f32_e32 vcc, s24, v10
	v_min_f32_e32 v27, v29, v26
	v_cvt_f16_f32_e32 v27, v27
	v_cndmask_b32_e32 v14, v1, v14, vcc
	v_add_f32_e32 v14, 1.0, v14
	v_rcp_f32_e32 v14, v14
	v_cvt_f32_f16_sdwa v29, v15 dst_sel:DWORD dst_unused:UNUSED_PAD src0_sel:WORD_1
	v_mul_f32_e32 v33, v14, v10
	v_cvt_f32_f16_e32 v10, v27
	;;#ASMSTART
	v_pk_mul_f32 v[14:15], v[32:33], v[30:31]
	;;#ASMEND
	v_min_f32_e32 v29, v29, v26
	v_cvt_f16_f32_e32 v29, v29
	v_mul_f32_e32 v31, 0xbfb8aa3b, v10
	v_fma_mix_f32 v32, v27, s11, -v31 op_sel_hi:[1,0,0]
	v_cvt_f32_f16_e32 v30, v11
	v_fma_mix_f32 v27, v27, s25, v32 op_sel_hi:[1,0,0]
	v_rndne_f32_e32 v32, v31
	v_sub_f32_e32 v31, v31, v32
	v_add_f32_e32 v27, v31, v27
	v_exp_f32_e32 v27, v27
	v_cvt_i32_f32_e32 v31, v32
	v_cvt_f32_f16_e32 v11, v29
	v_cmp_nlt_f32_e32 vcc, s10, v10
	v_med3_f32 v30, -s6, v30, s6
	v_ldexp_f32 v27, v27, v31
	v_mul_f32_e32 v31, 0xbfb8aa3b, v11
	v_fma_mix_f32 v32, v29, s11, -v31 op_sel_hi:[1,0,0]
	v_cndmask_b32_e32 v27, 0, v27, vcc
	v_fma_mix_f32 v29, v29, s25, v32 op_sel_hi:[1,0,0]
	v_rndne_f32_e32 v32, v31
	v_sub_f32_e32 v31, v31, v32
	v_add_f32_e32 v29, v31, v29
	v_exp_f32_e32 v29, v29
	v_cvt_i32_f32_e32 v31, v32
	v_cmp_ngt_f32_e32 vcc, s24, v10
	s_nop 1
	v_cndmask_b32_e32 v27, v1, v27, vcc
	v_add_f32_e32 v27, 1.0, v27
	v_rcp_f32_e32 v32, v27
	v_ldexp_f32 v27, v29, v31
	v_cmp_nlt_f32_e32 vcc, s10, v11
	v_cvt_f32_f16_e32 v29, v16
	v_cvt_f32_f16_sdwa v16, v16 dst_sel:DWORD dst_unused:UNUSED_PAD src0_sel:WORD_1
	v_cndmask_b32_e32 v27, 0, v27, vcc
	v_cmp_ngt_f32_e32 vcc, s24, v11
	v_med3_f32 v31, -s6, v34, s6
	v_min_f32_e32 v16, v16, v26
	v_cndmask_b32_e32 v27, v1, v27, vcc
	v_add_f32_e32 v27, 1.0, v27
	v_rcp_f32_e32 v33, v27
	v_min_f32_e32 v27, v29, v26
	v_cvt_f16_f32_e32 v27, v27
	v_cvt_f16_f32_e32 v16, v16
	v_pk_mul_f32 v[10:11], v[32:33], v[10:11]
	v_cvt_f32_f16_e32 v29, v12
	;;#ASMSTART
	v_pk_mul_f32 v[10:11], v[10:11], v[30:31]
	;;#ASMEND
	v_cvt_f32_f16_e32 v30, v27
	v_cvt_f32_f16_sdwa v12, v12 dst_sel:DWORD dst_unused:UNUSED_PAD src0_sel:WORD_1
	v_mul_f32_e32 v31, 0xbfb8aa3b, v30
	v_fma_mix_f32 v32, v27, s11, -v31 op_sel_hi:[1,0,0]
	v_cmp_nlt_f32_e32 vcc, s10, v30
	v_fma_mix_f32 v27, v27, s25, v32 op_sel_hi:[1,0,0]
	v_rndne_f32_e32 v32, v31
	v_sub_f32_e32 v31, v31, v32
	v_add_f32_e32 v27, v31, v27
	v_cvt_f32_f16_e32 v31, v16
	v_exp_f32_e32 v27, v27
	v_cvt_i32_f32_e32 v33, v32
	v_med3_f32 v32, -s6, v29, s6
	v_mul_f32_e32 v29, 0xbfb8aa3b, v31
	v_ldexp_f32 v27, v27, v33
	v_fma_mix_f32 v33, v16, s11, -v29 op_sel_hi:[1,0,0]
	v_cndmask_b32_e32 v27, 0, v27, vcc
	v_fma_mix_f32 v16, v16, s25, v33 op_sel_hi:[1,0,0]
	v_rndne_f32_e32 v33, v29
	v_sub_f32_e32 v29, v29, v33
	v_add_f32_e32 v16, v29, v16
	v_exp_f32_e32 v16, v16
	v_cvt_i32_f32_e32 v29, v33
	v_cmp_ngt_f32_e32 vcc, s24, v30
	v_med3_f32 v33, -s6, v12, s6
	v_ldexp_f32 v16, v16, v29
	v_cndmask_b32_e32 v27, v1, v27, vcc
	v_add_f32_e32 v27, 1.0, v27
	v_rcp_f32_e32 v34, v27
	v_cmp_nlt_f32_e32 vcc, s10, v31
	v_cvt_f32_f16_e32 v27, v17
	v_cvt_f32_f16_sdwa v29, v17 dst_sel:DWORD dst_unused:UNUSED_PAD src0_sel:WORD_1
	v_cndmask_b32_e32 v16, 0, v16, vcc
	v_cmp_ngt_f32_e32 vcc, s24, v31
	v_min_f32_e32 v29, v29, v26
	s_nop 0
	v_cndmask_b32_e32 v16, v1, v16, vcc
	v_add_f32_e32 v16, 1.0, v16
	v_rcp_f32_e32 v35, v16
	v_min_f32_e32 v16, v27, v26
	v_cvt_f16_f32_e32 v27, v16
	v_cvt_f16_f32_e32 v29, v29
	v_pk_mul_f32 v[16:17], v[34:35], v[30:31]
	s_waitcnt vmcnt(0)
	v_cvt_f32_f16_sdwa v34, v3 dst_sel:DWORD dst_unused:UNUSED_PAD src0_sel:WORD_1
	v_cvt_f32_f16_e32 v12, v27
	;;#ASMSTART
	v_pk_mul_f32 v[16:17], v[16:17], v[32:33]
	;;#ASMEND
	v_cvt_f32_f16_e32 v32, v13
	v_cvt_f32_f16_sdwa v33, v13 dst_sel:DWORD dst_unused:UNUSED_PAD src0_sel:WORD_1
	v_mul_f32_e32 v30, 0xbfb8aa3b, v12
	v_fma_mix_f32 v31, v27, s11, -v30 op_sel_hi:[1,0,0]
	v_cvt_f32_f16_e32 v13, v29
	v_fma_mix_f32 v27, v27, s25, v31 op_sel_hi:[1,0,0]
	v_rndne_f32_e32 v31, v30
	v_sub_f32_e32 v30, v30, v31
	v_add_f32_e32 v27, v30, v27
	v_exp_f32_e32 v27, v27
	v_cvt_i32_f32_e32 v30, v31
	v_cmp_nlt_f32_e32 vcc, s10, v12
	v_med3_f32 v32, -s6, v32, s6
	v_med3_f32 v33, -s6, v33, s6
	v_ldexp_f32 v27, v27, v30
	v_mul_f32_e32 v30, 0xbfb8aa3b, v13
	v_fma_mix_f32 v31, v29, s11, -v30 op_sel_hi:[1,0,0]
	v_cndmask_b32_e32 v27, 0, v27, vcc
	v_fma_mix_f32 v29, v29, s25, v31 op_sel_hi:[1,0,0]
	v_rndne_f32_e32 v31, v30
	v_sub_f32_e32 v30, v30, v31
	v_add_f32_e32 v29, v30, v29
	v_exp_f32_e32 v29, v29
	v_cvt_i32_f32_e32 v31, v31
	v_cmp_ngt_f32_e32 vcc, s24, v12
	s_nop 1
	v_cndmask_b32_e32 v27, v1, v27, vcc
	v_add_f32_e32 v27, 1.0, v27
	v_rcp_f32_e32 v30, v27
	v_ldexp_f32 v27, v29, v31
	v_cmp_nlt_f32_e32 vcc, s10, v13
	v_cvt_f32_f16_e32 v29, v2
	v_cvt_f32_f16_sdwa v2, v2 dst_sel:DWORD dst_unused:UNUSED_PAD src0_sel:WORD_1
	v_cndmask_b32_e32 v27, 0, v27, vcc
	v_cmp_ngt_f32_e32 vcc, s24, v13
	s_nop 1
	v_cndmask_b32_e32 v27, v1, v27, vcc
	v_add_f32_e32 v27, 1.0, v27
	v_rcp_f32_e32 v31, v27
	v_cvt_f32_f16_e32 v27, v6
	v_cvt_f32_f16_sdwa v6, v6 dst_sel:DWORD dst_unused:UNUSED_PAD src0_sel:WORD_1
	v_pk_mul_f32 v[12:13], v[30:31], v[12:13]
	v_min_f32_e32 v27, v27, v26
	v_cvt_f16_f32_e32 v27, v27
	;;#ASMSTART
	v_pk_mul_f32 v[12:13], v[12:13], v[32:33]
	;;#ASMEND
	v_min_f32_e32 v6, v6, v26
	v_cvt_f16_f32_e32 v6, v6
	v_cvt_f32_f16_e32 v32, v27
	v_mul_f32_e32 v30, 0xbfb8aa3b, v32
	v_fma_mix_f32 v31, v27, s11, -v30 op_sel_hi:[1,0,0]
	v_cmp_nlt_f32_e32 vcc, s10, v32
	v_fma_mix_f32 v27, v27, s25, v31 op_sel_hi:[1,0,0]
	v_rndne_f32_e32 v31, v30
	v_sub_f32_e32 v30, v30, v31
	v_add_f32_e32 v27, v30, v27
	v_cvt_i32_f32_e32 v33, v31
	v_med3_f32 v31, -s6, v2, s6
	v_cvt_f32_f16_e32 v2, v6
	v_exp_f32_e32 v27, v27
	v_med3_f32 v30, -s6, v29, s6
	v_mul_f32_e32 v29, 0xbfb8aa3b, v2
	v_ldexp_f32 v27, v27, v33
	v_fma_mix_f32 v33, v6, s11, -v29 op_sel_hi:[1,0,0]
	v_cndmask_b32_e32 v27, 0, v27, vcc
	v_fma_mix_f32 v6, v6, s25, v33 op_sel_hi:[1,0,0]
	v_rndne_f32_e32 v33, v29
	v_sub_f32_e32 v29, v29, v33
	v_add_f32_e32 v6, v29, v6
	v_exp_f32_e32 v6, v6
	v_cvt_i32_f32_e32 v29, v33
	v_cmp_ngt_f32_e32 vcc, s24, v32
	v_ldexp_f32 v6, v6, v29
	s_nop 0
	v_cndmask_b32_e32 v27, v1, v27, vcc
	v_add_f32_e32 v27, 1.0, v27
	v_rcp_f32_e32 v27, v27
	v_cvt_f32_f16_e32 v29, v7
	v_cmp_nlt_f32_e32 vcc, s10, v2
	v_mul_f32_e32 v32, v27, v32
	s_nop 0
	v_cndmask_b32_e32 v6, 0, v6, vcc
	v_cmp_ngt_f32_e32 vcc, s24, v2
	v_min_f32_e32 v27, v29, v26
	v_cvt_f16_f32_e32 v27, v27
	v_cndmask_b32_e32 v6, v1, v6, vcc
	v_add_f32_e32 v6, 1.0, v6
	v_rcp_f32_e32 v6, v6
	v_cvt_f32_f16_sdwa v29, v7 dst_sel:DWORD dst_unused:UNUSED_PAD src0_sel:WORD_1
	v_mul_f32_e32 v33, v6, v2
	v_cvt_f32_f16_e32 v2, v27
	;;#ASMSTART
	v_pk_mul_f32 v[6:7], v[32:33], v[30:31]
	;;#ASMEND
	v_min_f32_e32 v29, v29, v26
	v_cvt_f16_f32_e32 v29, v29
	v_mul_f32_e32 v31, 0xbfb8aa3b, v2
	v_fma_mix_f32 v32, v27, s11, -v31 op_sel_hi:[1,0,0]
	v_cvt_f32_f16_e32 v30, v3
	v_fma_mix_f32 v27, v27, s25, v32 op_sel_hi:[1,0,0]
	v_rndne_f32_e32 v32, v31
	v_sub_f32_e32 v31, v31, v32
	v_add_f32_e32 v27, v31, v27
	v_exp_f32_e32 v27, v27
	v_cvt_i32_f32_e32 v31, v32
	v_cvt_f32_f16_e32 v3, v29
	v_cmp_nlt_f32_e32 vcc, s10, v2
	v_med3_f32 v30, -s6, v30, s6
	v_ldexp_f32 v27, v27, v31
	v_mul_f32_e32 v31, 0xbfb8aa3b, v3
	v_fma_mix_f32 v32, v29, s11, -v31 op_sel_hi:[1,0,0]
	v_cndmask_b32_e32 v27, 0, v27, vcc
	v_fma_mix_f32 v29, v29, s25, v32 op_sel_hi:[1,0,0]
	v_rndne_f32_e32 v32, v31
	v_sub_f32_e32 v31, v31, v32
	v_add_f32_e32 v29, v31, v29
	v_exp_f32_e32 v29, v29
	v_cvt_i32_f32_e32 v31, v32
	v_cmp_ngt_f32_e32 vcc, s24, v2
	s_nop 1
	v_cndmask_b32_e32 v27, v1, v27, vcc
	v_add_f32_e32 v27, 1.0, v27
	v_rcp_f32_e32 v32, v27
	v_ldexp_f32 v27, v29, v31
	v_cmp_nlt_f32_e32 vcc, s10, v3
	v_cvt_f32_f16_e32 v29, v8
	v_cvt_f32_f16_sdwa v8, v8 dst_sel:DWORD dst_unused:UNUSED_PAD src0_sel:WORD_1
	v_cndmask_b32_e32 v27, 0, v27, vcc
	v_cmp_ngt_f32_e32 vcc, s24, v3
	v_med3_f32 v31, -s6, v34, s6
	v_min_f32_e32 v8, v8, v26
	v_cndmask_b32_e32 v27, v1, v27, vcc
	v_add_f32_e32 v27, 1.0, v27
	v_rcp_f32_e32 v33, v27
	v_min_f32_e32 v27, v29, v26
	v_cvt_f16_f32_e32 v27, v27
	v_cvt_f32_f16_e32 v29, v4
	v_pk_mul_f32 v[2:3], v[32:33], v[2:3]
	v_cvt_f16_f32_e32 v32, v8
	;;#ASMSTART
	v_pk_mul_f32 v[2:3], v[2:3], v[30:31]
	;;#ASMEND
	v_cvt_f32_f16_e32 v30, v27
	v_cvt_f32_f16_sdwa v4, v4 dst_sel:DWORD dst_unused:UNUSED_PAD src0_sel:WORD_1
	v_mul_f32_e32 v8, 0xbfb8aa3b, v30
	v_fma_mix_f32 v31, v27, s11, -v8 op_sel_hi:[1,0,0]
	v_cmp_nlt_f32_e32 vcc, s10, v30
	v_fma_mix_f32 v27, v27, s25, v31 op_sel_hi:[1,0,0]
	v_rndne_f32_e32 v31, v8
	v_sub_f32_e32 v8, v8, v31
	v_add_f32_e32 v8, v8, v27
	v_cvt_i32_f32_e32 v33, v31
	v_cvt_f32_f16_e32 v31, v32
	v_exp_f32_e32 v27, v8
	v_med3_f32 v8, -s6, v29, s6
	v_mul_f32_e32 v29, 0xbfb8aa3b, v31
	v_ldexp_f32 v27, v27, v33
	v_fma_mix_f32 v33, v32, s11, -v29 op_sel_hi:[1,0,0]
	v_cndmask_b32_e32 v27, 0, v27, vcc
	v_fma_mix_f32 v32, v32, s25, v33 op_sel_hi:[1,0,0]
	v_rndne_f32_e32 v33, v29
	v_sub_f32_e32 v29, v29, v33
	v_add_f32_e32 v29, v29, v32
	v_exp_f32_e32 v29, v29
	v_cvt_i32_f32_e32 v33, v33
	v_cmp_ngt_f32_e32 vcc, s24, v30
	s_nop 1
	v_cndmask_b32_e32 v27, v1, v27, vcc
	v_add_f32_e32 v27, 1.0, v27
	v_rcp_f32_e32 v32, v27
	v_ldexp_f32 v27, v29, v33
	v_cvt_f32_f16_e32 v29, v9
	v_cmp_nlt_f32_e32 vcc, s10, v31
	v_min_f32_e32 v29, v29, v26
	v_cvt_f16_f32_e32 v29, v29
	v_cndmask_b32_e32 v27, 0, v27, vcc
	v_cmp_ngt_f32_e32 vcc, s24, v31
	s_nop 1
	v_cndmask_b32_e32 v27, v1, v27, vcc
	v_add_f32_e32 v27, 1.0, v27
	v_rcp_f32_e32 v33, v27
	v_cvt_f32_f16_sdwa v27, v9 dst_sel:DWORD dst_unused:UNUSED_PAD src0_sel:WORD_1
	v_med3_f32 v9, -s6, v4, s6
	v_cvt_f32_f16_e32 v4, v29
	v_pk_mul_f32 v[30:31], v[32:33], v[30:31]
	v_min_f32_e32 v26, v27, v26
	v_cvt_f16_f32_e32 v26, v26
	v_mul_f32_e32 v27, 0xbfb8aa3b, v4
	v_fma_mix_f32 v32, v29, s11, -v27 op_sel_hi:[1,0,0]
	v_cvt_f32_f16_sdwa v33, v5 dst_sel:DWORD dst_unused:UNUSED_PAD src0_sel:WORD_1
	v_fma_mix_f32 v29, v29, s25, v32 op_sel_hi:[1,0,0]
	v_rndne_f32_e32 v32, v27
	v_sub_f32_e32 v27, v27, v32
	v_add_f32_e32 v27, v27, v29
	v_exp_f32_e32 v27, v27
	v_cvt_i32_f32_e32 v29, v32
	v_cvt_f32_f16_e32 v32, v5
	v_cvt_f32_f16_e32 v5, v26
	v_cmp_nlt_f32_e32 vcc, s10, v4
	v_ldexp_f32 v27, v27, v29
	;;#ASMSTART
	v_pk_mul_f32 v[8:9], v[30:31], v[8:9]
	;;#ASMEND
	v_mul_f32_e32 v29, 0xbfb8aa3b, v5
	v_fma_mix_f32 v34, v26, s11, -v29 op_sel_hi:[1,0,0]
	v_cndmask_b32_e32 v27, 0, v27, vcc
	v_fma_mix_f32 v26, v26, s25, v34 op_sel_hi:[1,0,0]
	v_rndne_f32_e32 v34, v29
	v_sub_f32_e32 v29, v29, v34
	v_add_f32_e32 v26, v29, v26
	v_exp_f32_e32 v29, v26
	v_cvt_i32_f32_e32 v34, v34
	v_cmp_ngt_f32_e32 vcc, s24, v4
	v_med3_f32 v30, -s6, v32, s6
	v_med3_f32 v31, -s6, v33, s6
	v_cndmask_b32_e32 v26, v1, v27, vcc
	v_ldexp_f32 v27, v29, v34
	v_cmp_nlt_f32_e32 vcc, s10, v5
	v_add_f32_e32 v26, 1.0, v26
	v_rcp_f32_e32 v26, v26
	v_cndmask_b32_e32 v27, 0, v27, vcc
	v_cmp_ngt_f32_e32 vcc, s24, v5
	s_mul_hi_i32 s6, s5, 0x2aaaaaab
	s_lshr_b32 s10, s6, 31
	v_cndmask_b32_e32 v1, v1, v27, vcc
	v_add_f32_e32 v1, 1.0, v1
	v_rcp_f32_e32 v27, v1
	v_and_b32_e32 v1, 0x7fffffff, v22
	s_ashr_i32 s6, s6, 2
	s_add_i32 s6, s6, s10
	v_pk_mul_f32 v[4:5], v[26:27], v[4:5]
	v_and_b32_e32 v26, 0x7fffffff, v23
	;;#ASMSTART
	v_pk_mul_f32 v[4:5], v[4:5], v[30:31]
	;;#ASMEND
	v_mov_b32_e32 v27, 0x2edbe6ff
	;;#ASMSTART
	v_max3_f32 v1, v27, v1, v26

	;;#ASMEND
	v_and_b32_e32 v26, 0x7fffffff, v18
	v_and_b32_e32 v27, 0x7fffffff, v19
	;;#ASMSTART
	v_max3_f32 v1, v1, v26, v27

	;;#ASMEND
	v_and_b32_e32 v26, 0x7fffffff, v24
	v_and_b32_e32 v27, 0x7fffffff, v25
	;; [unrolled: 6-line block ×10, first 2 shown]
	;;#ASMSTART
	v_max3_f32 v1, v1, v26, v27

	;;#ASMEND
	s_cmp_lt_i32 s6, 16
	v_and_b32_e32 v26, 0x7fffffff, v4
	v_and_b32_e32 v27, 0x7fffffff, v5
	;;#ASMSTART
	v_max3_f32 v1, v1, v26, v27

	;;#ASMEND
	s_cbranch_scc1 .LBB525_7
; %bb.2:
	s_cmp_lt_i32 s6, 32
	s_cbranch_scc1 .LBB525_8
; %bb.3:
	s_cmp_lt_i32 s6, 64
	s_cbranch_scc1 .LBB525_9
; %bb.4:
	s_cmp_eq_u32 s6, 64
	v_mov_b32_e32 v26, v1
	s_cbranch_scc0 .LBB525_6
; %bb.5:
	s_nop 0
	v_mov_b32_dpp v26, v1 quad_perm:[1,0,3,2] row_mask:0xf bank_mask:0xf
	v_cmp_gt_f32_e32 vcc, v1, v26
	v_bfrev_b32_e32 v29, 0.5
	s_nop 0
	v_cndmask_b32_e32 v26, v26, v1, vcc
	s_nop 1
	v_mov_b32_dpp v27, v26 quad_perm:[2,3,0,1] row_mask:0xf bank_mask:0xf
	v_cmp_gt_f32_e32 vcc, v26, v27
	s_nop 1
	v_cndmask_b32_e32 v26, v27, v26, vcc
	s_nop 1
	v_mov_b32_dpp v27, v26 row_ror:4 row_mask:0xf bank_mask:0xf
	v_cmp_gt_f32_e32 vcc, v26, v27
	s_nop 1
	v_cndmask_b32_e32 v26, v27, v26, vcc
	s_nop 1
	v_mov_b32_dpp v27, v26 row_ror:8 row_mask:0xf bank_mask:0xf
	v_cmp_gt_f32_e32 vcc, v26, v27
	s_nop 1
	v_cndmask_b32_e32 v26, v27, v26, vcc
	s_nop 1
	v_mov_b32_dpp v27, v26 row_bcast:15 row_mask:0xf bank_mask:0xf
	v_cmp_gt_f32_e32 vcc, v26, v27
	s_nop 1
	v_cndmask_b32_e32 v26, v27, v26, vcc
	s_nop 1
	v_mov_b32_dpp v27, v26 row_bcast:31 row_mask:0xf bank_mask:0xf
	v_cmp_gt_f32_e32 vcc, v26, v27
	s_nop 1
	v_cndmask_b32_e32 v26, v27, v26, vcc
	v_mbcnt_lo_u32_b32 v27, -1, 0
	v_mbcnt_hi_u32_b32 v27, -1, v27
	v_lshl_or_b32 v27, v27, 2, v29
	ds_bpermute_b32 v26, v27, v26
.LBB525_6:
	s_cbranch_execz .LBB525_10
	s_branch .LBB525_12
.LBB525_7:
                                        ; implicit-def: $vgpr26
	s_branch .LBB525_16
.LBB525_8:
                                        ; implicit-def: $vgpr26
	s_branch .LBB525_13
.LBB525_9:
                                        ; implicit-def: $vgpr26
.LBB525_10:
	s_cmp_eq_u32 s6, 32
	s_waitcnt lgkmcnt(0)
	v_mov_b32_e32 v26, v1
	s_cbranch_scc0 .LBB525_12
; %bb.11:
	s_nop 0
	v_mov_b32_dpp v26, v1 quad_perm:[1,0,3,2] row_mask:0xf bank_mask:0xf
	v_cmp_gt_f32_e32 vcc, v1, v26
	v_mov_b32_e32 v29, 0x7c
	s_nop 0
	v_cndmask_b32_e32 v26, v26, v1, vcc
	s_nop 1
	v_mov_b32_dpp v27, v26 quad_perm:[2,3,0,1] row_mask:0xf bank_mask:0xf
	v_cmp_gt_f32_e32 vcc, v26, v27
	s_nop 1
	v_cndmask_b32_e32 v26, v27, v26, vcc
	s_nop 1
	v_mov_b32_dpp v27, v26 row_half_mirror row_mask:0xf bank_mask:0xf
	v_cmp_gt_f32_e32 vcc, v26, v27
	s_nop 1
	v_cndmask_b32_e32 v26, v27, v26, vcc
	s_nop 1
	v_mov_b32_dpp v27, v26 row_mirror row_mask:0xf bank_mask:0xf
	v_cmp_gt_f32_e32 vcc, v26, v27
	s_nop 1
	v_cndmask_b32_e32 v26, v27, v26, vcc
	s_nop 1
	v_mov_b32_dpp v27, v26 row_bcast:15 row_mask:0xa bank_mask:0xf
	v_cmp_gt_f32_e32 vcc, v26, v27
	s_nop 1
	v_cndmask_b32_e32 v26, v27, v26, vcc
	v_mbcnt_lo_u32_b32 v27, -1, 0
	v_mbcnt_hi_u32_b32 v27, -1, v27
	v_lshl_or_b32 v27, v27, 2, v29
	ds_bpermute_b32 v26, v27, v26
.LBB525_12:
	s_cbranch_execnz .LBB525_15
.LBB525_13:
	s_cmp_eq_u32 s6, 16
	s_waitcnt lgkmcnt(0)
	v_mov_b32_e32 v26, v1
	s_cbranch_scc0 .LBB525_15
; %bb.14:
	s_nop 0
	v_mov_b32_dpp v26, v1 quad_perm:[1,0,3,2] row_mask:0xf bank_mask:0xf
	v_cmp_gt_f32_e32 vcc, v1, v26
	s_nop 1
	v_cndmask_b32_e32 v26, v26, v1, vcc
	s_nop 1
	v_mov_b32_dpp v27, v26 quad_perm:[2,3,0,1] row_mask:0xf bank_mask:0xf
	v_cmp_gt_f32_e32 vcc, v26, v27
	s_nop 1
	v_cndmask_b32_e32 v26, v27, v26, vcc
	s_nop 1
	v_mov_b32_dpp v27, v26 row_half_mirror row_mask:0xf bank_mask:0xf
	v_cmp_gt_f32_e32 vcc, v26, v27
	s_nop 1
	v_cndmask_b32_e32 v26, v27, v26, vcc
	s_nop 1
	v_mov_b32_dpp v27, v26 row_mirror row_mask:0xf bank_mask:0xf
	v_cmp_gt_f32_e32 vcc, v26, v27
	s_nop 1
	v_cndmask_b32_e32 v26, v27, v26, vcc
.LBB525_15:
	s_cbranch_execnz .LBB525_29
.LBB525_16:
	s_cmp_lt_i32 s6, 4
	s_cbranch_scc1 .LBB525_20
; %bb.17:
	s_cmp_lt_i32 s6, 8
	s_cbranch_scc1 .LBB525_21
; %bb.18:
	s_cmp_eq_u32 s6, 8
	s_waitcnt lgkmcnt(0)
	v_mov_b32_e32 v26, v1
	s_cbranch_scc0 .LBB525_22
; %bb.19:
	s_nop 0
	v_mov_b32_dpp v26, v1 quad_perm:[1,0,3,2] row_mask:0xf bank_mask:0xf
	v_cmp_gt_f32_e32 vcc, v1, v26
	s_nop 1
	v_cndmask_b32_e32 v26, v26, v1, vcc
	s_nop 1
	v_mov_b32_dpp v27, v26 quad_perm:[2,3,0,1] row_mask:0xf bank_mask:0xf
	v_cmp_gt_f32_e32 vcc, v26, v27
	s_nop 1
	v_cndmask_b32_e32 v26, v27, v26, vcc
	s_nop 1
	v_mov_b32_dpp v27, v26 row_half_mirror row_mask:0xf bank_mask:0xf
	v_cmp_gt_f32_e32 vcc, v26, v27
	s_nop 1
	v_cndmask_b32_e32 v26, v27, v26, vcc
	s_cbranch_execz .LBB525_23
	s_branch .LBB525_25
.LBB525_20:
                                        ; implicit-def: $vgpr26
	s_branch .LBB525_26
.LBB525_21:
                                        ; implicit-def: $vgpr26
	s_branch .LBB525_23
.LBB525_22:
	s_cbranch_execnz .LBB525_25
.LBB525_23:
	s_cmp_eq_u32 s6, 4
	s_waitcnt lgkmcnt(0)
	v_mov_b32_e32 v26, v1
	s_cbranch_scc0 .LBB525_25
; %bb.24:
	s_nop 0
	v_mov_b32_dpp v26, v1 quad_perm:[1,0,3,2] row_mask:0xf bank_mask:0xf
	v_cmp_gt_f32_e32 vcc, v1, v26
	s_nop 1
	v_cndmask_b32_e32 v26, v26, v1, vcc
	s_nop 1
	v_mov_b32_dpp v27, v26 quad_perm:[2,3,0,1] row_mask:0xf bank_mask:0xf
	v_cmp_gt_f32_e32 vcc, v26, v27
	s_nop 1
	v_cndmask_b32_e32 v26, v27, v26, vcc
.LBB525_25:
	s_cbranch_execnz .LBB525_29
.LBB525_26:
	s_cmp_lg_u32 s6, 2
	s_cbranch_scc1 .LBB525_28
; %bb.27:
	s_waitcnt lgkmcnt(0)
	v_mov_b32_dpp v26, v1 quad_perm:[1,0,3,2] row_mask:0xf bank_mask:0xf
	v_cmp_gt_f32_e32 vcc, v1, v26
	s_nop 1
	v_cndmask_b32_e32 v1, v26, v1, vcc
.LBB525_28:
	s_waitcnt lgkmcnt(0)
	v_mov_b32_e32 v26, v1
.LBB525_29:
	s_abs_i32 s10, s6
	v_cvt_f32_u32_e32 v1, s10
	s_sub_i32 s12, 0, s10
	s_waitcnt lgkmcnt(0)
	v_mul_f32_e32 v29, 0x3b888889, v26
	s_ashr_i32 s11, s6, 31
	v_rcp_iflag_f32_e32 v1, v1
	s_nop 0
	v_mul_f32_e32 v1, 0x4f7ffffe, v1
	v_cvt_u32_f32_e32 v1, v1
	v_mul_lo_u32 v26, s12, v1
	v_mul_hi_u32 v26, v1, v26
	v_add_u32_e32 v1, v1, v26
	v_mul_hi_u32 v1, v0, v1
	v_mul_lo_u32 v26, v1, s10
	v_sub_u32_e32 v26, v0, v26
	v_add_u32_e32 v27, 1, v1
	v_cmp_le_u32_e32 vcc, s10, v26
	s_nop 1
	v_cndmask_b32_e32 v1, v1, v27, vcc
	v_subrev_u32_e32 v27, s10, v26
	v_cndmask_b32_e32 v26, v26, v27, vcc
	v_add_u32_e32 v27, 1, v1
	v_cmp_le_u32_e32 vcc, s10, v26
	s_nop 1
	v_cndmask_b32_e32 v1, v1, v27, vcc
	v_xor_b32_e32 v1, s11, v1
	v_subrev_u32_e32 v26, s11, v1
	v_mul_lo_u32 v1, v26, s6
	v_sub_u32_e32 v0, v0, v1
	v_cmp_eq_u32_e32 vcc, 0, v0
	s_and_saveexec_b64 s[10:11], vcc
	s_cbranch_execz .LBB525_35
; %bb.30:
	s_bitcmp0_b32 s7, 0
	s_cbranch_scc0 .LBB525_32
; %bb.31:
	s_abs_i32 s6, s5
	v_cvt_f32_u32_e32 v0, s6
	s_sub_i32 s12, 0, s6
	s_abs_i32 s7, s20
	s_xor_b32 s5, s20, s5
	v_rcp_iflag_f32_e32 v0, v0
	s_ashr_i32 s5, s5, 31
	v_ashrrev_i32_e32 v27, 31, v26
	v_mov_b32_e32 v1, s2
	v_mul_f32_e32 v0, 0x4f7ffffe, v0
	v_cvt_u32_f32_e32 v0, v0
	s_nop 0
	v_readfirstlane_b32 s13, v0
	s_mul_i32 s12, s12, s13
	s_mul_hi_u32 s12, s13, s12
	s_add_i32 s13, s13, s12
	s_mul_hi_u32 s12, s7, s13
	s_mul_i32 s13, s12, s6
	s_sub_i32 s7, s7, s13
	s_add_i32 s14, s12, 1
	s_sub_i32 s13, s7, s6
	s_cmp_ge_u32 s7, s6
	s_cselect_b32 s12, s14, s12
	s_cselect_b32 s7, s13, s7
	s_add_i32 s13, s12, 1
	s_cmp_ge_u32 s7, s6
	s_cselect_b32 s6, s13, s12
	s_xor_b32 s6, s6, s5
	s_sub_i32 s5, s6, s5
	s_ashr_i32 s6, s5, 31
	s_mul_i32 s12, s6, s2
	v_mad_u64_u32 v[0:1], s[6:7], s5, v1, v[26:27]
	v_add_u32_e32 v1, s12, v1
	s_cbranch_execz .LBB525_33
	s_branch .LBB525_34
.LBB525_32:
                                        ; implicit-def: $vgpr0_vgpr1
.LBB525_33:
	s_load_dword s0, s[0:1], 0x28
	v_mov_b32_e32 v1, 0
	s_waitcnt lgkmcnt(0)
	v_mul_lo_u32 v0, s0, v26
	v_lshl_add_u64 v[0:1], v[0:1], 0, s[2:3]
.LBB525_34:
	v_lshl_add_u64 v[0:1], v[0:1], 2, s[22:23]
	global_store_dword v[0:1], v29, off
.LBB525_35:
	s_or_b64 exec, exec, s[10:11]
	s_add_i32 s0, s4, 3
	s_ashr_i32 s1, s0, 31
	s_lshr_b32 s1, s1, 30
	s_add_i32 s0, s0, s1
	s_and_b32 s6, s0, -4
	s_mul_i32 s0, s21, s2
	s_mul_hi_u32 s1, s20, s2
	s_add_i32 s1, s1, s0
	s_mul_i32 s0, s20, s2
	s_add_u32 s4, s8, s0
	;;#ASMSTART
	v_rcp_f32 v0, v29
	;;#ASMEND
	s_addc_u32 s0, s9, s1
	v_mov_b32_e32 v1, v0
	;;#ASMSTART
	v_pk_mul_f32 v[22:23], v[22:23], v[0:1]
	;;#ASMEND
	v_mov_b32_e32 v26, 0xc3700000
	v_mov_b32_e32 v27, 0x43700000
	;;#ASMSTART
	v_med3_f32 v22, v22, v26, v27
v_med3_f32 v23, v23, v26, v27
v_cvt_pk_fp8_f32 v29, v22, v23
	;;#ASMEND
	;;#ASMSTART
	v_pk_mul_f32 v[18:19], v[18:19], v[0:1]
	;;#ASMEND
	s_and_b32 s5, s0, 0xffff
	;;#ASMSTART
	v_med3_f32 v18, v18, v26, v27
v_med3_f32 v19, v19, v26, v27
v_cvt_pk_fp8_f32 v22, v18, v19
	;;#ASMEND
	s_mov_b32 s0, 0x5040100
	v_perm_b32 v19, v22, v29, s0
	s_movk_i32 s2, 0xff
	v_and_b32_e32 v18, 0xffffff00, v22
	v_and_b32_sdwa v22, v19, s2 dst_sel:DWORD dst_unused:UNUSED_PAD src0_sel:WORD_1 src1_sel:DWORD
	s_mov_b32 s1, 0xffff
	v_or_b32_sdwa v18, v22, v18 dst_sel:WORD_1 dst_unused:UNUSED_PAD src0_sel:DWORD src1_sel:DWORD
	;;#ASMSTART
	v_pk_mul_f32 v[22:23], v[24:25], v[0:1]
	;;#ASMEND
	s_mov_b32 s7, 0x20000
	v_and_or_b32 v18, v19, s1, v18
	v_mov_b32_e32 v19, v22
	;;#ASMSTART
	v_med3_f32 v19, v19, v26, v27
v_med3_f32 v23, v23, v26, v27
v_cvt_pk_fp8_f32 v22, v19, v23
	;;#ASMEND
	;;#ASMSTART
	v_pk_mul_f32 v[20:21], v[20:21], v[0:1]
	;;#ASMEND
	s_nop 0
	v_mov_b32_e32 v19, v21
	;;#ASMSTART
	v_med3_f32 v20, v20, v26, v27
v_med3_f32 v19, v19, v26, v27
v_cvt_pk_fp8_f32 v21, v20, v19
	;;#ASMEND
	s_nop 0
	v_lshlrev_b32_e32 v19, 16, v21
	v_and_or_b32 v19, v22, s1, v19
	buffer_store_dwordx2 v[18:19], v28, s[4:7], 0 offen
	;;#ASMSTART
	s_nop 0
	;;#ASMEND
	;;#ASMSTART
	v_pk_mul_f32 v[14:15], v[14:15], v[0:1]
	;;#ASMEND
	s_nop 0
	;;#ASMSTART
	v_med3_f32 v14, v14, v26, v27
v_med3_f32 v15, v15, v26, v27
v_cvt_pk_fp8_f32 v18, v14, v15
	;;#ASMEND
	;;#ASMSTART
	v_pk_mul_f32 v[10:11], v[10:11], v[0:1]
	;;#ASMEND
	s_nop 0
	;;#ASMSTART
	v_med3_f32 v10, v10, v26, v27
v_med3_f32 v11, v11, v26, v27
v_cvt_pk_fp8_f32 v14, v10, v11
	;;#ASMEND
	s_nop 0
	v_perm_b32 v11, v14, v18, s0
	v_and_b32_e32 v10, 0xffffff00, v14
	v_and_b32_sdwa v14, v11, s2 dst_sel:DWORD dst_unused:UNUSED_PAD src0_sel:WORD_1 src1_sel:DWORD
	v_or_b32_sdwa v10, v14, v10 dst_sel:WORD_1 dst_unused:UNUSED_PAD src0_sel:DWORD src1_sel:DWORD
	;;#ASMSTART
	v_pk_mul_f32 v[14:15], v[16:17], v[0:1]
	;;#ASMEND
	s_nop 0
	v_and_or_b32 v10, v11, s1, v10
	v_mov_b32_e32 v11, v14
	;;#ASMSTART
	v_med3_f32 v11, v11, v26, v27
v_med3_f32 v15, v15, v26, v27
v_cvt_pk_fp8_f32 v14, v11, v15
	;;#ASMEND
	;;#ASMSTART
	v_pk_mul_f32 v[12:13], v[12:13], v[0:1]
	;;#ASMEND
	s_nop 0
	v_mov_b32_e32 v11, v13
	;;#ASMSTART
	v_med3_f32 v12, v12, v26, v27
v_med3_f32 v11, v11, v26, v27
v_cvt_pk_fp8_f32 v13, v12, v11
	;;#ASMEND
	s_nop 0
	v_lshlrev_b32_e32 v11, 16, v13
	v_and_or_b32 v11, v14, s1, v11
	buffer_store_dwordx2 v[10:11], v28, s[4:7], 8 offen
	;;#ASMSTART
	s_nop 0
	;;#ASMEND
	;;#ASMSTART
	v_pk_mul_f32 v[6:7], v[6:7], v[0:1]
	;;#ASMEND
	s_nop 0
	;;#ASMSTART
	v_med3_f32 v6, v6, v26, v27
v_med3_f32 v7, v7, v26, v27
v_cvt_pk_fp8_f32 v10, v6, v7
	;;#ASMEND
	;;#ASMSTART
	v_pk_mul_f32 v[2:3], v[2:3], v[0:1]
	;;#ASMEND
	s_nop 0
	;;#ASMSTART
	v_med3_f32 v2, v2, v26, v27
v_med3_f32 v3, v3, v26, v27
v_cvt_pk_fp8_f32 v6, v2, v3
	;;#ASMEND
	s_nop 0
	v_perm_b32 v3, v6, v10, s0
	v_and_b32_e32 v2, 0xffffff00, v6
	v_and_b32_sdwa v6, v3, s2 dst_sel:DWORD dst_unused:UNUSED_PAD src0_sel:WORD_1 src1_sel:DWORD
	v_or_b32_sdwa v2, v6, v2 dst_sel:WORD_1 dst_unused:UNUSED_PAD src0_sel:DWORD src1_sel:DWORD
	;;#ASMSTART
	v_pk_mul_f32 v[6:7], v[8:9], v[0:1]
	;;#ASMEND
	s_nop 0
	v_and_or_b32 v2, v3, s1, v2
	v_mov_b32_e32 v3, v6
	;;#ASMSTART
	v_med3_f32 v3, v3, v26, v27
v_med3_f32 v7, v7, v26, v27
v_cvt_pk_fp8_f32 v6, v3, v7
	;;#ASMEND
	;;#ASMSTART
	v_pk_mul_f32 v[0:1], v[4:5], v[0:1]
	;;#ASMEND
	s_nop 0
	;;#ASMSTART
	v_med3_f32 v0, v0, v26, v27
v_med3_f32 v1, v1, v26, v27
v_cvt_pk_fp8_f32 v3, v0, v1
	;;#ASMEND
	s_nop 0
	v_lshlrev_b32_e32 v0, 16, v3
	v_and_or_b32 v3, v6, s1, v0
	buffer_store_dwordx2 v[2:3], v28, s[4:7], 16 offen
	;;#ASMSTART
	s_nop 0
	;;#ASMEND
.LBB525_36:
	s_endpgm
	.section	.rodata,"a",@progbits
	.p2align	6, 0x0
	.amdhsa_kernel _ZN5aiter24act_and_mul_quant_kernelIDF16_DB8_TnPFfRKT_EXadL_ZNS_11silu_kernelIDF16_EEfS4_EELi256ELi24ELb1EEEvPT0_PS3_Pfiifb
		.amdhsa_group_segment_fixed_size 0
		.amdhsa_private_segment_fixed_size 0
		.amdhsa_kernarg_size 296
		.amdhsa_user_sgpr_count 2
		.amdhsa_user_sgpr_dispatch_ptr 0
		.amdhsa_user_sgpr_queue_ptr 0
		.amdhsa_user_sgpr_kernarg_segment_ptr 1
		.amdhsa_user_sgpr_dispatch_id 0
		.amdhsa_user_sgpr_kernarg_preload_length 0
		.amdhsa_user_sgpr_kernarg_preload_offset 0
		.amdhsa_user_sgpr_private_segment_size 0
		.amdhsa_uses_dynamic_stack 0
		.amdhsa_enable_private_segment 0
		.amdhsa_system_sgpr_workgroup_id_x 1
		.amdhsa_system_sgpr_workgroup_id_y 0
		.amdhsa_system_sgpr_workgroup_id_z 0
		.amdhsa_system_sgpr_workgroup_info 0
		.amdhsa_system_vgpr_workitem_id 0
		.amdhsa_next_free_vgpr 49
		.amdhsa_next_free_sgpr 26
		.amdhsa_accum_offset 52
		.amdhsa_reserve_vcc 1
		.amdhsa_float_round_mode_32 0
		.amdhsa_float_round_mode_16_64 0
		.amdhsa_float_denorm_mode_32 3
		.amdhsa_float_denorm_mode_16_64 3
		.amdhsa_dx10_clamp 1
		.amdhsa_ieee_mode 1
		.amdhsa_fp16_overflow 0
		.amdhsa_tg_split 0
		.amdhsa_exception_fp_ieee_invalid_op 0
		.amdhsa_exception_fp_denorm_src 0
		.amdhsa_exception_fp_ieee_div_zero 0
		.amdhsa_exception_fp_ieee_overflow 0
		.amdhsa_exception_fp_ieee_underflow 0
		.amdhsa_exception_fp_ieee_inexact 0
		.amdhsa_exception_int_div_zero 0
	.end_amdhsa_kernel
	.section	.text._ZN5aiter24act_and_mul_quant_kernelIDF16_DB8_TnPFfRKT_EXadL_ZNS_11silu_kernelIDF16_EEfS4_EELi256ELi24ELb1EEEvPT0_PS3_Pfiifb,"axG",@progbits,_ZN5aiter24act_and_mul_quant_kernelIDF16_DB8_TnPFfRKT_EXadL_ZNS_11silu_kernelIDF16_EEfS4_EELi256ELi24ELb1EEEvPT0_PS3_Pfiifb,comdat
.Lfunc_end525:
	.size	_ZN5aiter24act_and_mul_quant_kernelIDF16_DB8_TnPFfRKT_EXadL_ZNS_11silu_kernelIDF16_EEfS4_EELi256ELi24ELb1EEEvPT0_PS3_Pfiifb, .Lfunc_end525-_ZN5aiter24act_and_mul_quant_kernelIDF16_DB8_TnPFfRKT_EXadL_ZNS_11silu_kernelIDF16_EEfS4_EELi256ELi24ELb1EEEvPT0_PS3_Pfiifb
                                        ; -- End function
	.section	.AMDGPU.csdata,"",@progbits
; Kernel info:
; codeLenInByte = 5332
; NumSgprs: 32
; NumVgprs: 49
; NumAgprs: 0
; TotalNumVgprs: 49
; ScratchSize: 0
; MemoryBound: 0
; FloatMode: 240
; IeeeMode: 1
; LDSByteSize: 0 bytes/workgroup (compile time only)
; SGPRBlocks: 3
; VGPRBlocks: 6
; NumSGPRsForWavesPerEU: 32
; NumVGPRsForWavesPerEU: 49
; AccumOffset: 52
; Occupancy: 8
; WaveLimiterHint : 0
; COMPUTE_PGM_RSRC2:SCRATCH_EN: 0
; COMPUTE_PGM_RSRC2:USER_SGPR: 2
; COMPUTE_PGM_RSRC2:TRAP_HANDLER: 0
; COMPUTE_PGM_RSRC2:TGID_X_EN: 1
; COMPUTE_PGM_RSRC2:TGID_Y_EN: 0
; COMPUTE_PGM_RSRC2:TGID_Z_EN: 0
; COMPUTE_PGM_RSRC2:TIDIG_COMP_CNT: 0
; COMPUTE_PGM_RSRC3_GFX90A:ACCUM_OFFSET: 12
; COMPUTE_PGM_RSRC3_GFX90A:TG_SPLIT: 0
	.section	.text._ZN5aiter24act_and_mul_quant_kernelItDB8_TnPFfRKT_EXadL_ZNS_11silu_kernelItEEfS4_EELi256ELi24ELb1EEEvPT0_PS3_Pfiifb,"axG",@progbits,_ZN5aiter24act_and_mul_quant_kernelItDB8_TnPFfRKT_EXadL_ZNS_11silu_kernelItEEfS4_EELi256ELi24ELb1EEEvPT0_PS3_Pfiifb,comdat
	.protected	_ZN5aiter24act_and_mul_quant_kernelItDB8_TnPFfRKT_EXadL_ZNS_11silu_kernelItEEfS4_EELi256ELi24ELb1EEEvPT0_PS3_Pfiifb ; -- Begin function _ZN5aiter24act_and_mul_quant_kernelItDB8_TnPFfRKT_EXadL_ZNS_11silu_kernelItEEfS4_EELi256ELi24ELb1EEEvPT0_PS3_Pfiifb
	.globl	_ZN5aiter24act_and_mul_quant_kernelItDB8_TnPFfRKT_EXadL_ZNS_11silu_kernelItEEfS4_EELi256ELi24ELb1EEEvPT0_PS3_Pfiifb
	.p2align	8
	.type	_ZN5aiter24act_and_mul_quant_kernelItDB8_TnPFfRKT_EXadL_ZNS_11silu_kernelItEEfS4_EELi256ELi24ELb1EEEvPT0_PS3_Pfiifb,@function
_ZN5aiter24act_and_mul_quant_kernelItDB8_TnPFfRKT_EXadL_ZNS_11silu_kernelItEEfS4_EELi256ELi24ELb1EEEvPT0_PS3_Pfiifb: ; @_ZN5aiter24act_and_mul_quant_kernelItDB8_TnPFfRKT_EXadL_ZNS_11silu_kernelItEEfS4_EELi256ELi24ELb1EEEvPT0_PS3_Pfiifb
; %bb.0:
	s_load_dwordx4 s[4:7], s[0:1], 0x18
	v_mul_u32_u24_e32 v28, 24, v0
	s_waitcnt lgkmcnt(0)
	v_cmp_gt_i32_e32 vcc, s4, v28
	s_and_saveexec_b64 s[8:9], vcc
	s_cbranch_execz .LBB526_36
; %bb.1:
	s_load_dwordx4 s[8:11], s[0:1], 0x0
	s_load_dwordx2 s[22:23], s[0:1], 0x10
	s_ashr_i32 s21, s4, 31
	s_mul_hi_u32 s3, s2, s4
	s_mul_i32 s12, s2, s21
	s_add_i32 s13, s3, s12
	s_mul_i32 s12, s2, s4
	s_lshl_b64 s[12:13], s[12:13], 2
	s_mov_b32 s20, s4
	s_waitcnt lgkmcnt(0)
	s_add_u32 s12, s10, s12
	s_addc_u32 s3, s11, s13
	s_lshl_b64 s[10:11], s[20:21], 1
	s_add_u32 s16, s12, s10
	s_addc_u32 s10, s3, s11
	s_lshl_b32 s11, s4, 1
	s_add_i32 s11, s11, 2
	s_and_b32 s18, s11, -4
	s_and_b32 s17, s10, 0xffff
	s_mov_b32 s19, 0x20000
	v_mul_u32_u24_e32 v26, 48, v0
	buffer_load_dwordx4 v[18:21], v26, s[16:19], 0 offen sc0 nt
	s_and_b32 s13, s3, 0xffff
	s_mov_b32 s14, s18
	s_mov_b32 s15, s19
	buffer_load_dwordx4 v[22:25], v26, s[12:15], 0 offen sc0 nt
	buffer_load_dwordx4 v[10:13], v26, s[16:19], 16 offen sc0 nt
	;; [unrolled: 1-line block ×5, first 2 shown]
	v_max_f32_e64 v29, s6, s6
	s_mov_b32 s24, 0xbfb8aa3b
	s_mov_b32 s10, 0x42ce8ed0
	;; [unrolled: 1-line block ×3, first 2 shown]
	v_mov_b32_e32 v1, 0x7f800000
	s_mov_b32 s3, 0
	s_waitcnt vmcnt(5)
	v_lshlrev_b32_e32 v26, 16, v18
	v_and_b32_e32 v18, 0xffff0000, v18
	v_med3_f32 v27, -s6, v18, s6
	v_lshlrev_b32_e32 v36, 16, v19
	s_waitcnt vmcnt(4)
	v_and_b32_e32 v18, 0xffff0000, v22
	v_lshlrev_b32_e32 v22, 16, v22
	v_max_f32_e32 v22, v22, v22
	v_and_b32_e32 v30, 0xffff0000, v23
	v_lshlrev_b32_e32 v23, 16, v23
	v_max_f32_e32 v18, v18, v18
	v_min_f32_e32 v22, v22, v29
	v_max_f32_e32 v23, v23, v23
	v_max_f32_e32 v30, v30, v30
	v_min_f32_e32 v18, v18, v29
	v_and_b32_e32 v22, 0xffff0000, v22
	v_min_f32_e32 v32, v23, v29
	v_min_f32_e32 v30, v30, v29
	v_and_b32_e32 v23, 0xffff0000, v18
	v_mul_f32_e32 v18, 0xbfb8aa3b, v22
	v_and_b32_e32 v31, 0xffff0000, v30
	v_and_b32_e32 v30, 0xffff0000, v32
	v_mul_f32_e32 v32, 0xbfb8aa3b, v23
	v_fma_f32 v35, v22, s24, -v18
	v_rndne_f32_e32 v37, v18
	v_mul_f32_e32 v33, 0xbfb8aa3b, v30
	v_fma_f32 v38, v23, s24, -v32
	v_rndne_f32_e32 v39, v32
	v_fmac_f32_e32 v35, 0xb2a5705f, v22
	v_sub_f32_e32 v18, v18, v37
	v_mul_f32_e32 v34, 0xbfb8aa3b, v31
	v_fma_f32 v40, v30, s24, -v33
	v_rndne_f32_e32 v41, v33
	v_fmac_f32_e32 v38, 0xb2a5705f, v23
	v_sub_f32_e32 v32, v32, v39
	v_add_f32_e32 v18, v18, v35
	v_fma_f32 v42, v31, s24, -v34
	v_rndne_f32_e32 v43, v34
	v_cvt_i32_f32_e32 v37, v37
	v_fmac_f32_e32 v40, 0xb2a5705f, v30
	v_sub_f32_e32 v33, v33, v41
	v_add_f32_e32 v32, v32, v38
	v_exp_f32_e32 v18, v18
	v_cvt_i32_f32_e32 v39, v39
	v_fmac_f32_e32 v42, 0xb2a5705f, v31
	v_sub_f32_e32 v34, v34, v43
	v_add_f32_e32 v33, v33, v40
	v_exp_f32_e32 v32, v32
	v_cvt_i32_f32_e32 v41, v41
	v_add_f32_e32 v34, v34, v42
	v_exp_f32_e32 v33, v33
	v_cvt_i32_f32_e32 v43, v43
	v_exp_f32_e32 v34, v34
	v_ldexp_f32 v18, v18, v37
	v_cmp_nlt_f32_e32 vcc, s10, v22
	v_ldexp_f32 v32, v32, v39
	v_ldexp_f32 v33, v33, v41
	v_cndmask_b32_e32 v18, 0, v18, vcc
	v_cmp_nlt_f32_e32 vcc, s10, v23
	v_ldexp_f32 v34, v34, v43
	v_med3_f32 v26, -s6, v26, s6
	v_cndmask_b32_e32 v32, 0, v32, vcc
	v_cmp_nlt_f32_e32 vcc, s10, v30
	v_and_b32_e32 v19, 0xffff0000, v19
	v_med3_f32 v19, -s6, v19, s6
	v_cndmask_b32_e32 v35, 0, v33, vcc
	v_cmp_nlt_f32_e32 vcc, s10, v31
	s_nop 1
	v_cndmask_b32_e32 v37, 0, v34, vcc
	v_cmp_ngt_f32_e32 vcc, s11, v22
	s_nop 1
	v_cndmask_b32_e32 v18, v1, v18, vcc
	v_cmp_ngt_f32_e32 vcc, s11, v23
	v_add_f32_e32 v18, 1.0, v18
	s_nop 0
	v_cndmask_b32_e32 v32, v1, v32, vcc
	v_cmp_ngt_f32_e32 vcc, s11, v30
	v_add_f32_e32 v33, 1.0, v32
	v_rcp_f32_e32 v32, v18
	v_cndmask_b32_e32 v18, v1, v35, vcc
	v_add_f32_e32 v18, 1.0, v18
	v_cmp_ngt_f32_e32 vcc, s11, v31
	v_rcp_f32_e32 v34, v18
	v_rcp_f32_e32 v33, v33
	v_cndmask_b32_e32 v18, v1, v37, vcc
	v_add_f32_e32 v18, 1.0, v18
	v_rcp_f32_e32 v35, v18
	v_pk_mul_f32 v[22:23], v[32:33], v[22:23]
	v_med3_f32 v18, -s6, v36, s6
	;;#ASMSTART
	v_pk_mul_f32 v[22:23], v[22:23], v[26:27]
	;;#ASMEND
	v_pk_mul_f32 v[26:27], v[34:35], v[30:31]
	v_lshlrev_b32_e32 v32, 16, v20
	;;#ASMSTART
	v_pk_mul_f32 v[18:19], v[26:27], v[18:19]
	;;#ASMEND
	v_and_b32_e32 v27, 0xffff0000, v24
	v_lshlrev_b32_e32 v24, 16, v24
	v_max_f32_e32 v24, v24, v24
	v_min_f32_e32 v24, v24, v29
	v_and_b32_e32 v26, 0xffff0000, v24
	v_mul_f32_e32 v24, 0xbfb8aa3b, v26
	v_fma_f32 v30, v26, s24, -v24
	v_rndne_f32_e32 v31, v24
	v_fmac_f32_e32 v30, 0xb2a5705f, v26
	v_sub_f32_e32 v24, v24, v31
	v_add_f32_e32 v24, v24, v30
	v_exp_f32_e32 v24, v24
	v_cvt_i32_f32_e32 v30, v31
	v_max_f32_e32 v27, v27, v27
	v_min_f32_e32 v27, v27, v29
	v_and_b32_e32 v27, 0xffff0000, v27
	v_ldexp_f32 v24, v24, v30
	v_mul_f32_e32 v30, 0xbfb8aa3b, v27
	v_fma_f32 v31, v27, s24, -v30
	v_rndne_f32_e32 v33, v30
	v_fmac_f32_e32 v31, 0xb2a5705f, v27
	v_sub_f32_e32 v30, v30, v33
	v_add_f32_e32 v30, v30, v31
	v_cmp_nlt_f32_e32 vcc, s10, v26
	v_exp_f32_e32 v31, v30
	v_cvt_i32_f32_e32 v33, v33
	v_cndmask_b32_e32 v24, 0, v24, vcc
	v_cmp_ngt_f32_e32 vcc, s11, v26
	v_and_b32_e32 v20, 0xffff0000, v20
	v_med3_f32 v32, -s6, v32, s6
	v_cndmask_b32_e32 v24, v1, v24, vcc
	v_add_f32_e32 v24, 1.0, v24
	v_rcp_f32_e32 v30, v24
	v_ldexp_f32 v24, v31, v33
	v_cmp_nlt_f32_e32 vcc, s10, v27
	v_med3_f32 v33, -s6, v20, s6
	v_lshlrev_b32_e32 v20, 16, v21
	v_cndmask_b32_e32 v24, 0, v24, vcc
	v_cmp_ngt_f32_e32 vcc, s11, v27
	v_and_b32_e32 v21, 0xffff0000, v21
	v_med3_f32 v20, -s6, v20, s6
	v_cndmask_b32_e32 v24, v1, v24, vcc
	v_add_f32_e32 v24, 1.0, v24
	v_rcp_f32_e32 v31, v24
	v_lshlrev_b32_e32 v24, 16, v25
	v_max_f32_e32 v24, v24, v24
	v_min_f32_e32 v24, v24, v29
	v_and_b32_e32 v24, 0xffff0000, v24
	v_pk_mul_f32 v[26:27], v[30:31], v[26:27]
	v_and_b32_e32 v30, 0xffff0000, v25
	v_mul_f32_e32 v25, 0xbfb8aa3b, v24
	;;#ASMSTART
	v_pk_mul_f32 v[26:27], v[26:27], v[32:33]
	;;#ASMEND
	v_fma_f32 v31, v24, s24, -v25
	v_rndne_f32_e32 v32, v25
	v_fmac_f32_e32 v31, 0xb2a5705f, v24
	v_sub_f32_e32 v25, v25, v32
	v_add_f32_e32 v25, v25, v31
	v_exp_f32_e32 v31, v25
	v_cvt_i32_f32_e32 v32, v32
	v_max_f32_e32 v25, v30, v30
	v_min_f32_e32 v25, v25, v29
	v_and_b32_e32 v25, 0xffff0000, v25
	v_ldexp_f32 v30, v31, v32
	v_mul_f32_e32 v31, 0xbfb8aa3b, v25
	v_fma_f32 v32, v25, s24, -v31
	v_rndne_f32_e32 v33, v31
	v_fmac_f32_e32 v32, 0xb2a5705f, v25
	v_sub_f32_e32 v31, v31, v33
	v_add_f32_e32 v31, v31, v32
	v_exp_f32_e32 v31, v31
	v_cvt_i32_f32_e32 v32, v33
	v_cmp_nlt_f32_e32 vcc, s10, v24
	v_med3_f32 v21, -s6, v21, s6
	v_ldexp_f32 v31, v31, v32
	v_cndmask_b32_e32 v30, 0, v30, vcc
	v_cmp_ngt_f32_e32 vcc, s11, v24
	s_waitcnt vmcnt(3)
	v_lshlrev_b32_e32 v32, 16, v10
	v_and_b32_e32 v10, 0xffff0000, v10
	v_cndmask_b32_e32 v30, v1, v30, vcc
	v_cmp_nlt_f32_e32 vcc, s10, v25
	v_add_f32_e32 v30, 1.0, v30
	v_rcp_f32_e32 v30, v30
	v_cndmask_b32_e32 v31, 0, v31, vcc
	v_cmp_ngt_f32_e32 vcc, s11, v25
	v_med3_f32 v32, -s6, v32, s6
	s_nop 0
	v_cndmask_b32_e32 v31, v1, v31, vcc
	v_add_f32_e32 v31, 1.0, v31
	v_rcp_f32_e32 v31, v31
	s_nop 0
	v_pk_mul_f32 v[24:25], v[30:31], v[24:25]
	s_nop 0
	;;#ASMSTART
	v_pk_mul_f32 v[20:21], v[24:25], v[20:21]
	;;#ASMEND
	s_waitcnt vmcnt(2)
	v_and_b32_e32 v25, 0xffff0000, v14
	v_lshlrev_b32_e32 v14, 16, v14
	v_max_f32_e32 v14, v14, v14
	v_min_f32_e32 v14, v14, v29
	v_and_b32_e32 v24, 0xffff0000, v14
	v_mul_f32_e32 v14, 0xbfb8aa3b, v24
	v_fma_f32 v30, v24, s24, -v14
	v_rndne_f32_e32 v31, v14
	v_fmac_f32_e32 v30, 0xb2a5705f, v24
	v_sub_f32_e32 v14, v14, v31
	v_add_f32_e32 v14, v14, v30
	v_exp_f32_e32 v14, v14
	v_cvt_i32_f32_e32 v30, v31
	v_max_f32_e32 v25, v25, v25
	v_min_f32_e32 v25, v25, v29
	v_and_b32_e32 v25, 0xffff0000, v25
	v_ldexp_f32 v14, v14, v30
	v_mul_f32_e32 v30, 0xbfb8aa3b, v25
	v_fma_f32 v31, v25, s24, -v30
	v_rndne_f32_e32 v33, v30
	v_fmac_f32_e32 v31, 0xb2a5705f, v25
	v_sub_f32_e32 v30, v30, v33
	v_add_f32_e32 v30, v30, v31
	v_cmp_nlt_f32_e32 vcc, s10, v24
	v_exp_f32_e32 v31, v30
	v_cvt_i32_f32_e32 v33, v33
	v_cndmask_b32_e32 v14, 0, v14, vcc
	v_cmp_ngt_f32_e32 vcc, s11, v24
	s_nop 1
	v_cndmask_b32_e32 v14, v1, v14, vcc
	v_add_f32_e32 v14, 1.0, v14
	v_rcp_f32_e32 v30, v14
	v_ldexp_f32 v14, v31, v33
	v_cmp_nlt_f32_e32 vcc, s10, v25
	v_med3_f32 v33, -s6, v10, s6
	v_lshlrev_b32_e32 v10, 16, v11
	v_cndmask_b32_e32 v14, 0, v14, vcc
	v_cmp_ngt_f32_e32 vcc, s11, v25
	v_and_b32_e32 v11, 0xffff0000, v11
	v_med3_f32 v10, -s6, v10, s6
	v_cndmask_b32_e32 v14, v1, v14, vcc
	v_add_f32_e32 v14, 1.0, v14
	v_rcp_f32_e32 v31, v14
	v_lshlrev_b32_e32 v14, 16, v15
	v_max_f32_e32 v14, v14, v14
	v_min_f32_e32 v14, v14, v29
	v_and_b32_e32 v14, 0xffff0000, v14
	v_pk_mul_f32 v[24:25], v[30:31], v[24:25]
	v_and_b32_e32 v30, 0xffff0000, v15
	v_mul_f32_e32 v15, 0xbfb8aa3b, v14
	;;#ASMSTART
	v_pk_mul_f32 v[24:25], v[24:25], v[32:33]
	;;#ASMEND
	v_fma_f32 v31, v14, s24, -v15
	v_rndne_f32_e32 v32, v15
	v_fmac_f32_e32 v31, 0xb2a5705f, v14
	v_sub_f32_e32 v15, v15, v32
	v_add_f32_e32 v15, v15, v31
	v_exp_f32_e32 v31, v15
	v_cvt_i32_f32_e32 v32, v32
	v_max_f32_e32 v15, v30, v30
	v_min_f32_e32 v15, v15, v29
	v_and_b32_e32 v15, 0xffff0000, v15
	v_ldexp_f32 v30, v31, v32
	v_mul_f32_e32 v31, 0xbfb8aa3b, v15
	v_fma_f32 v32, v15, s24, -v31
	v_rndne_f32_e32 v33, v31
	v_fmac_f32_e32 v32, 0xb2a5705f, v15
	v_sub_f32_e32 v31, v31, v33
	v_add_f32_e32 v31, v31, v32
	v_exp_f32_e32 v31, v31
	v_cvt_i32_f32_e32 v32, v33
	v_cmp_nlt_f32_e32 vcc, s10, v14
	v_med3_f32 v11, -s6, v11, s6
	v_ldexp_f32 v31, v31, v32
	v_cndmask_b32_e32 v30, 0, v30, vcc
	v_cmp_ngt_f32_e32 vcc, s11, v14
	v_lshlrev_b32_e32 v32, 16, v12
	v_and_b32_e32 v12, 0xffff0000, v12
	v_cndmask_b32_e32 v30, v1, v30, vcc
	v_cmp_nlt_f32_e32 vcc, s10, v15
	v_add_f32_e32 v30, 1.0, v30
	v_rcp_f32_e32 v30, v30
	v_cndmask_b32_e32 v31, 0, v31, vcc
	v_cmp_ngt_f32_e32 vcc, s11, v15
	v_med3_f32 v32, -s6, v32, s6
	s_nop 0
	v_cndmask_b32_e32 v31, v1, v31, vcc
	v_add_f32_e32 v31, 1.0, v31
	v_rcp_f32_e32 v31, v31
	s_nop 0
	v_pk_mul_f32 v[14:15], v[30:31], v[14:15]
	s_nop 0
	;;#ASMSTART
	v_pk_mul_f32 v[10:11], v[14:15], v[10:11]
	;;#ASMEND
	v_lshlrev_b32_e32 v14, 16, v16
	v_max_f32_e32 v14, v14, v14
	v_min_f32_e32 v14, v14, v29
	v_and_b32_e32 v14, 0xffff0000, v14
	v_and_b32_e32 v15, 0xffff0000, v16
	v_mul_f32_e32 v16, 0xbfb8aa3b, v14
	v_fma_f32 v30, v14, s24, -v16
	v_rndne_f32_e32 v31, v16
	v_fmac_f32_e32 v30, 0xb2a5705f, v14
	v_sub_f32_e32 v16, v16, v31
	v_add_f32_e32 v16, v16, v30
	v_exp_f32_e32 v16, v16
	v_cvt_i32_f32_e32 v30, v31
	v_max_f32_e32 v15, v15, v15
	v_min_f32_e32 v15, v15, v29
	v_and_b32_e32 v15, 0xffff0000, v15
	v_ldexp_f32 v16, v16, v30
	v_mul_f32_e32 v30, 0xbfb8aa3b, v15
	v_fma_f32 v31, v15, s24, -v30
	v_rndne_f32_e32 v33, v30
	v_fmac_f32_e32 v31, 0xb2a5705f, v15
	v_sub_f32_e32 v30, v30, v33
	v_add_f32_e32 v30, v30, v31
	v_cmp_nlt_f32_e32 vcc, s10, v14
	v_exp_f32_e32 v31, v30
	v_cvt_i32_f32_e32 v33, v33
	v_cndmask_b32_e32 v16, 0, v16, vcc
	v_cmp_ngt_f32_e32 vcc, s11, v14
	s_nop 1
	v_cndmask_b32_e32 v16, v1, v16, vcc
	v_add_f32_e32 v16, 1.0, v16
	v_rcp_f32_e32 v30, v16
	v_ldexp_f32 v16, v31, v33
	v_cmp_nlt_f32_e32 vcc, s10, v15
	v_med3_f32 v33, -s6, v12, s6
	v_lshlrev_b32_e32 v12, 16, v13
	v_cndmask_b32_e32 v16, 0, v16, vcc
	v_cmp_ngt_f32_e32 vcc, s11, v15
	v_and_b32_e32 v13, 0xffff0000, v13
	v_med3_f32 v12, -s6, v12, s6
	v_cndmask_b32_e32 v16, v1, v16, vcc
	v_add_f32_e32 v16, 1.0, v16
	v_rcp_f32_e32 v31, v16
	v_lshlrev_b32_e32 v16, 16, v17
	v_max_f32_e32 v16, v16, v16
	v_min_f32_e32 v16, v16, v29
	v_and_b32_e32 v16, 0xffff0000, v16
	v_pk_mul_f32 v[14:15], v[30:31], v[14:15]
	v_and_b32_e32 v30, 0xffff0000, v17
	v_mul_f32_e32 v17, 0xbfb8aa3b, v16
	;;#ASMSTART
	v_pk_mul_f32 v[14:15], v[14:15], v[32:33]
	;;#ASMEND
	v_fma_f32 v31, v16, s24, -v17
	v_rndne_f32_e32 v32, v17
	v_fmac_f32_e32 v31, 0xb2a5705f, v16
	v_sub_f32_e32 v17, v17, v32
	v_add_f32_e32 v17, v17, v31
	v_exp_f32_e32 v31, v17
	v_cvt_i32_f32_e32 v32, v32
	v_max_f32_e32 v17, v30, v30
	v_min_f32_e32 v17, v17, v29
	v_and_b32_e32 v17, 0xffff0000, v17
	v_ldexp_f32 v30, v31, v32
	v_mul_f32_e32 v31, 0xbfb8aa3b, v17
	v_fma_f32 v32, v17, s24, -v31
	v_rndne_f32_e32 v33, v31
	v_fmac_f32_e32 v32, 0xb2a5705f, v17
	v_sub_f32_e32 v31, v31, v33
	v_add_f32_e32 v31, v31, v32
	v_exp_f32_e32 v31, v31
	v_cvt_i32_f32_e32 v32, v33
	v_cmp_nlt_f32_e32 vcc, s10, v16
	v_med3_f32 v13, -s6, v13, s6
	v_ldexp_f32 v31, v31, v32
	v_cndmask_b32_e32 v30, 0, v30, vcc
	v_cmp_ngt_f32_e32 vcc, s11, v16
	s_waitcnt vmcnt(0)
	v_lshlrev_b32_e32 v32, 16, v2
	v_and_b32_e32 v2, 0xffff0000, v2
	v_cndmask_b32_e32 v30, v1, v30, vcc
	v_cmp_nlt_f32_e32 vcc, s10, v17
	v_add_f32_e32 v30, 1.0, v30
	v_rcp_f32_e32 v30, v30
	v_cndmask_b32_e32 v31, 0, v31, vcc
	v_cmp_ngt_f32_e32 vcc, s11, v17
	v_med3_f32 v32, -s6, v32, s6
	s_nop 0
	v_cndmask_b32_e32 v31, v1, v31, vcc
	v_add_f32_e32 v31, 1.0, v31
	v_rcp_f32_e32 v31, v31
	s_nop 0
	v_pk_mul_f32 v[16:17], v[30:31], v[16:17]
	s_nop 0
	;;#ASMSTART
	v_pk_mul_f32 v[12:13], v[16:17], v[12:13]
	;;#ASMEND
	v_and_b32_e32 v17, 0xffff0000, v6
	v_lshlrev_b32_e32 v6, 16, v6
	v_max_f32_e32 v6, v6, v6
	v_min_f32_e32 v6, v6, v29
	v_and_b32_e32 v16, 0xffff0000, v6
	v_mul_f32_e32 v6, 0xbfb8aa3b, v16
	v_fma_f32 v30, v16, s24, -v6
	v_rndne_f32_e32 v31, v6
	v_fmac_f32_e32 v30, 0xb2a5705f, v16
	v_sub_f32_e32 v6, v6, v31
	v_add_f32_e32 v6, v6, v30
	v_exp_f32_e32 v6, v6
	v_cvt_i32_f32_e32 v30, v31
	v_max_f32_e32 v17, v17, v17
	v_min_f32_e32 v17, v17, v29
	v_and_b32_e32 v17, 0xffff0000, v17
	v_ldexp_f32 v6, v6, v30
	v_mul_f32_e32 v30, 0xbfb8aa3b, v17
	v_fma_f32 v31, v17, s24, -v30
	v_rndne_f32_e32 v33, v30
	v_fmac_f32_e32 v31, 0xb2a5705f, v17
	v_sub_f32_e32 v30, v30, v33
	v_add_f32_e32 v30, v30, v31
	v_cmp_nlt_f32_e32 vcc, s10, v16
	v_exp_f32_e32 v31, v30
	v_cvt_i32_f32_e32 v33, v33
	v_cndmask_b32_e32 v6, 0, v6, vcc
	v_cmp_ngt_f32_e32 vcc, s11, v16
	s_nop 1
	v_cndmask_b32_e32 v6, v1, v6, vcc
	v_add_f32_e32 v6, 1.0, v6
	v_rcp_f32_e32 v30, v6
	v_ldexp_f32 v6, v31, v33
	v_cmp_nlt_f32_e32 vcc, s10, v17
	v_med3_f32 v33, -s6, v2, s6
	v_lshlrev_b32_e32 v2, 16, v3
	v_cndmask_b32_e32 v6, 0, v6, vcc
	v_cmp_ngt_f32_e32 vcc, s11, v17
	v_and_b32_e32 v3, 0xffff0000, v3
	v_med3_f32 v2, -s6, v2, s6
	v_cndmask_b32_e32 v6, v1, v6, vcc
	v_add_f32_e32 v6, 1.0, v6
	v_rcp_f32_e32 v31, v6
	v_lshlrev_b32_e32 v6, 16, v7
	v_max_f32_e32 v6, v6, v6
	v_min_f32_e32 v6, v6, v29
	v_and_b32_e32 v6, 0xffff0000, v6
	v_pk_mul_f32 v[16:17], v[30:31], v[16:17]
	v_and_b32_e32 v30, 0xffff0000, v7
	v_mul_f32_e32 v7, 0xbfb8aa3b, v6
	;;#ASMSTART
	v_pk_mul_f32 v[16:17], v[16:17], v[32:33]
	;;#ASMEND
	v_fma_f32 v31, v6, s24, -v7
	v_rndne_f32_e32 v32, v7
	v_fmac_f32_e32 v31, 0xb2a5705f, v6
	v_sub_f32_e32 v7, v7, v32
	v_add_f32_e32 v7, v7, v31
	v_exp_f32_e32 v31, v7
	v_cvt_i32_f32_e32 v32, v32
	v_max_f32_e32 v7, v30, v30
	v_min_f32_e32 v7, v7, v29
	v_and_b32_e32 v7, 0xffff0000, v7
	v_ldexp_f32 v30, v31, v32
	v_mul_f32_e32 v31, 0xbfb8aa3b, v7
	v_fma_f32 v32, v7, s24, -v31
	v_rndne_f32_e32 v33, v31
	v_fmac_f32_e32 v32, 0xb2a5705f, v7
	v_sub_f32_e32 v31, v31, v33
	v_add_f32_e32 v31, v31, v32
	v_exp_f32_e32 v31, v31
	v_cvt_i32_f32_e32 v32, v33
	v_cmp_nlt_f32_e32 vcc, s10, v6
	v_med3_f32 v3, -s6, v3, s6
	v_ldexp_f32 v31, v31, v32
	v_cndmask_b32_e32 v30, 0, v30, vcc
	v_cmp_ngt_f32_e32 vcc, s11, v6
	v_lshlrev_b32_e32 v32, 16, v4
	v_and_b32_e32 v4, 0xffff0000, v4
	v_cndmask_b32_e32 v30, v1, v30, vcc
	v_cmp_nlt_f32_e32 vcc, s10, v7
	v_add_f32_e32 v30, 1.0, v30
	v_rcp_f32_e32 v30, v30
	v_cndmask_b32_e32 v31, 0, v31, vcc
	v_cmp_ngt_f32_e32 vcc, s11, v7
	v_med3_f32 v32, -s6, v32, s6
	s_nop 0
	v_cndmask_b32_e32 v31, v1, v31, vcc
	v_add_f32_e32 v31, 1.0, v31
	v_rcp_f32_e32 v31, v31
	s_nop 0
	v_pk_mul_f32 v[6:7], v[30:31], v[6:7]
	s_nop 0
	;;#ASMSTART
	v_pk_mul_f32 v[2:3], v[6:7], v[2:3]
	;;#ASMEND
	v_lshlrev_b32_e32 v6, 16, v8
	v_max_f32_e32 v6, v6, v6
	v_min_f32_e32 v6, v6, v29
	v_and_b32_e32 v6, 0xffff0000, v6
	v_and_b32_e32 v7, 0xffff0000, v8
	v_mul_f32_e32 v8, 0xbfb8aa3b, v6
	v_fma_f32 v30, v6, s24, -v8
	v_rndne_f32_e32 v31, v8
	v_fmac_f32_e32 v30, 0xb2a5705f, v6
	v_sub_f32_e32 v8, v8, v31
	v_add_f32_e32 v8, v8, v30
	v_exp_f32_e32 v8, v8
	v_cvt_i32_f32_e32 v30, v31
	v_max_f32_e32 v7, v7, v7
	v_min_f32_e32 v7, v7, v29
	v_and_b32_e32 v7, 0xffff0000, v7
	v_ldexp_f32 v8, v8, v30
	v_mul_f32_e32 v30, 0xbfb8aa3b, v7
	v_fma_f32 v31, v7, s24, -v30
	v_rndne_f32_e32 v33, v30
	v_fmac_f32_e32 v31, 0xb2a5705f, v7
	v_sub_f32_e32 v30, v30, v33
	v_add_f32_e32 v30, v30, v31
	v_cmp_nlt_f32_e32 vcc, s10, v6
	v_exp_f32_e32 v31, v30
	v_cvt_i32_f32_e32 v33, v33
	v_cndmask_b32_e32 v8, 0, v8, vcc
	v_cmp_ngt_f32_e32 vcc, s11, v6
	s_nop 1
	v_cndmask_b32_e32 v8, v1, v8, vcc
	v_add_f32_e32 v8, 1.0, v8
	v_rcp_f32_e32 v30, v8
	v_ldexp_f32 v8, v31, v33
	v_cmp_nlt_f32_e32 vcc, s10, v7
	v_med3_f32 v33, -s6, v4, s6
	v_lshlrev_b32_e32 v4, 16, v5
	v_cndmask_b32_e32 v8, 0, v8, vcc
	v_cmp_ngt_f32_e32 vcc, s11, v7
	v_med3_f32 v4, -s6, v4, s6
	s_nop 0
	v_cndmask_b32_e32 v8, v1, v8, vcc
	v_add_f32_e32 v8, 1.0, v8
	v_rcp_f32_e32 v31, v8
	v_lshlrev_b32_e32 v8, 16, v9
	v_max_f32_e32 v8, v8, v8
	v_min_f32_e32 v8, v8, v29
	v_and_b32_e32 v8, 0xffff0000, v8
	v_pk_mul_f32 v[6:7], v[30:31], v[6:7]
	v_and_b32_e32 v30, 0xffff0000, v9
	v_mul_f32_e32 v9, 0xbfb8aa3b, v8
	;;#ASMSTART
	v_pk_mul_f32 v[6:7], v[6:7], v[32:33]
	;;#ASMEND
	v_fma_f32 v31, v8, s24, -v9
	v_rndne_f32_e32 v32, v9
	v_fmac_f32_e32 v31, 0xb2a5705f, v8
	v_sub_f32_e32 v9, v9, v32
	v_add_f32_e32 v9, v9, v31
	v_exp_f32_e32 v31, v9
	v_cvt_i32_f32_e32 v32, v32
	v_max_f32_e32 v9, v30, v30
	v_min_f32_e32 v9, v9, v29
	v_and_b32_e32 v9, 0xffff0000, v9
	v_mul_f32_e32 v30, 0xbfb8aa3b, v9
	v_ldexp_f32 v29, v31, v32
	v_fma_f32 v31, v9, s24, -v30
	v_rndne_f32_e32 v32, v30
	v_fmac_f32_e32 v31, 0xb2a5705f, v9
	v_sub_f32_e32 v30, v30, v32
	v_add_f32_e32 v30, v30, v31
	v_cmp_nlt_f32_e32 vcc, s10, v8
	v_exp_f32_e32 v31, v30
	v_cvt_i32_f32_e32 v32, v32
	v_cndmask_b32_e32 v29, 0, v29, vcc
	v_cmp_ngt_f32_e32 vcc, s11, v8
	s_nop 1
	v_cndmask_b32_e32 v29, v1, v29, vcc
	v_add_f32_e32 v29, 1.0, v29
	v_rcp_f32_e32 v30, v29
	v_ldexp_f32 v29, v31, v32
	v_cmp_nlt_f32_e32 vcc, s10, v9
	s_nop 1
	v_cndmask_b32_e32 v29, 0, v29, vcc
	v_cmp_ngt_f32_e32 vcc, s11, v9
	s_nop 1
	v_cndmask_b32_e32 v1, v1, v29, vcc
	v_add_f32_e32 v1, 1.0, v1
	v_rcp_f32_e32 v31, v1
	v_and_b32_e32 v1, 0xffff0000, v5
	v_med3_f32 v5, -s6, v1, s6
	v_and_b32_e32 v1, 0x7fffffff, v22
	v_pk_mul_f32 v[8:9], v[30:31], v[8:9]
	s_mul_hi_i32 s6, s5, 0x2aaaaaab
	;;#ASMSTART
	v_pk_mul_f32 v[4:5], v[8:9], v[4:5]
	;;#ASMEND
	v_and_b32_e32 v8, 0x7fffffff, v23
	v_mov_b32_e32 v9, 0x2edbe6ff
	;;#ASMSTART
	v_max3_f32 v1, v9, v1, v8

	;;#ASMEND
	v_and_b32_e32 v8, 0x7fffffff, v18
	v_and_b32_e32 v9, 0x7fffffff, v19
	;;#ASMSTART
	v_max3_f32 v1, v1, v8, v9

	;;#ASMEND
	v_and_b32_e32 v8, 0x7fffffff, v26
	v_and_b32_e32 v9, 0x7fffffff, v27
	;;#ASMSTART
	v_max3_f32 v1, v1, v8, v9

	;;#ASMEND
	v_and_b32_e32 v8, 0x7fffffff, v20
	v_and_b32_e32 v9, 0x7fffffff, v21
	;;#ASMSTART
	v_max3_f32 v1, v1, v8, v9

	;;#ASMEND
	v_and_b32_e32 v8, 0x7fffffff, v24
	v_and_b32_e32 v9, 0x7fffffff, v25
	;;#ASMSTART
	v_max3_f32 v1, v1, v8, v9

	;;#ASMEND
	v_and_b32_e32 v8, 0x7fffffff, v10
	v_and_b32_e32 v9, 0x7fffffff, v11
	;;#ASMSTART
	v_max3_f32 v1, v1, v8, v9

	;;#ASMEND
	v_and_b32_e32 v8, 0x7fffffff, v14
	v_and_b32_e32 v9, 0x7fffffff, v15
	;;#ASMSTART
	v_max3_f32 v1, v1, v8, v9

	;;#ASMEND
	v_and_b32_e32 v8, 0x7fffffff, v12
	v_and_b32_e32 v9, 0x7fffffff, v13
	;;#ASMSTART
	v_max3_f32 v1, v1, v8, v9

	;;#ASMEND
	v_and_b32_e32 v8, 0x7fffffff, v16
	v_and_b32_e32 v9, 0x7fffffff, v17
	;;#ASMSTART
	v_max3_f32 v1, v1, v8, v9

	;;#ASMEND
	s_lshr_b32 s10, s6, 31
	s_ashr_i32 s6, s6, 2
	v_and_b32_e32 v8, 0x7fffffff, v2
	v_and_b32_e32 v9, 0x7fffffff, v3
	;;#ASMSTART
	v_max3_f32 v1, v1, v8, v9

	;;#ASMEND
	s_add_i32 s6, s6, s10
	v_and_b32_e32 v8, 0x7fffffff, v6
	v_and_b32_e32 v9, 0x7fffffff, v7
	;;#ASMSTART
	v_max3_f32 v1, v1, v8, v9

	;;#ASMEND
	s_cmp_lt_i32 s6, 16
	v_and_b32_e32 v8, 0x7fffffff, v4
	v_and_b32_e32 v9, 0x7fffffff, v5
	;;#ASMSTART
	v_max3_f32 v1, v1, v8, v9

	;;#ASMEND
	s_cbranch_scc1 .LBB526_7
; %bb.2:
	s_cmp_lt_i32 s6, 32
	s_cbranch_scc1 .LBB526_8
; %bb.3:
	s_cmp_lt_i32 s6, 64
	s_cbranch_scc1 .LBB526_9
; %bb.4:
	s_cmp_eq_u32 s6, 64
	v_mov_b32_e32 v8, v1
	s_cbranch_scc0 .LBB526_6
; %bb.5:
	s_nop 0
	v_mov_b32_dpp v8, v1 quad_perm:[1,0,3,2] row_mask:0xf bank_mask:0xf
	v_cmp_gt_f32_e32 vcc, v1, v8
	v_bfrev_b32_e32 v29, 0.5
	s_nop 0
	v_cndmask_b32_e32 v8, v8, v1, vcc
	s_nop 1
	v_mov_b32_dpp v9, v8 quad_perm:[2,3,0,1] row_mask:0xf bank_mask:0xf
	v_cmp_gt_f32_e32 vcc, v8, v9
	s_nop 1
	v_cndmask_b32_e32 v8, v9, v8, vcc
	s_nop 1
	v_mov_b32_dpp v9, v8 row_ror:4 row_mask:0xf bank_mask:0xf
	v_cmp_gt_f32_e32 vcc, v8, v9
	s_nop 1
	v_cndmask_b32_e32 v8, v9, v8, vcc
	s_nop 1
	v_mov_b32_dpp v9, v8 row_ror:8 row_mask:0xf bank_mask:0xf
	v_cmp_gt_f32_e32 vcc, v8, v9
	s_nop 1
	v_cndmask_b32_e32 v8, v9, v8, vcc
	s_nop 1
	v_mov_b32_dpp v9, v8 row_bcast:15 row_mask:0xf bank_mask:0xf
	v_cmp_gt_f32_e32 vcc, v8, v9
	s_nop 1
	v_cndmask_b32_e32 v8, v9, v8, vcc
	s_nop 1
	v_mov_b32_dpp v9, v8 row_bcast:31 row_mask:0xf bank_mask:0xf
	v_cmp_gt_f32_e32 vcc, v8, v9
	s_nop 1
	v_cndmask_b32_e32 v8, v9, v8, vcc
	v_mbcnt_lo_u32_b32 v9, -1, 0
	v_mbcnt_hi_u32_b32 v9, -1, v9
	v_lshl_or_b32 v9, v9, 2, v29
	ds_bpermute_b32 v8, v9, v8
.LBB526_6:
	s_cbranch_execz .LBB526_10
	s_branch .LBB526_12
.LBB526_7:
                                        ; implicit-def: $vgpr8
	s_branch .LBB526_16
.LBB526_8:
                                        ; implicit-def: $vgpr8
	s_branch .LBB526_13
.LBB526_9:
                                        ; implicit-def: $vgpr8
.LBB526_10:
	s_cmp_eq_u32 s6, 32
	s_waitcnt lgkmcnt(0)
	v_mov_b32_e32 v8, v1
	s_cbranch_scc0 .LBB526_12
; %bb.11:
	s_nop 0
	v_mov_b32_dpp v8, v1 quad_perm:[1,0,3,2] row_mask:0xf bank_mask:0xf
	v_cmp_gt_f32_e32 vcc, v1, v8
	v_mov_b32_e32 v29, 0x7c
	s_nop 0
	v_cndmask_b32_e32 v8, v8, v1, vcc
	s_nop 1
	v_mov_b32_dpp v9, v8 quad_perm:[2,3,0,1] row_mask:0xf bank_mask:0xf
	v_cmp_gt_f32_e32 vcc, v8, v9
	s_nop 1
	v_cndmask_b32_e32 v8, v9, v8, vcc
	s_nop 1
	v_mov_b32_dpp v9, v8 row_half_mirror row_mask:0xf bank_mask:0xf
	v_cmp_gt_f32_e32 vcc, v8, v9
	s_nop 1
	v_cndmask_b32_e32 v8, v9, v8, vcc
	s_nop 1
	v_mov_b32_dpp v9, v8 row_mirror row_mask:0xf bank_mask:0xf
	v_cmp_gt_f32_e32 vcc, v8, v9
	s_nop 1
	v_cndmask_b32_e32 v8, v9, v8, vcc
	s_nop 1
	v_mov_b32_dpp v9, v8 row_bcast:15 row_mask:0xa bank_mask:0xf
	v_cmp_gt_f32_e32 vcc, v8, v9
	s_nop 1
	v_cndmask_b32_e32 v8, v9, v8, vcc
	v_mbcnt_lo_u32_b32 v9, -1, 0
	v_mbcnt_hi_u32_b32 v9, -1, v9
	v_lshl_or_b32 v9, v9, 2, v29
	ds_bpermute_b32 v8, v9, v8
.LBB526_12:
	s_cbranch_execnz .LBB526_15
.LBB526_13:
	s_cmp_eq_u32 s6, 16
	s_waitcnt lgkmcnt(0)
	v_mov_b32_e32 v8, v1
	s_cbranch_scc0 .LBB526_15
; %bb.14:
	s_nop 0
	v_mov_b32_dpp v8, v1 quad_perm:[1,0,3,2] row_mask:0xf bank_mask:0xf
	v_cmp_gt_f32_e32 vcc, v1, v8
	s_nop 1
	v_cndmask_b32_e32 v8, v8, v1, vcc
	s_nop 1
	v_mov_b32_dpp v9, v8 quad_perm:[2,3,0,1] row_mask:0xf bank_mask:0xf
	v_cmp_gt_f32_e32 vcc, v8, v9
	s_nop 1
	v_cndmask_b32_e32 v8, v9, v8, vcc
	s_nop 1
	v_mov_b32_dpp v9, v8 row_half_mirror row_mask:0xf bank_mask:0xf
	v_cmp_gt_f32_e32 vcc, v8, v9
	s_nop 1
	v_cndmask_b32_e32 v8, v9, v8, vcc
	s_nop 1
	v_mov_b32_dpp v9, v8 row_mirror row_mask:0xf bank_mask:0xf
	v_cmp_gt_f32_e32 vcc, v8, v9
	s_nop 1
	v_cndmask_b32_e32 v8, v9, v8, vcc
.LBB526_15:
	s_cbranch_execnz .LBB526_29
.LBB526_16:
	s_cmp_lt_i32 s6, 4
	s_cbranch_scc1 .LBB526_20
; %bb.17:
	s_cmp_lt_i32 s6, 8
	s_cbranch_scc1 .LBB526_21
; %bb.18:
	s_cmp_eq_u32 s6, 8
	s_waitcnt lgkmcnt(0)
	v_mov_b32_e32 v8, v1
	s_cbranch_scc0 .LBB526_22
; %bb.19:
	s_nop 0
	v_mov_b32_dpp v8, v1 quad_perm:[1,0,3,2] row_mask:0xf bank_mask:0xf
	v_cmp_gt_f32_e32 vcc, v1, v8
	s_nop 1
	v_cndmask_b32_e32 v8, v8, v1, vcc
	s_nop 1
	v_mov_b32_dpp v9, v8 quad_perm:[2,3,0,1] row_mask:0xf bank_mask:0xf
	v_cmp_gt_f32_e32 vcc, v8, v9
	s_nop 1
	v_cndmask_b32_e32 v8, v9, v8, vcc
	s_nop 1
	v_mov_b32_dpp v9, v8 row_half_mirror row_mask:0xf bank_mask:0xf
	v_cmp_gt_f32_e32 vcc, v8, v9
	s_nop 1
	v_cndmask_b32_e32 v8, v9, v8, vcc
	s_cbranch_execz .LBB526_23
	s_branch .LBB526_25
.LBB526_20:
                                        ; implicit-def: $vgpr8
	s_branch .LBB526_26
.LBB526_21:
                                        ; implicit-def: $vgpr8
	s_branch .LBB526_23
.LBB526_22:
	s_cbranch_execnz .LBB526_25
.LBB526_23:
	s_cmp_eq_u32 s6, 4
	s_waitcnt lgkmcnt(0)
	v_mov_b32_e32 v8, v1
	s_cbranch_scc0 .LBB526_25
; %bb.24:
	s_nop 0
	v_mov_b32_dpp v8, v1 quad_perm:[1,0,3,2] row_mask:0xf bank_mask:0xf
	v_cmp_gt_f32_e32 vcc, v1, v8
	s_nop 1
	v_cndmask_b32_e32 v8, v8, v1, vcc
	s_nop 1
	v_mov_b32_dpp v9, v8 quad_perm:[2,3,0,1] row_mask:0xf bank_mask:0xf
	v_cmp_gt_f32_e32 vcc, v8, v9
	s_nop 1
	v_cndmask_b32_e32 v8, v9, v8, vcc
.LBB526_25:
	s_cbranch_execnz .LBB526_29
.LBB526_26:
	s_cmp_lg_u32 s6, 2
	s_cbranch_scc1 .LBB526_28
; %bb.27:
	s_waitcnt lgkmcnt(0)
	v_mov_b32_dpp v8, v1 quad_perm:[1,0,3,2] row_mask:0xf bank_mask:0xf
	v_cmp_gt_f32_e32 vcc, v1, v8
	s_nop 1
	v_cndmask_b32_e32 v1, v8, v1, vcc
.LBB526_28:
	s_waitcnt lgkmcnt(0)
	v_mov_b32_e32 v8, v1
.LBB526_29:
	s_abs_i32 s10, s6
	v_cvt_f32_u32_e32 v1, s10
	s_sub_i32 s12, 0, s10
	s_waitcnt lgkmcnt(0)
	v_mul_f32_e32 v29, 0x3b888889, v8
	s_ashr_i32 s11, s6, 31
	v_rcp_iflag_f32_e32 v1, v1
	s_nop 0
	v_mul_f32_e32 v1, 0x4f7ffffe, v1
	v_cvt_u32_f32_e32 v1, v1
	v_mul_lo_u32 v8, s12, v1
	v_mul_hi_u32 v8, v1, v8
	v_add_u32_e32 v1, v1, v8
	v_mul_hi_u32 v1, v0, v1
	v_mul_lo_u32 v8, v1, s10
	v_sub_u32_e32 v8, v0, v8
	v_add_u32_e32 v9, 1, v1
	v_cmp_le_u32_e32 vcc, s10, v8
	s_nop 1
	v_cndmask_b32_e32 v1, v1, v9, vcc
	v_subrev_u32_e32 v9, s10, v8
	v_cndmask_b32_e32 v8, v8, v9, vcc
	v_add_u32_e32 v9, 1, v1
	v_cmp_le_u32_e32 vcc, s10, v8
	s_nop 1
	v_cndmask_b32_e32 v1, v1, v9, vcc
	v_xor_b32_e32 v1, s11, v1
	v_subrev_u32_e32 v8, s11, v1
	v_mul_lo_u32 v1, v8, s6
	v_sub_u32_e32 v0, v0, v1
	v_cmp_eq_u32_e32 vcc, 0, v0
	s_and_saveexec_b64 s[10:11], vcc
	s_cbranch_execz .LBB526_35
; %bb.30:
	s_bitcmp0_b32 s7, 0
	s_cbranch_scc0 .LBB526_32
; %bb.31:
	s_abs_i32 s6, s5
	v_cvt_f32_u32_e32 v0, s6
	s_sub_i32 s12, 0, s6
	s_abs_i32 s7, s20
	s_xor_b32 s5, s20, s5
	v_rcp_iflag_f32_e32 v0, v0
	s_ashr_i32 s5, s5, 31
	v_ashrrev_i32_e32 v9, 31, v8
	v_mov_b32_e32 v1, s2
	v_mul_f32_e32 v0, 0x4f7ffffe, v0
	v_cvt_u32_f32_e32 v0, v0
	s_nop 0
	v_readfirstlane_b32 s13, v0
	s_mul_i32 s12, s12, s13
	s_mul_hi_u32 s12, s13, s12
	s_add_i32 s13, s13, s12
	s_mul_hi_u32 s12, s7, s13
	s_mul_i32 s13, s12, s6
	s_sub_i32 s7, s7, s13
	s_add_i32 s14, s12, 1
	s_sub_i32 s13, s7, s6
	s_cmp_ge_u32 s7, s6
	s_cselect_b32 s12, s14, s12
	s_cselect_b32 s7, s13, s7
	s_add_i32 s13, s12, 1
	s_cmp_ge_u32 s7, s6
	s_cselect_b32 s6, s13, s12
	s_xor_b32 s6, s6, s5
	s_sub_i32 s5, s6, s5
	s_ashr_i32 s6, s5, 31
	s_mul_i32 s12, s6, s2
	v_mad_u64_u32 v[0:1], s[6:7], s5, v1, v[8:9]
	v_add_u32_e32 v1, s12, v1
	s_cbranch_execz .LBB526_33
	s_branch .LBB526_34
.LBB526_32:
                                        ; implicit-def: $vgpr0_vgpr1
.LBB526_33:
	s_load_dword s0, s[0:1], 0x28
	v_mov_b32_e32 v1, 0
	s_waitcnt lgkmcnt(0)
	v_mul_lo_u32 v0, s0, v8
	v_lshl_add_u64 v[0:1], v[0:1], 0, s[2:3]
.LBB526_34:
	v_lshl_add_u64 v[0:1], v[0:1], 2, s[22:23]
	global_store_dword v[0:1], v29, off
.LBB526_35:
	s_or_b64 exec, exec, s[10:11]
	s_add_i32 s0, s4, 3
	s_ashr_i32 s1, s0, 31
	s_lshr_b32 s1, s1, 30
	s_add_i32 s0, s0, s1
	s_and_b32 s6, s0, -4
	s_mul_i32 s0, s21, s2
	s_mul_hi_u32 s1, s20, s2
	s_add_i32 s1, s1, s0
	s_mul_i32 s0, s20, s2
	;;#ASMSTART
	v_rcp_f32 v0, v29
	;;#ASMEND
	s_add_u32 s4, s8, s0
	v_mov_b32_e32 v1, v0
	;;#ASMSTART
	v_pk_mul_f32 v[8:9], v[22:23], v[0:1]
	;;#ASMEND
	v_mov_b32_e32 v22, 0xc3700000
	v_mov_b32_e32 v23, 0x43700000
	;;#ASMSTART
	v_med3_f32 v8, v8, v22, v23
v_med3_f32 v9, v9, v22, v23
v_cvt_pk_fp8_f32 v29, v8, v9
	;;#ASMEND
	s_addc_u32 s0, s9, s1
	;;#ASMSTART
	v_pk_mul_f32 v[8:9], v[18:19], v[0:1]
	;;#ASMEND
	s_and_b32 s5, s0, 0xffff
	;;#ASMSTART
	v_med3_f32 v8, v8, v22, v23
v_med3_f32 v9, v9, v22, v23
v_cvt_pk_fp8_f32 v18, v8, v9
	;;#ASMEND
	s_mov_b32 s0, 0x5040100
	v_perm_b32 v9, v18, v29, s0
	s_movk_i32 s2, 0xff
	v_and_b32_e32 v8, 0xffffff00, v18
	v_and_b32_sdwa v18, v9, s2 dst_sel:DWORD dst_unused:UNUSED_PAD src0_sel:WORD_1 src1_sel:DWORD
	s_mov_b32 s1, 0xffff
	v_or_b32_sdwa v8, v18, v8 dst_sel:WORD_1 dst_unused:UNUSED_PAD src0_sel:DWORD src1_sel:DWORD
	;;#ASMSTART
	v_pk_mul_f32 v[18:19], v[26:27], v[0:1]
	;;#ASMEND
	s_mov_b32 s7, 0x20000
	v_and_or_b32 v8, v9, s1, v8
	v_mov_b32_e32 v9, v19
	;;#ASMSTART
	v_med3_f32 v18, v18, v22, v23
v_med3_f32 v9, v9, v22, v23
v_cvt_pk_fp8_f32 v26, v18, v9
	;;#ASMEND
	s_nop 0
	;;#ASMSTART
	v_pk_mul_f32 v[18:19], v[20:21], v[0:1]
	;;#ASMEND
	s_nop 0
	v_mov_b32_e32 v9, v18
	;;#ASMSTART
	v_med3_f32 v9, v9, v22, v23
v_med3_f32 v19, v19, v22, v23
v_cvt_pk_fp8_f32 v18, v9, v19
	;;#ASMEND
	s_nop 0
	v_lshlrev_b32_e32 v9, 16, v18
	v_and_or_b32 v9, v26, s1, v9
	buffer_store_dwordx2 v[8:9], v28, s[4:7], 0 offen
	;;#ASMSTART
	s_nop 0
	;;#ASMEND
	;;#ASMSTART
	v_pk_mul_f32 v[8:9], v[24:25], v[0:1]
	;;#ASMEND
	s_nop 0
	;;#ASMSTART
	v_med3_f32 v8, v8, v22, v23
v_med3_f32 v9, v9, v22, v23
v_cvt_pk_fp8_f32 v18, v8, v9
	;;#ASMEND
	s_nop 0
	;;#ASMSTART
	v_pk_mul_f32 v[8:9], v[10:11], v[0:1]
	;;#ASMEND
	s_nop 0
	;;#ASMSTART
	v_med3_f32 v8, v8, v22, v23
v_med3_f32 v9, v9, v22, v23
v_cvt_pk_fp8_f32 v10, v8, v9
	;;#ASMEND
	s_nop 0
	v_perm_b32 v9, v10, v18, s0
	v_and_b32_e32 v8, 0xffffff00, v10
	v_and_b32_sdwa v10, v9, s2 dst_sel:DWORD dst_unused:UNUSED_PAD src0_sel:WORD_1 src1_sel:DWORD
	v_or_b32_sdwa v8, v10, v8 dst_sel:WORD_1 dst_unused:UNUSED_PAD src0_sel:DWORD src1_sel:DWORD
	;;#ASMSTART
	v_pk_mul_f32 v[10:11], v[14:15], v[0:1]
	;;#ASMEND
	s_nop 0
	v_and_or_b32 v8, v9, s1, v8
	v_mov_b32_e32 v9, v11
	;;#ASMSTART
	v_med3_f32 v10, v10, v22, v23
v_med3_f32 v9, v9, v22, v23
v_cvt_pk_fp8_f32 v14, v10, v9
	;;#ASMEND
	s_nop 0
	;;#ASMSTART
	v_pk_mul_f32 v[10:11], v[12:13], v[0:1]
	;;#ASMEND
	s_nop 0
	v_mov_b32_e32 v9, v10
	;;#ASMSTART
	v_med3_f32 v9, v9, v22, v23
v_med3_f32 v11, v11, v22, v23
v_cvt_pk_fp8_f32 v10, v9, v11
	;;#ASMEND
	s_nop 0
	v_lshlrev_b32_e32 v9, 16, v10
	v_and_or_b32 v9, v14, s1, v9
	buffer_store_dwordx2 v[8:9], v28, s[4:7], 8 offen
	;;#ASMSTART
	s_nop 0
	;;#ASMEND
	;;#ASMSTART
	v_pk_mul_f32 v[8:9], v[16:17], v[0:1]
	;;#ASMEND
	s_nop 0
	;;#ASMSTART
	v_med3_f32 v8, v8, v22, v23
v_med3_f32 v9, v9, v22, v23
v_cvt_pk_fp8_f32 v10, v8, v9
	;;#ASMEND
	;;#ASMSTART
	v_pk_mul_f32 v[2:3], v[2:3], v[0:1]
	;;#ASMEND
	s_nop 0
	;;#ASMSTART
	v_med3_f32 v2, v2, v22, v23
v_med3_f32 v3, v3, v22, v23
v_cvt_pk_fp8_f32 v8, v2, v3
	;;#ASMEND
	;;#ASMSTART
	v_pk_mul_f32 v[6:7], v[6:7], v[0:1]
	;;#ASMEND
	s_nop 0
	v_perm_b32 v3, v8, v10, s0
	v_and_b32_e32 v2, 0xffffff00, v8
	v_and_b32_sdwa v8, v3, s2 dst_sel:DWORD dst_unused:UNUSED_PAD src0_sel:WORD_1 src1_sel:DWORD
	v_or_b32_sdwa v2, v8, v2 dst_sel:WORD_1 dst_unused:UNUSED_PAD src0_sel:DWORD src1_sel:DWORD
	s_nop 0
	v_and_or_b32 v2, v3, s1, v2
	v_mov_b32_e32 v3, v7
	;;#ASMSTART
	v_med3_f32 v6, v6, v22, v23
v_med3_f32 v3, v3, v22, v23
v_cvt_pk_fp8_f32 v7, v6, v3
	;;#ASMEND
	;;#ASMSTART
	v_pk_mul_f32 v[0:1], v[4:5], v[0:1]
	;;#ASMEND
	s_nop 0
	;;#ASMSTART
	v_med3_f32 v0, v0, v22, v23
v_med3_f32 v1, v1, v22, v23
v_cvt_pk_fp8_f32 v3, v0, v1
	;;#ASMEND
	s_nop 0
	v_lshlrev_b32_e32 v0, 16, v3
	v_and_or_b32 v3, v7, s1, v0
	buffer_store_dwordx2 v[2:3], v28, s[4:7], 16 offen
	;;#ASMSTART
	s_nop 0
	;;#ASMEND
.LBB526_36:
	s_endpgm
	.section	.rodata,"a",@progbits
	.p2align	6, 0x0
	.amdhsa_kernel _ZN5aiter24act_and_mul_quant_kernelItDB8_TnPFfRKT_EXadL_ZNS_11silu_kernelItEEfS4_EELi256ELi24ELb1EEEvPT0_PS3_Pfiifb
		.amdhsa_group_segment_fixed_size 0
		.amdhsa_private_segment_fixed_size 0
		.amdhsa_kernarg_size 296
		.amdhsa_user_sgpr_count 2
		.amdhsa_user_sgpr_dispatch_ptr 0
		.amdhsa_user_sgpr_queue_ptr 0
		.amdhsa_user_sgpr_kernarg_segment_ptr 1
		.amdhsa_user_sgpr_dispatch_id 0
		.amdhsa_user_sgpr_kernarg_preload_length 0
		.amdhsa_user_sgpr_kernarg_preload_offset 0
		.amdhsa_user_sgpr_private_segment_size 0
		.amdhsa_uses_dynamic_stack 0
		.amdhsa_enable_private_segment 0
		.amdhsa_system_sgpr_workgroup_id_x 1
		.amdhsa_system_sgpr_workgroup_id_y 0
		.amdhsa_system_sgpr_workgroup_id_z 0
		.amdhsa_system_sgpr_workgroup_info 0
		.amdhsa_system_vgpr_workitem_id 0
		.amdhsa_next_free_vgpr 44
		.amdhsa_next_free_sgpr 25
		.amdhsa_accum_offset 44
		.amdhsa_reserve_vcc 1
		.amdhsa_float_round_mode_32 0
		.amdhsa_float_round_mode_16_64 0
		.amdhsa_float_denorm_mode_32 3
		.amdhsa_float_denorm_mode_16_64 3
		.amdhsa_dx10_clamp 1
		.amdhsa_ieee_mode 1
		.amdhsa_fp16_overflow 0
		.amdhsa_tg_split 0
		.amdhsa_exception_fp_ieee_invalid_op 0
		.amdhsa_exception_fp_denorm_src 0
		.amdhsa_exception_fp_ieee_div_zero 0
		.amdhsa_exception_fp_ieee_overflow 0
		.amdhsa_exception_fp_ieee_underflow 0
		.amdhsa_exception_fp_ieee_inexact 0
		.amdhsa_exception_int_div_zero 0
	.end_amdhsa_kernel
	.section	.text._ZN5aiter24act_and_mul_quant_kernelItDB8_TnPFfRKT_EXadL_ZNS_11silu_kernelItEEfS4_EELi256ELi24ELb1EEEvPT0_PS3_Pfiifb,"axG",@progbits,_ZN5aiter24act_and_mul_quant_kernelItDB8_TnPFfRKT_EXadL_ZNS_11silu_kernelItEEfS4_EELi256ELi24ELb1EEEvPT0_PS3_Pfiifb,comdat
.Lfunc_end526:
	.size	_ZN5aiter24act_and_mul_quant_kernelItDB8_TnPFfRKT_EXadL_ZNS_11silu_kernelItEEfS4_EELi256ELi24ELb1EEEvPT0_PS3_Pfiifb, .Lfunc_end526-_ZN5aiter24act_and_mul_quant_kernelItDB8_TnPFfRKT_EXadL_ZNS_11silu_kernelItEEfS4_EELi256ELi24ELb1EEEvPT0_PS3_Pfiifb
                                        ; -- End function
	.section	.AMDGPU.csdata,"",@progbits
; Kernel info:
; codeLenInByte = 5460
; NumSgprs: 31
; NumVgprs: 44
; NumAgprs: 0
; TotalNumVgprs: 44
; ScratchSize: 0
; MemoryBound: 0
; FloatMode: 240
; IeeeMode: 1
; LDSByteSize: 0 bytes/workgroup (compile time only)
; SGPRBlocks: 3
; VGPRBlocks: 5
; NumSGPRsForWavesPerEU: 31
; NumVGPRsForWavesPerEU: 44
; AccumOffset: 44
; Occupancy: 8
; WaveLimiterHint : 0
; COMPUTE_PGM_RSRC2:SCRATCH_EN: 0
; COMPUTE_PGM_RSRC2:USER_SGPR: 2
; COMPUTE_PGM_RSRC2:TRAP_HANDLER: 0
; COMPUTE_PGM_RSRC2:TGID_X_EN: 1
; COMPUTE_PGM_RSRC2:TGID_Y_EN: 0
; COMPUTE_PGM_RSRC2:TGID_Z_EN: 0
; COMPUTE_PGM_RSRC2:TIDIG_COMP_CNT: 0
; COMPUTE_PGM_RSRC3_GFX90A:ACCUM_OFFSET: 10
; COMPUTE_PGM_RSRC3_GFX90A:TG_SPLIT: 0
	.section	.text._ZN5aiter24act_and_mul_quant_kernelIDF16_DB8_TnPFfRKT_EXadL_ZNS_11silu_kernelIDF16_EEfS4_EELi256ELi32ELb1EEEvPT0_PS3_Pfiifb,"axG",@progbits,_ZN5aiter24act_and_mul_quant_kernelIDF16_DB8_TnPFfRKT_EXadL_ZNS_11silu_kernelIDF16_EEfS4_EELi256ELi32ELb1EEEvPT0_PS3_Pfiifb,comdat
	.protected	_ZN5aiter24act_and_mul_quant_kernelIDF16_DB8_TnPFfRKT_EXadL_ZNS_11silu_kernelIDF16_EEfS4_EELi256ELi32ELb1EEEvPT0_PS3_Pfiifb ; -- Begin function _ZN5aiter24act_and_mul_quant_kernelIDF16_DB8_TnPFfRKT_EXadL_ZNS_11silu_kernelIDF16_EEfS4_EELi256ELi32ELb1EEEvPT0_PS3_Pfiifb
	.globl	_ZN5aiter24act_and_mul_quant_kernelIDF16_DB8_TnPFfRKT_EXadL_ZNS_11silu_kernelIDF16_EEfS4_EELi256ELi32ELb1EEEvPT0_PS3_Pfiifb
	.p2align	8
	.type	_ZN5aiter24act_and_mul_quant_kernelIDF16_DB8_TnPFfRKT_EXadL_ZNS_11silu_kernelIDF16_EEfS4_EELi256ELi32ELb1EEEvPT0_PS3_Pfiifb,@function
_ZN5aiter24act_and_mul_quant_kernelIDF16_DB8_TnPFfRKT_EXadL_ZNS_11silu_kernelIDF16_EEfS4_EELi256ELi32ELb1EEEvPT0_PS3_Pfiifb: ; @_ZN5aiter24act_and_mul_quant_kernelIDF16_DB8_TnPFfRKT_EXadL_ZNS_11silu_kernelIDF16_EEfS4_EELi256ELi32ELb1EEEvPT0_PS3_Pfiifb
; %bb.0:
	s_load_dwordx4 s[4:7], s[0:1], 0x18
	v_lshlrev_b32_e32 v36, 5, v0
	s_waitcnt lgkmcnt(0)
	v_cmp_gt_i32_e32 vcc, s4, v36
	s_and_saveexec_b64 s[8:9], vcc
	s_cbranch_execz .LBB527_36
; %bb.1:
	s_load_dwordx4 s[8:11], s[0:1], 0x0
	s_load_dwordx2 s[22:23], s[0:1], 0x10
	s_ashr_i32 s21, s4, 31
	s_mul_hi_u32 s3, s2, s4
	s_mul_i32 s12, s2, s21
	s_add_i32 s13, s3, s12
	s_mul_i32 s12, s2, s4
	s_lshl_b64 s[12:13], s[12:13], 2
	s_mov_b32 s20, s4
	s_waitcnt lgkmcnt(0)
	s_add_u32 s12, s10, s12
	s_addc_u32 s3, s11, s13
	s_lshl_b64 s[10:11], s[20:21], 1
	s_add_u32 s16, s12, s10
	s_addc_u32 s10, s3, s11
	s_lshl_b32 s11, s4, 1
	s_add_i32 s11, s11, 2
	s_and_b32 s18, s11, -4
	s_mov_b32 s19, 0x20000
	s_and_b32 s17, s10, 0xffff
	v_lshlrev_b32_e32 v35, 6, v0
	s_and_b32 s13, s3, 0xffff
	s_mov_b32 s14, s18
	s_mov_b32 s15, s19
	buffer_load_dwordx4 v[26:29], v35, s[16:19], 0 offen sc0 nt
	buffer_load_dwordx4 v[30:33], v35, s[12:15], 0 offen sc0 nt
	;; [unrolled: 1-line block ×8, first 2 shown]
	v_max_f32_e64 v34, s6, s6
	s_mov_b32 s11, 0xbfb8aa3b
	s_mov_b32 s25, 0xb2a5705f
	;; [unrolled: 1-line block ×4, first 2 shown]
	v_mov_b32_e32 v1, 0x7f800000
	s_mov_b32 s3, 0
	s_waitcnt vmcnt(7)
	v_cvt_f32_f16_e32 v35, v26
	s_waitcnt vmcnt(6)
	v_cvt_f32_f16_e32 v39, v30
	v_cvt_f32_f16_sdwa v37, v26 dst_sel:DWORD dst_unused:UNUSED_PAD src0_sel:WORD_1
	v_cvt_f32_f16_sdwa v40, v30 dst_sel:DWORD dst_unused:UNUSED_PAD src0_sel:WORD_1
	;; [unrolled: 1-line block ×3, first 2 shown]
	v_cvt_f32_f16_e32 v31, v31
	v_cvt_f32_f16_e32 v38, v27
	v_med3_f32 v26, -s6, v35, s6
	v_min_f32_e32 v35, v39, v34
	v_cvt_f32_f16_sdwa v44, v27 dst_sel:DWORD dst_unused:UNUSED_PAD src0_sel:WORD_1
	v_med3_f32 v27, -s6, v37, s6
	v_min_f32_e32 v37, v40, v34
	v_cvt_f16_f32_e32 v35, v35
	v_min_f32_e32 v31, v31, v34
	v_cvt_f16_f32_e32 v37, v37
	v_med3_f32 v30, -s6, v38, s6
	v_min_f32_e32 v38, v41, v34
	v_cvt_f16_f32_e32 v31, v31
	v_cvt_f16_f32_e32 v40, v38
	v_cvt_f32_f16_e32 v41, v35
	v_cvt_f32_f16_e32 v43, v37
	;; [unrolled: 1-line block ×4, first 2 shown]
	v_mul_f32_e32 v42, 0xbfb8aa3b, v41
	v_mul_f32_e32 v46, 0xbfb8aa3b, v43
	v_fma_mix_f32 v49, v35, s11, -v42 op_sel_hi:[1,0,0]
	v_rndne_f32_e32 v50, v42
	v_mul_f32_e32 v47, 0xbfb8aa3b, v38
	v_fma_mix_f32 v51, v37, s11, -v46 op_sel_hi:[1,0,0]
	v_rndne_f32_e32 v52, v46
	v_fma_mix_f32 v35, v35, s25, v49 op_sel_hi:[1,0,0]
	v_sub_f32_e32 v42, v42, v50
	v_mul_f32_e32 v48, 0xbfb8aa3b, v39
	v_fma_mix_f32 v53, v31, s11, -v47 op_sel_hi:[1,0,0]
	v_rndne_f32_e32 v54, v47
	v_fma_mix_f32 v37, v37, s25, v51 op_sel_hi:[1,0,0]
	v_sub_f32_e32 v46, v46, v52
	v_add_f32_e32 v35, v42, v35
	v_fma_mix_f32 v55, v40, s11, -v48 op_sel_hi:[1,0,0]
	v_rndne_f32_e32 v49, v48
	v_cvt_i32_f32_e32 v50, v50
	v_fma_mix_f32 v31, v31, s25, v53 op_sel_hi:[1,0,0]
	v_sub_f32_e32 v47, v47, v54
	v_add_f32_e32 v37, v46, v37
	v_exp_f32_e32 v35, v35
	v_cvt_i32_f32_e32 v51, v52
	v_fma_mix_f32 v40, v40, s25, v55 op_sel_hi:[1,0,0]
	v_sub_f32_e32 v48, v48, v49
	v_add_f32_e32 v31, v47, v31
	v_exp_f32_e32 v37, v37
	v_cvt_i32_f32_e32 v52, v54
	v_add_f32_e32 v40, v48, v40
	v_exp_f32_e32 v31, v31
	v_cvt_i32_f32_e32 v49, v49
	v_exp_f32_e32 v40, v40
	v_ldexp_f32 v35, v35, v50
	v_cmp_nlt_f32_e32 vcc, s10, v41
	v_ldexp_f32 v37, v37, v51
	v_ldexp_f32 v31, v31, v52
	v_cndmask_b32_e32 v35, 0, v35, vcc
	v_cmp_nlt_f32_e32 vcc, s10, v43
	v_ldexp_f32 v40, v40, v49
	v_cvt_f32_f16_e32 v45, v32
	v_cndmask_b32_e32 v37, 0, v37, vcc
	v_cmp_nlt_f32_e32 vcc, s10, v38
	v_cvt_f32_f16_sdwa v32, v32 dst_sel:DWORD dst_unused:UNUSED_PAD src0_sel:WORD_1
	v_min_f32_e32 v32, v32, v34
	v_cndmask_b32_e32 v31, 0, v31, vcc
	v_cmp_nlt_f32_e32 vcc, s10, v39
	v_cvt_f16_f32_e32 v32, v32
	s_nop 0
	v_cndmask_b32_e32 v40, 0, v40, vcc
	v_cmp_ngt_f32_e32 vcc, s24, v41
	s_nop 1
	v_cndmask_b32_e32 v35, v1, v35, vcc
	v_cmp_ngt_f32_e32 vcc, s24, v43
	v_add_f32_e32 v35, 1.0, v35
	v_rcp_f32_e32 v35, v35
	v_cndmask_b32_e32 v37, v1, v37, vcc
	v_cmp_ngt_f32_e32 vcc, s24, v38
	v_add_f32_e32 v37, 1.0, v37
	v_mul_f32_e32 v42, v35, v41
	v_cndmask_b32_e32 v31, v1, v31, vcc
	v_cmp_ngt_f32_e32 vcc, s24, v39
	v_add_f32_e32 v31, 1.0, v31
	v_min_f32_e32 v35, v45, v34
	v_cndmask_b32_e32 v46, v1, v40, vcc
	v_rcp_f32_e32 v40, v31
	v_add_f32_e32 v31, 1.0, v46
	v_rcp_f32_e32 v41, v31
	v_rcp_f32_e32 v37, v37
	v_cvt_f16_f32_e32 v35, v35
	v_med3_f32 v31, -s6, v44, s6
	v_pk_mul_f32 v[38:39], v[40:41], v[38:39]
	v_mul_f32_e32 v43, v37, v43
	;;#ASMSTART
	v_pk_mul_f32 v[26:27], v[42:43], v[26:27]
	;;#ASMEND
	;;#ASMSTART
	v_pk_mul_f32 v[30:31], v[38:39], v[30:31]
	;;#ASMEND
	v_cvt_f32_f16_e32 v38, v35
	v_cvt_f32_f16_e32 v37, v28
	v_cvt_f32_f16_sdwa v28, v28 dst_sel:DWORD dst_unused:UNUSED_PAD src0_sel:WORD_1
	v_mul_f32_e32 v39, 0xbfb8aa3b, v38
	v_fma_mix_f32 v40, v35, s11, -v39 op_sel_hi:[1,0,0]
	v_cmp_nlt_f32_e32 vcc, s10, v38
	v_fma_mix_f32 v35, v35, s25, v40 op_sel_hi:[1,0,0]
	v_rndne_f32_e32 v40, v39
	v_sub_f32_e32 v39, v39, v40
	v_add_f32_e32 v35, v39, v35
	v_cvt_f32_f16_e32 v39, v32
	v_exp_f32_e32 v35, v35
	v_cvt_i32_f32_e32 v41, v40
	v_med3_f32 v40, -s6, v37, s6
	v_mul_f32_e32 v37, 0xbfb8aa3b, v39
	v_ldexp_f32 v35, v35, v41
	v_fma_mix_f32 v41, v32, s11, -v37 op_sel_hi:[1,0,0]
	v_cndmask_b32_e32 v35, 0, v35, vcc
	v_fma_mix_f32 v32, v32, s25, v41 op_sel_hi:[1,0,0]
	v_rndne_f32_e32 v41, v37
	v_sub_f32_e32 v37, v37, v41
	v_add_f32_e32 v32, v37, v32
	v_exp_f32_e32 v32, v32
	v_cvt_i32_f32_e32 v37, v41
	v_cmp_ngt_f32_e32 vcc, s24, v38
	v_med3_f32 v41, -s6, v28, s6
	v_ldexp_f32 v32, v32, v37
	v_cndmask_b32_e32 v35, v1, v35, vcc
	v_add_f32_e32 v35, 1.0, v35
	v_rcp_f32_e32 v42, v35
	v_cmp_nlt_f32_e32 vcc, s10, v39
	v_cvt_f32_f16_e32 v35, v33
	v_cvt_f32_f16_sdwa v37, v33 dst_sel:DWORD dst_unused:UNUSED_PAD src0_sel:WORD_1
	v_cndmask_b32_e32 v32, 0, v32, vcc
	v_cmp_ngt_f32_e32 vcc, s24, v39
	v_min_f32_e32 v37, v37, v34
	s_nop 0
	v_cndmask_b32_e32 v32, v1, v32, vcc
	v_add_f32_e32 v32, 1.0, v32
	v_rcp_f32_e32 v43, v32
	v_min_f32_e32 v32, v35, v34
	v_cvt_f16_f32_e32 v35, v32
	v_cvt_f16_f32_e32 v37, v37
	v_pk_mul_f32 v[32:33], v[42:43], v[38:39]
	s_waitcnt vmcnt(5)
	v_cvt_f32_f16_sdwa v42, v19 dst_sel:DWORD dst_unused:UNUSED_PAD src0_sel:WORD_1
	v_cvt_f32_f16_e32 v28, v35
	;;#ASMSTART
	v_pk_mul_f32 v[32:33], v[32:33], v[40:41]
	;;#ASMEND
	v_cvt_f32_f16_e32 v40, v29
	v_cvt_f32_f16_sdwa v41, v29 dst_sel:DWORD dst_unused:UNUSED_PAD src0_sel:WORD_1
	v_mul_f32_e32 v38, 0xbfb8aa3b, v28
	v_fma_mix_f32 v39, v35, s11, -v38 op_sel_hi:[1,0,0]
	v_cvt_f32_f16_e32 v29, v37
	v_fma_mix_f32 v35, v35, s25, v39 op_sel_hi:[1,0,0]
	v_rndne_f32_e32 v39, v38
	v_sub_f32_e32 v38, v38, v39
	v_add_f32_e32 v35, v38, v35
	v_exp_f32_e32 v35, v35
	v_cvt_i32_f32_e32 v38, v39
	v_cmp_nlt_f32_e32 vcc, s10, v28
	v_med3_f32 v40, -s6, v40, s6
	v_med3_f32 v41, -s6, v41, s6
	v_ldexp_f32 v35, v35, v38
	v_mul_f32_e32 v38, 0xbfb8aa3b, v29
	v_fma_mix_f32 v39, v37, s11, -v38 op_sel_hi:[1,0,0]
	v_cndmask_b32_e32 v35, 0, v35, vcc
	v_fma_mix_f32 v37, v37, s25, v39 op_sel_hi:[1,0,0]
	v_rndne_f32_e32 v39, v38
	v_sub_f32_e32 v38, v38, v39
	v_add_f32_e32 v37, v38, v37
	v_exp_f32_e32 v37, v37
	v_cvt_i32_f32_e32 v39, v39
	v_cmp_ngt_f32_e32 vcc, s24, v28
	s_nop 1
	v_cndmask_b32_e32 v35, v1, v35, vcc
	v_add_f32_e32 v35, 1.0, v35
	v_rcp_f32_e32 v38, v35
	v_ldexp_f32 v35, v37, v39
	v_cmp_nlt_f32_e32 vcc, s10, v29
	v_cvt_f32_f16_e32 v37, v18
	v_cvt_f32_f16_sdwa v18, v18 dst_sel:DWORD dst_unused:UNUSED_PAD src0_sel:WORD_1
	v_cndmask_b32_e32 v35, 0, v35, vcc
	v_cmp_ngt_f32_e32 vcc, s24, v29
	s_nop 1
	v_cndmask_b32_e32 v35, v1, v35, vcc
	v_add_f32_e32 v35, 1.0, v35
	v_rcp_f32_e32 v39, v35
	s_waitcnt vmcnt(2)
	v_cvt_f32_f16_e32 v35, v22
	v_cvt_f32_f16_sdwa v22, v22 dst_sel:DWORD dst_unused:UNUSED_PAD src0_sel:WORD_1
	v_pk_mul_f32 v[28:29], v[38:39], v[28:29]
	v_min_f32_e32 v35, v35, v34
	v_cvt_f16_f32_e32 v35, v35
	;;#ASMSTART
	v_pk_mul_f32 v[28:29], v[28:29], v[40:41]
	;;#ASMEND
	v_min_f32_e32 v22, v22, v34
	v_cvt_f16_f32_e32 v22, v22
	v_cvt_f32_f16_e32 v40, v35
	v_mul_f32_e32 v38, 0xbfb8aa3b, v40
	v_fma_mix_f32 v39, v35, s11, -v38 op_sel_hi:[1,0,0]
	v_cmp_nlt_f32_e32 vcc, s10, v40
	v_fma_mix_f32 v35, v35, s25, v39 op_sel_hi:[1,0,0]
	v_rndne_f32_e32 v39, v38
	v_sub_f32_e32 v38, v38, v39
	v_add_f32_e32 v35, v38, v35
	v_cvt_i32_f32_e32 v41, v39
	v_med3_f32 v39, -s6, v18, s6
	v_cvt_f32_f16_e32 v18, v22
	v_exp_f32_e32 v35, v35
	v_med3_f32 v38, -s6, v37, s6
	v_mul_f32_e32 v37, 0xbfb8aa3b, v18
	v_ldexp_f32 v35, v35, v41
	v_fma_mix_f32 v41, v22, s11, -v37 op_sel_hi:[1,0,0]
	v_cndmask_b32_e32 v35, 0, v35, vcc
	v_fma_mix_f32 v22, v22, s25, v41 op_sel_hi:[1,0,0]
	v_rndne_f32_e32 v41, v37
	v_sub_f32_e32 v37, v37, v41
	v_add_f32_e32 v22, v37, v22
	v_exp_f32_e32 v22, v22
	v_cvt_i32_f32_e32 v37, v41
	v_cmp_ngt_f32_e32 vcc, s24, v40
	v_ldexp_f32 v22, v22, v37
	s_nop 0
	v_cndmask_b32_e32 v35, v1, v35, vcc
	v_add_f32_e32 v35, 1.0, v35
	v_rcp_f32_e32 v35, v35
	v_cvt_f32_f16_e32 v37, v23
	v_cmp_nlt_f32_e32 vcc, s10, v18
	v_mul_f32_e32 v40, v35, v40
	s_nop 0
	v_cndmask_b32_e32 v22, 0, v22, vcc
	v_cmp_ngt_f32_e32 vcc, s24, v18
	v_min_f32_e32 v35, v37, v34
	v_cvt_f16_f32_e32 v35, v35
	v_cndmask_b32_e32 v22, v1, v22, vcc
	v_add_f32_e32 v22, 1.0, v22
	v_rcp_f32_e32 v22, v22
	v_cvt_f32_f16_sdwa v37, v23 dst_sel:DWORD dst_unused:UNUSED_PAD src0_sel:WORD_1
	v_mul_f32_e32 v41, v22, v18
	v_cvt_f32_f16_e32 v18, v35
	;;#ASMSTART
	v_pk_mul_f32 v[22:23], v[40:41], v[38:39]
	;;#ASMEND
	v_min_f32_e32 v37, v37, v34
	v_cvt_f16_f32_e32 v37, v37
	v_mul_f32_e32 v39, 0xbfb8aa3b, v18
	v_fma_mix_f32 v40, v35, s11, -v39 op_sel_hi:[1,0,0]
	v_cvt_f32_f16_e32 v38, v19
	v_fma_mix_f32 v35, v35, s25, v40 op_sel_hi:[1,0,0]
	v_rndne_f32_e32 v40, v39
	v_sub_f32_e32 v39, v39, v40
	v_add_f32_e32 v35, v39, v35
	v_exp_f32_e32 v35, v35
	v_cvt_i32_f32_e32 v39, v40
	v_cvt_f32_f16_e32 v19, v37
	v_cmp_nlt_f32_e32 vcc, s10, v18
	v_med3_f32 v38, -s6, v38, s6
	v_ldexp_f32 v35, v35, v39
	v_mul_f32_e32 v39, 0xbfb8aa3b, v19
	v_fma_mix_f32 v40, v37, s11, -v39 op_sel_hi:[1,0,0]
	v_cndmask_b32_e32 v35, 0, v35, vcc
	v_fma_mix_f32 v37, v37, s25, v40 op_sel_hi:[1,0,0]
	v_rndne_f32_e32 v40, v39
	v_sub_f32_e32 v39, v39, v40
	v_add_f32_e32 v37, v39, v37
	v_exp_f32_e32 v37, v37
	v_cvt_i32_f32_e32 v39, v40
	v_cmp_ngt_f32_e32 vcc, s24, v18
	s_nop 1
	v_cndmask_b32_e32 v35, v1, v35, vcc
	v_add_f32_e32 v35, 1.0, v35
	v_rcp_f32_e32 v40, v35
	v_ldexp_f32 v35, v37, v39
	v_cmp_nlt_f32_e32 vcc, s10, v19
	v_cvt_f32_f16_e32 v37, v24
	v_cvt_f32_f16_sdwa v24, v24 dst_sel:DWORD dst_unused:UNUSED_PAD src0_sel:WORD_1
	v_cndmask_b32_e32 v35, 0, v35, vcc
	v_cmp_ngt_f32_e32 vcc, s24, v19
	v_med3_f32 v39, -s6, v42, s6
	v_min_f32_e32 v24, v24, v34
	v_cndmask_b32_e32 v35, v1, v35, vcc
	v_add_f32_e32 v35, 1.0, v35
	v_rcp_f32_e32 v41, v35
	v_min_f32_e32 v35, v37, v34
	v_cvt_f16_f32_e32 v35, v35
	v_cvt_f16_f32_e32 v24, v24
	v_pk_mul_f32 v[18:19], v[40:41], v[18:19]
	v_cvt_f32_f16_e32 v37, v20
	;;#ASMSTART
	v_pk_mul_f32 v[18:19], v[18:19], v[38:39]
	;;#ASMEND
	v_cvt_f32_f16_e32 v38, v35
	v_cvt_f32_f16_sdwa v20, v20 dst_sel:DWORD dst_unused:UNUSED_PAD src0_sel:WORD_1
	v_mul_f32_e32 v39, 0xbfb8aa3b, v38
	v_fma_mix_f32 v40, v35, s11, -v39 op_sel_hi:[1,0,0]
	v_cmp_nlt_f32_e32 vcc, s10, v38
	v_fma_mix_f32 v35, v35, s25, v40 op_sel_hi:[1,0,0]
	v_rndne_f32_e32 v40, v39
	v_sub_f32_e32 v39, v39, v40
	v_add_f32_e32 v35, v39, v35
	v_cvt_f32_f16_e32 v39, v24
	v_exp_f32_e32 v35, v35
	v_cvt_i32_f32_e32 v41, v40
	v_med3_f32 v40, -s6, v37, s6
	v_mul_f32_e32 v37, 0xbfb8aa3b, v39
	v_ldexp_f32 v35, v35, v41
	v_fma_mix_f32 v41, v24, s11, -v37 op_sel_hi:[1,0,0]
	v_cndmask_b32_e32 v35, 0, v35, vcc
	v_fma_mix_f32 v24, v24, s25, v41 op_sel_hi:[1,0,0]
	v_rndne_f32_e32 v41, v37
	v_sub_f32_e32 v37, v37, v41
	v_add_f32_e32 v24, v37, v24
	v_exp_f32_e32 v24, v24
	v_cvt_i32_f32_e32 v37, v41
	v_cmp_ngt_f32_e32 vcc, s24, v38
	v_med3_f32 v41, -s6, v20, s6
	v_ldexp_f32 v24, v24, v37
	v_cndmask_b32_e32 v35, v1, v35, vcc
	v_add_f32_e32 v35, 1.0, v35
	v_rcp_f32_e32 v42, v35
	v_cmp_nlt_f32_e32 vcc, s10, v39
	v_cvt_f32_f16_e32 v35, v25
	v_cvt_f32_f16_sdwa v37, v25 dst_sel:DWORD dst_unused:UNUSED_PAD src0_sel:WORD_1
	v_cndmask_b32_e32 v24, 0, v24, vcc
	v_cmp_ngt_f32_e32 vcc, s24, v39
	v_min_f32_e32 v37, v37, v34
	s_nop 0
	v_cndmask_b32_e32 v24, v1, v24, vcc
	v_add_f32_e32 v24, 1.0, v24
	v_rcp_f32_e32 v43, v24
	v_min_f32_e32 v24, v35, v34
	v_cvt_f16_f32_e32 v35, v24
	v_cvt_f16_f32_e32 v37, v37
	v_pk_mul_f32 v[24:25], v[42:43], v[38:39]
	v_cvt_f32_f16_sdwa v42, v11 dst_sel:DWORD dst_unused:UNUSED_PAD src0_sel:WORD_1
	v_cvt_f32_f16_e32 v20, v35
	;;#ASMSTART
	v_pk_mul_f32 v[24:25], v[24:25], v[40:41]
	;;#ASMEND
	v_cvt_f32_f16_e32 v40, v21
	v_cvt_f32_f16_sdwa v41, v21 dst_sel:DWORD dst_unused:UNUSED_PAD src0_sel:WORD_1
	v_mul_f32_e32 v38, 0xbfb8aa3b, v20
	v_fma_mix_f32 v39, v35, s11, -v38 op_sel_hi:[1,0,0]
	v_cvt_f32_f16_e32 v21, v37
	v_fma_mix_f32 v35, v35, s25, v39 op_sel_hi:[1,0,0]
	v_rndne_f32_e32 v39, v38
	v_sub_f32_e32 v38, v38, v39
	v_add_f32_e32 v35, v38, v35
	v_exp_f32_e32 v35, v35
	v_cvt_i32_f32_e32 v38, v39
	v_cmp_nlt_f32_e32 vcc, s10, v20
	v_med3_f32 v40, -s6, v40, s6
	v_med3_f32 v41, -s6, v41, s6
	v_ldexp_f32 v35, v35, v38
	v_mul_f32_e32 v38, 0xbfb8aa3b, v21
	v_fma_mix_f32 v39, v37, s11, -v38 op_sel_hi:[1,0,0]
	v_cndmask_b32_e32 v35, 0, v35, vcc
	v_fma_mix_f32 v37, v37, s25, v39 op_sel_hi:[1,0,0]
	v_rndne_f32_e32 v39, v38
	v_sub_f32_e32 v38, v38, v39
	v_add_f32_e32 v37, v38, v37
	v_exp_f32_e32 v37, v37
	v_cvt_i32_f32_e32 v39, v39
	v_cmp_ngt_f32_e32 vcc, s24, v20
	s_nop 1
	v_cndmask_b32_e32 v35, v1, v35, vcc
	v_add_f32_e32 v35, 1.0, v35
	v_rcp_f32_e32 v38, v35
	v_ldexp_f32 v35, v37, v39
	v_cmp_nlt_f32_e32 vcc, s10, v21
	v_cvt_f32_f16_e32 v37, v10
	v_cvt_f32_f16_sdwa v10, v10 dst_sel:DWORD dst_unused:UNUSED_PAD src0_sel:WORD_1
	v_cndmask_b32_e32 v35, 0, v35, vcc
	v_cmp_ngt_f32_e32 vcc, s24, v21
	s_nop 1
	v_cndmask_b32_e32 v35, v1, v35, vcc
	v_add_f32_e32 v35, 1.0, v35
	v_rcp_f32_e32 v39, v35
	s_waitcnt vmcnt(1)
	v_cvt_f32_f16_e32 v35, v14
	v_cvt_f32_f16_sdwa v14, v14 dst_sel:DWORD dst_unused:UNUSED_PAD src0_sel:WORD_1
	v_pk_mul_f32 v[20:21], v[38:39], v[20:21]
	v_min_f32_e32 v35, v35, v34
	v_cvt_f16_f32_e32 v35, v35
	;;#ASMSTART
	v_pk_mul_f32 v[20:21], v[20:21], v[40:41]
	;;#ASMEND
	v_min_f32_e32 v14, v14, v34
	v_cvt_f16_f32_e32 v14, v14
	v_cvt_f32_f16_e32 v40, v35
	v_mul_f32_e32 v38, 0xbfb8aa3b, v40
	v_fma_mix_f32 v39, v35, s11, -v38 op_sel_hi:[1,0,0]
	v_cmp_nlt_f32_e32 vcc, s10, v40
	v_fma_mix_f32 v35, v35, s25, v39 op_sel_hi:[1,0,0]
	v_rndne_f32_e32 v39, v38
	v_sub_f32_e32 v38, v38, v39
	v_add_f32_e32 v35, v38, v35
	v_cvt_i32_f32_e32 v41, v39
	v_med3_f32 v39, -s6, v10, s6
	v_cvt_f32_f16_e32 v10, v14
	v_exp_f32_e32 v35, v35
	v_med3_f32 v38, -s6, v37, s6
	v_mul_f32_e32 v37, 0xbfb8aa3b, v10
	v_ldexp_f32 v35, v35, v41
	v_fma_mix_f32 v41, v14, s11, -v37 op_sel_hi:[1,0,0]
	v_cndmask_b32_e32 v35, 0, v35, vcc
	v_fma_mix_f32 v14, v14, s25, v41 op_sel_hi:[1,0,0]
	v_rndne_f32_e32 v41, v37
	v_sub_f32_e32 v37, v37, v41
	v_add_f32_e32 v14, v37, v14
	v_exp_f32_e32 v14, v14
	v_cvt_i32_f32_e32 v37, v41
	v_cmp_ngt_f32_e32 vcc, s24, v40
	v_ldexp_f32 v14, v14, v37
	s_nop 0
	v_cndmask_b32_e32 v35, v1, v35, vcc
	v_add_f32_e32 v35, 1.0, v35
	v_rcp_f32_e32 v35, v35
	v_cvt_f32_f16_e32 v37, v15
	v_cmp_nlt_f32_e32 vcc, s10, v10
	v_mul_f32_e32 v40, v35, v40
	s_nop 0
	v_cndmask_b32_e32 v14, 0, v14, vcc
	v_cmp_ngt_f32_e32 vcc, s24, v10
	v_min_f32_e32 v35, v37, v34
	v_cvt_f16_f32_e32 v35, v35
	v_cndmask_b32_e32 v14, v1, v14, vcc
	v_add_f32_e32 v14, 1.0, v14
	v_rcp_f32_e32 v14, v14
	v_cvt_f32_f16_sdwa v37, v15 dst_sel:DWORD dst_unused:UNUSED_PAD src0_sel:WORD_1
	v_mul_f32_e32 v41, v14, v10
	v_cvt_f32_f16_e32 v10, v35
	;;#ASMSTART
	v_pk_mul_f32 v[14:15], v[40:41], v[38:39]
	;;#ASMEND
	v_min_f32_e32 v37, v37, v34
	v_cvt_f16_f32_e32 v37, v37
	v_mul_f32_e32 v39, 0xbfb8aa3b, v10
	v_fma_mix_f32 v40, v35, s11, -v39 op_sel_hi:[1,0,0]
	v_cvt_f32_f16_e32 v38, v11
	v_fma_mix_f32 v35, v35, s25, v40 op_sel_hi:[1,0,0]
	v_rndne_f32_e32 v40, v39
	v_sub_f32_e32 v39, v39, v40
	v_add_f32_e32 v35, v39, v35
	v_exp_f32_e32 v35, v35
	v_cvt_i32_f32_e32 v39, v40
	v_cvt_f32_f16_e32 v11, v37
	v_cmp_nlt_f32_e32 vcc, s10, v10
	v_med3_f32 v38, -s6, v38, s6
	v_ldexp_f32 v35, v35, v39
	v_mul_f32_e32 v39, 0xbfb8aa3b, v11
	v_fma_mix_f32 v40, v37, s11, -v39 op_sel_hi:[1,0,0]
	v_cndmask_b32_e32 v35, 0, v35, vcc
	v_fma_mix_f32 v37, v37, s25, v40 op_sel_hi:[1,0,0]
	v_rndne_f32_e32 v40, v39
	v_sub_f32_e32 v39, v39, v40
	v_add_f32_e32 v37, v39, v37
	v_exp_f32_e32 v37, v37
	v_cvt_i32_f32_e32 v39, v40
	v_cmp_ngt_f32_e32 vcc, s24, v10
	s_nop 1
	v_cndmask_b32_e32 v35, v1, v35, vcc
	v_add_f32_e32 v35, 1.0, v35
	v_rcp_f32_e32 v40, v35
	v_ldexp_f32 v35, v37, v39
	v_cmp_nlt_f32_e32 vcc, s10, v11
	v_cvt_f32_f16_e32 v37, v16
	v_cvt_f32_f16_sdwa v16, v16 dst_sel:DWORD dst_unused:UNUSED_PAD src0_sel:WORD_1
	v_cndmask_b32_e32 v35, 0, v35, vcc
	v_cmp_ngt_f32_e32 vcc, s24, v11
	v_med3_f32 v39, -s6, v42, s6
	v_min_f32_e32 v16, v16, v34
	v_cndmask_b32_e32 v35, v1, v35, vcc
	v_add_f32_e32 v35, 1.0, v35
	v_rcp_f32_e32 v41, v35
	v_min_f32_e32 v35, v37, v34
	v_cvt_f16_f32_e32 v35, v35
	v_cvt_f16_f32_e32 v16, v16
	v_pk_mul_f32 v[10:11], v[40:41], v[10:11]
	v_cvt_f32_f16_e32 v37, v12
	;;#ASMSTART
	v_pk_mul_f32 v[10:11], v[10:11], v[38:39]
	;;#ASMEND
	v_cvt_f32_f16_e32 v38, v35
	v_cvt_f32_f16_sdwa v12, v12 dst_sel:DWORD dst_unused:UNUSED_PAD src0_sel:WORD_1
	v_mul_f32_e32 v39, 0xbfb8aa3b, v38
	v_fma_mix_f32 v40, v35, s11, -v39 op_sel_hi:[1,0,0]
	v_cmp_nlt_f32_e32 vcc, s10, v38
	v_fma_mix_f32 v35, v35, s25, v40 op_sel_hi:[1,0,0]
	v_rndne_f32_e32 v40, v39
	v_sub_f32_e32 v39, v39, v40
	v_add_f32_e32 v35, v39, v35
	v_cvt_f32_f16_e32 v39, v16
	v_exp_f32_e32 v35, v35
	v_cvt_i32_f32_e32 v41, v40
	v_med3_f32 v40, -s6, v37, s6
	v_mul_f32_e32 v37, 0xbfb8aa3b, v39
	v_ldexp_f32 v35, v35, v41
	v_fma_mix_f32 v41, v16, s11, -v37 op_sel_hi:[1,0,0]
	v_cndmask_b32_e32 v35, 0, v35, vcc
	v_fma_mix_f32 v16, v16, s25, v41 op_sel_hi:[1,0,0]
	v_rndne_f32_e32 v41, v37
	v_sub_f32_e32 v37, v37, v41
	v_add_f32_e32 v16, v37, v16
	v_exp_f32_e32 v16, v16
	v_cvt_i32_f32_e32 v37, v41
	v_cmp_ngt_f32_e32 vcc, s24, v38
	v_med3_f32 v41, -s6, v12, s6
	v_ldexp_f32 v16, v16, v37
	v_cndmask_b32_e32 v35, v1, v35, vcc
	v_add_f32_e32 v35, 1.0, v35
	v_rcp_f32_e32 v42, v35
	v_cmp_nlt_f32_e32 vcc, s10, v39
	v_cvt_f32_f16_e32 v35, v17
	v_cvt_f32_f16_sdwa v37, v17 dst_sel:DWORD dst_unused:UNUSED_PAD src0_sel:WORD_1
	v_cndmask_b32_e32 v16, 0, v16, vcc
	v_cmp_ngt_f32_e32 vcc, s24, v39
	v_min_f32_e32 v37, v37, v34
	s_nop 0
	v_cndmask_b32_e32 v16, v1, v16, vcc
	v_add_f32_e32 v16, 1.0, v16
	v_rcp_f32_e32 v43, v16
	v_min_f32_e32 v16, v35, v34
	v_cvt_f16_f32_e32 v35, v16
	v_cvt_f16_f32_e32 v37, v37
	v_pk_mul_f32 v[16:17], v[42:43], v[38:39]
	v_cvt_f32_f16_sdwa v42, v3 dst_sel:DWORD dst_unused:UNUSED_PAD src0_sel:WORD_1
	v_cvt_f32_f16_e32 v12, v35
	;;#ASMSTART
	v_pk_mul_f32 v[16:17], v[16:17], v[40:41]
	;;#ASMEND
	v_cvt_f32_f16_e32 v40, v13
	v_cvt_f32_f16_sdwa v41, v13 dst_sel:DWORD dst_unused:UNUSED_PAD src0_sel:WORD_1
	v_mul_f32_e32 v38, 0xbfb8aa3b, v12
	v_fma_mix_f32 v39, v35, s11, -v38 op_sel_hi:[1,0,0]
	v_cvt_f32_f16_e32 v13, v37
	v_fma_mix_f32 v35, v35, s25, v39 op_sel_hi:[1,0,0]
	v_rndne_f32_e32 v39, v38
	v_sub_f32_e32 v38, v38, v39
	v_add_f32_e32 v35, v38, v35
	v_exp_f32_e32 v35, v35
	v_cvt_i32_f32_e32 v38, v39
	v_cmp_nlt_f32_e32 vcc, s10, v12
	v_med3_f32 v40, -s6, v40, s6
	v_med3_f32 v41, -s6, v41, s6
	v_ldexp_f32 v35, v35, v38
	v_mul_f32_e32 v38, 0xbfb8aa3b, v13
	v_fma_mix_f32 v39, v37, s11, -v38 op_sel_hi:[1,0,0]
	v_cndmask_b32_e32 v35, 0, v35, vcc
	v_fma_mix_f32 v37, v37, s25, v39 op_sel_hi:[1,0,0]
	v_rndne_f32_e32 v39, v38
	v_sub_f32_e32 v38, v38, v39
	v_add_f32_e32 v37, v38, v37
	v_exp_f32_e32 v37, v37
	v_cvt_i32_f32_e32 v39, v39
	v_cmp_ngt_f32_e32 vcc, s24, v12
	s_nop 1
	v_cndmask_b32_e32 v35, v1, v35, vcc
	v_add_f32_e32 v35, 1.0, v35
	v_rcp_f32_e32 v38, v35
	v_ldexp_f32 v35, v37, v39
	v_cmp_nlt_f32_e32 vcc, s10, v13
	v_cvt_f32_f16_e32 v37, v2
	v_cvt_f32_f16_sdwa v2, v2 dst_sel:DWORD dst_unused:UNUSED_PAD src0_sel:WORD_1
	v_cndmask_b32_e32 v35, 0, v35, vcc
	v_cmp_ngt_f32_e32 vcc, s24, v13
	s_nop 1
	v_cndmask_b32_e32 v35, v1, v35, vcc
	v_add_f32_e32 v35, 1.0, v35
	v_rcp_f32_e32 v39, v35
	s_waitcnt vmcnt(0)
	v_cvt_f32_f16_e32 v35, v6
	v_cvt_f32_f16_sdwa v6, v6 dst_sel:DWORD dst_unused:UNUSED_PAD src0_sel:WORD_1
	v_pk_mul_f32 v[12:13], v[38:39], v[12:13]
	v_min_f32_e32 v35, v35, v34
	v_cvt_f16_f32_e32 v35, v35
	;;#ASMSTART
	v_pk_mul_f32 v[12:13], v[12:13], v[40:41]
	;;#ASMEND
	v_min_f32_e32 v6, v6, v34
	v_cvt_f16_f32_e32 v6, v6
	v_cvt_f32_f16_e32 v40, v35
	v_mul_f32_e32 v38, 0xbfb8aa3b, v40
	v_fma_mix_f32 v39, v35, s11, -v38 op_sel_hi:[1,0,0]
	v_cmp_nlt_f32_e32 vcc, s10, v40
	v_fma_mix_f32 v35, v35, s25, v39 op_sel_hi:[1,0,0]
	v_rndne_f32_e32 v39, v38
	v_sub_f32_e32 v38, v38, v39
	v_add_f32_e32 v35, v38, v35
	v_cvt_i32_f32_e32 v41, v39
	v_med3_f32 v39, -s6, v2, s6
	v_cvt_f32_f16_e32 v2, v6
	v_exp_f32_e32 v35, v35
	v_med3_f32 v38, -s6, v37, s6
	v_mul_f32_e32 v37, 0xbfb8aa3b, v2
	v_ldexp_f32 v35, v35, v41
	v_fma_mix_f32 v41, v6, s11, -v37 op_sel_hi:[1,0,0]
	v_cndmask_b32_e32 v35, 0, v35, vcc
	v_fma_mix_f32 v6, v6, s25, v41 op_sel_hi:[1,0,0]
	v_rndne_f32_e32 v41, v37
	v_sub_f32_e32 v37, v37, v41
	v_add_f32_e32 v6, v37, v6
	v_exp_f32_e32 v6, v6
	v_cvt_i32_f32_e32 v37, v41
	v_cmp_ngt_f32_e32 vcc, s24, v40
	v_ldexp_f32 v6, v6, v37
	s_nop 0
	v_cndmask_b32_e32 v35, v1, v35, vcc
	v_add_f32_e32 v35, 1.0, v35
	v_rcp_f32_e32 v35, v35
	v_cvt_f32_f16_e32 v37, v7
	v_cmp_nlt_f32_e32 vcc, s10, v2
	v_mul_f32_e32 v40, v35, v40
	s_nop 0
	v_cndmask_b32_e32 v6, 0, v6, vcc
	v_cmp_ngt_f32_e32 vcc, s24, v2
	v_min_f32_e32 v35, v37, v34
	v_cvt_f16_f32_e32 v35, v35
	v_cndmask_b32_e32 v6, v1, v6, vcc
	v_add_f32_e32 v6, 1.0, v6
	v_rcp_f32_e32 v6, v6
	v_cvt_f32_f16_sdwa v37, v7 dst_sel:DWORD dst_unused:UNUSED_PAD src0_sel:WORD_1
	v_mul_f32_e32 v41, v6, v2
	v_cvt_f32_f16_e32 v2, v35
	;;#ASMSTART
	v_pk_mul_f32 v[6:7], v[40:41], v[38:39]
	;;#ASMEND
	v_min_f32_e32 v37, v37, v34
	v_cvt_f16_f32_e32 v37, v37
	v_mul_f32_e32 v39, 0xbfb8aa3b, v2
	v_fma_mix_f32 v40, v35, s11, -v39 op_sel_hi:[1,0,0]
	v_cvt_f32_f16_e32 v38, v3
	v_fma_mix_f32 v35, v35, s25, v40 op_sel_hi:[1,0,0]
	v_rndne_f32_e32 v40, v39
	v_sub_f32_e32 v39, v39, v40
	v_add_f32_e32 v35, v39, v35
	v_exp_f32_e32 v35, v35
	v_cvt_i32_f32_e32 v39, v40
	v_cvt_f32_f16_e32 v3, v37
	v_cmp_nlt_f32_e32 vcc, s10, v2
	v_med3_f32 v38, -s6, v38, s6
	v_ldexp_f32 v35, v35, v39
	v_mul_f32_e32 v39, 0xbfb8aa3b, v3
	v_fma_mix_f32 v40, v37, s11, -v39 op_sel_hi:[1,0,0]
	v_cndmask_b32_e32 v35, 0, v35, vcc
	v_fma_mix_f32 v37, v37, s25, v40 op_sel_hi:[1,0,0]
	v_rndne_f32_e32 v40, v39
	v_sub_f32_e32 v39, v39, v40
	v_add_f32_e32 v37, v39, v37
	v_exp_f32_e32 v37, v37
	v_cvt_i32_f32_e32 v39, v40
	v_cmp_ngt_f32_e32 vcc, s24, v2
	s_nop 1
	v_cndmask_b32_e32 v35, v1, v35, vcc
	v_add_f32_e32 v35, 1.0, v35
	v_rcp_f32_e32 v40, v35
	v_ldexp_f32 v35, v37, v39
	v_cmp_nlt_f32_e32 vcc, s10, v3
	v_cvt_f32_f16_e32 v37, v8
	v_cvt_f32_f16_sdwa v8, v8 dst_sel:DWORD dst_unused:UNUSED_PAD src0_sel:WORD_1
	v_cndmask_b32_e32 v35, 0, v35, vcc
	v_cmp_ngt_f32_e32 vcc, s24, v3
	v_med3_f32 v39, -s6, v42, s6
	v_min_f32_e32 v8, v8, v34
	v_cndmask_b32_e32 v35, v1, v35, vcc
	v_add_f32_e32 v35, 1.0, v35
	v_rcp_f32_e32 v41, v35
	v_min_f32_e32 v35, v37, v34
	v_cvt_f16_f32_e32 v35, v35
	v_cvt_f32_f16_e32 v37, v4
	v_pk_mul_f32 v[2:3], v[40:41], v[2:3]
	v_cvt_f16_f32_e32 v40, v8
	;;#ASMSTART
	v_pk_mul_f32 v[2:3], v[2:3], v[38:39]
	;;#ASMEND
	v_cvt_f32_f16_e32 v38, v35
	v_cvt_f32_f16_sdwa v4, v4 dst_sel:DWORD dst_unused:UNUSED_PAD src0_sel:WORD_1
	v_mul_f32_e32 v8, 0xbfb8aa3b, v38
	v_fma_mix_f32 v39, v35, s11, -v8 op_sel_hi:[1,0,0]
	v_cmp_nlt_f32_e32 vcc, s10, v38
	v_fma_mix_f32 v35, v35, s25, v39 op_sel_hi:[1,0,0]
	v_rndne_f32_e32 v39, v8
	v_sub_f32_e32 v8, v8, v39
	v_add_f32_e32 v8, v8, v35
	v_cvt_i32_f32_e32 v41, v39
	v_cvt_f32_f16_e32 v39, v40
	v_exp_f32_e32 v35, v8
	v_med3_f32 v8, -s6, v37, s6
	v_mul_f32_e32 v37, 0xbfb8aa3b, v39
	v_ldexp_f32 v35, v35, v41
	v_fma_mix_f32 v41, v40, s11, -v37 op_sel_hi:[1,0,0]
	v_cndmask_b32_e32 v35, 0, v35, vcc
	v_fma_mix_f32 v40, v40, s25, v41 op_sel_hi:[1,0,0]
	v_rndne_f32_e32 v41, v37
	v_sub_f32_e32 v37, v37, v41
	v_add_f32_e32 v37, v37, v40
	v_exp_f32_e32 v37, v37
	v_cvt_i32_f32_e32 v41, v41
	v_cmp_ngt_f32_e32 vcc, s24, v38
	s_nop 1
	v_cndmask_b32_e32 v35, v1, v35, vcc
	v_add_f32_e32 v35, 1.0, v35
	v_rcp_f32_e32 v40, v35
	v_ldexp_f32 v35, v37, v41
	v_cvt_f32_f16_e32 v37, v9
	v_cmp_nlt_f32_e32 vcc, s10, v39
	v_min_f32_e32 v37, v37, v34
	v_cvt_f16_f32_e32 v37, v37
	v_cndmask_b32_e32 v35, 0, v35, vcc
	v_cmp_ngt_f32_e32 vcc, s24, v39
	s_nop 1
	v_cndmask_b32_e32 v35, v1, v35, vcc
	v_add_f32_e32 v35, 1.0, v35
	v_rcp_f32_e32 v41, v35
	v_cvt_f32_f16_sdwa v35, v9 dst_sel:DWORD dst_unused:UNUSED_PAD src0_sel:WORD_1
	v_med3_f32 v9, -s6, v4, s6
	v_cvt_f32_f16_e32 v4, v37
	v_pk_mul_f32 v[38:39], v[40:41], v[38:39]
	v_min_f32_e32 v34, v35, v34
	v_cvt_f16_f32_e32 v34, v34
	v_mul_f32_e32 v35, 0xbfb8aa3b, v4
	v_fma_mix_f32 v40, v37, s11, -v35 op_sel_hi:[1,0,0]
	v_cvt_f32_f16_sdwa v41, v5 dst_sel:DWORD dst_unused:UNUSED_PAD src0_sel:WORD_1
	v_fma_mix_f32 v37, v37, s25, v40 op_sel_hi:[1,0,0]
	v_rndne_f32_e32 v40, v35
	v_sub_f32_e32 v35, v35, v40
	v_add_f32_e32 v35, v35, v37
	v_exp_f32_e32 v35, v35
	v_cvt_i32_f32_e32 v37, v40
	v_cvt_f32_f16_e32 v40, v5
	v_cvt_f32_f16_e32 v5, v34
	v_cmp_nlt_f32_e32 vcc, s10, v4
	v_ldexp_f32 v35, v35, v37
	;;#ASMSTART
	v_pk_mul_f32 v[8:9], v[38:39], v[8:9]
	;;#ASMEND
	v_mul_f32_e32 v37, 0xbfb8aa3b, v5
	v_fma_mix_f32 v42, v34, s11, -v37 op_sel_hi:[1,0,0]
	v_cndmask_b32_e32 v35, 0, v35, vcc
	v_fma_mix_f32 v34, v34, s25, v42 op_sel_hi:[1,0,0]
	v_rndne_f32_e32 v42, v37
	v_sub_f32_e32 v37, v37, v42
	v_add_f32_e32 v34, v37, v34
	v_exp_f32_e32 v37, v34
	v_cvt_i32_f32_e32 v42, v42
	v_cmp_ngt_f32_e32 vcc, s24, v4
	v_med3_f32 v38, -s6, v40, s6
	v_med3_f32 v39, -s6, v41, s6
	v_cndmask_b32_e32 v34, v1, v35, vcc
	v_ldexp_f32 v35, v37, v42
	v_cmp_nlt_f32_e32 vcc, s10, v5
	v_add_f32_e32 v34, 1.0, v34
	v_rcp_f32_e32 v34, v34
	v_cndmask_b32_e32 v35, 0, v35, vcc
	v_cmp_ngt_f32_e32 vcc, s24, v5
	s_ashr_i32 s6, s5, 31
	s_lshr_b32 s6, s6, 27
	v_cndmask_b32_e32 v1, v1, v35, vcc
	v_add_f32_e32 v1, 1.0, v1
	v_rcp_f32_e32 v35, v1
	v_and_b32_e32 v1, 0x7fffffff, v26
	s_add_i32 s6, s5, s6
	s_ashr_i32 s6, s6, 5
	v_pk_mul_f32 v[4:5], v[34:35], v[4:5]
	v_and_b32_e32 v34, 0x7fffffff, v27
	;;#ASMSTART
	v_pk_mul_f32 v[4:5], v[4:5], v[38:39]
	;;#ASMEND
	v_mov_b32_e32 v35, 0x2edbe6ff
	;;#ASMSTART
	v_max3_f32 v1, v35, v1, v34

	;;#ASMEND
	v_and_b32_e32 v34, 0x7fffffff, v30
	v_and_b32_e32 v35, 0x7fffffff, v31
	;;#ASMSTART
	v_max3_f32 v1, v1, v34, v35

	;;#ASMEND
	v_and_b32_e32 v34, 0x7fffffff, v32
	v_and_b32_e32 v35, 0x7fffffff, v33
	;; [unrolled: 6-line block ×14, first 2 shown]
	;;#ASMSTART
	v_max3_f32 v1, v1, v34, v35

	;;#ASMEND
	s_cmp_lt_i32 s6, 16
	v_and_b32_e32 v34, 0x7fffffff, v4
	v_and_b32_e32 v35, 0x7fffffff, v5
	;;#ASMSTART
	v_max3_f32 v1, v1, v34, v35

	;;#ASMEND
	s_cbranch_scc1 .LBB527_7
; %bb.2:
	s_cmp_lt_i32 s6, 32
	s_cbranch_scc1 .LBB527_8
; %bb.3:
	s_cmp_lt_i32 s6, 64
	s_cbranch_scc1 .LBB527_9
; %bb.4:
	s_cmp_eq_u32 s6, 64
	v_mov_b32_e32 v34, v1
	s_cbranch_scc0 .LBB527_6
; %bb.5:
	s_nop 0
	v_mov_b32_dpp v34, v1 quad_perm:[1,0,3,2] row_mask:0xf bank_mask:0xf
	v_cmp_gt_f32_e32 vcc, v1, v34
	v_bfrev_b32_e32 v37, 0.5
	s_nop 0
	v_cndmask_b32_e32 v34, v34, v1, vcc
	s_nop 1
	v_mov_b32_dpp v35, v34 quad_perm:[2,3,0,1] row_mask:0xf bank_mask:0xf
	v_cmp_gt_f32_e32 vcc, v34, v35
	s_nop 1
	v_cndmask_b32_e32 v34, v35, v34, vcc
	s_nop 1
	v_mov_b32_dpp v35, v34 row_ror:4 row_mask:0xf bank_mask:0xf
	v_cmp_gt_f32_e32 vcc, v34, v35
	s_nop 1
	v_cndmask_b32_e32 v34, v35, v34, vcc
	s_nop 1
	v_mov_b32_dpp v35, v34 row_ror:8 row_mask:0xf bank_mask:0xf
	v_cmp_gt_f32_e32 vcc, v34, v35
	s_nop 1
	v_cndmask_b32_e32 v34, v35, v34, vcc
	s_nop 1
	v_mov_b32_dpp v35, v34 row_bcast:15 row_mask:0xf bank_mask:0xf
	v_cmp_gt_f32_e32 vcc, v34, v35
	s_nop 1
	v_cndmask_b32_e32 v34, v35, v34, vcc
	s_nop 1
	v_mov_b32_dpp v35, v34 row_bcast:31 row_mask:0xf bank_mask:0xf
	v_cmp_gt_f32_e32 vcc, v34, v35
	s_nop 1
	v_cndmask_b32_e32 v34, v35, v34, vcc
	v_mbcnt_lo_u32_b32 v35, -1, 0
	v_mbcnt_hi_u32_b32 v35, -1, v35
	v_lshl_or_b32 v35, v35, 2, v37
	ds_bpermute_b32 v34, v35, v34
.LBB527_6:
	s_cbranch_execz .LBB527_10
	s_branch .LBB527_12
.LBB527_7:
                                        ; implicit-def: $vgpr34
	s_branch .LBB527_16
.LBB527_8:
                                        ; implicit-def: $vgpr34
	s_branch .LBB527_13
.LBB527_9:
                                        ; implicit-def: $vgpr34
.LBB527_10:
	s_cmp_eq_u32 s6, 32
	s_waitcnt lgkmcnt(0)
	v_mov_b32_e32 v34, v1
	s_cbranch_scc0 .LBB527_12
; %bb.11:
	s_nop 0
	v_mov_b32_dpp v34, v1 quad_perm:[1,0,3,2] row_mask:0xf bank_mask:0xf
	v_cmp_gt_f32_e32 vcc, v1, v34
	v_mov_b32_e32 v37, 0x7c
	s_nop 0
	v_cndmask_b32_e32 v34, v34, v1, vcc
	s_nop 1
	v_mov_b32_dpp v35, v34 quad_perm:[2,3,0,1] row_mask:0xf bank_mask:0xf
	v_cmp_gt_f32_e32 vcc, v34, v35
	s_nop 1
	v_cndmask_b32_e32 v34, v35, v34, vcc
	s_nop 1
	v_mov_b32_dpp v35, v34 row_half_mirror row_mask:0xf bank_mask:0xf
	v_cmp_gt_f32_e32 vcc, v34, v35
	s_nop 1
	v_cndmask_b32_e32 v34, v35, v34, vcc
	s_nop 1
	v_mov_b32_dpp v35, v34 row_mirror row_mask:0xf bank_mask:0xf
	v_cmp_gt_f32_e32 vcc, v34, v35
	s_nop 1
	v_cndmask_b32_e32 v34, v35, v34, vcc
	s_nop 1
	v_mov_b32_dpp v35, v34 row_bcast:15 row_mask:0xa bank_mask:0xf
	v_cmp_gt_f32_e32 vcc, v34, v35
	s_nop 1
	v_cndmask_b32_e32 v34, v35, v34, vcc
	v_mbcnt_lo_u32_b32 v35, -1, 0
	v_mbcnt_hi_u32_b32 v35, -1, v35
	v_lshl_or_b32 v35, v35, 2, v37
	ds_bpermute_b32 v34, v35, v34
.LBB527_12:
	s_cbranch_execnz .LBB527_15
.LBB527_13:
	s_cmp_eq_u32 s6, 16
	s_waitcnt lgkmcnt(0)
	v_mov_b32_e32 v34, v1
	s_cbranch_scc0 .LBB527_15
; %bb.14:
	s_nop 0
	v_mov_b32_dpp v34, v1 quad_perm:[1,0,3,2] row_mask:0xf bank_mask:0xf
	v_cmp_gt_f32_e32 vcc, v1, v34
	s_nop 1
	v_cndmask_b32_e32 v34, v34, v1, vcc
	s_nop 1
	v_mov_b32_dpp v35, v34 quad_perm:[2,3,0,1] row_mask:0xf bank_mask:0xf
	v_cmp_gt_f32_e32 vcc, v34, v35
	s_nop 1
	v_cndmask_b32_e32 v34, v35, v34, vcc
	s_nop 1
	v_mov_b32_dpp v35, v34 row_half_mirror row_mask:0xf bank_mask:0xf
	v_cmp_gt_f32_e32 vcc, v34, v35
	s_nop 1
	v_cndmask_b32_e32 v34, v35, v34, vcc
	s_nop 1
	v_mov_b32_dpp v35, v34 row_mirror row_mask:0xf bank_mask:0xf
	v_cmp_gt_f32_e32 vcc, v34, v35
	s_nop 1
	v_cndmask_b32_e32 v34, v35, v34, vcc
.LBB527_15:
	s_cbranch_execnz .LBB527_29
.LBB527_16:
	s_cmp_lt_i32 s6, 4
	s_cbranch_scc1 .LBB527_20
; %bb.17:
	s_cmp_lt_i32 s6, 8
	s_cbranch_scc1 .LBB527_21
; %bb.18:
	s_cmp_eq_u32 s6, 8
	s_waitcnt lgkmcnt(0)
	v_mov_b32_e32 v34, v1
	s_cbranch_scc0 .LBB527_22
; %bb.19:
	s_nop 0
	v_mov_b32_dpp v34, v1 quad_perm:[1,0,3,2] row_mask:0xf bank_mask:0xf
	v_cmp_gt_f32_e32 vcc, v1, v34
	s_nop 1
	v_cndmask_b32_e32 v34, v34, v1, vcc
	s_nop 1
	v_mov_b32_dpp v35, v34 quad_perm:[2,3,0,1] row_mask:0xf bank_mask:0xf
	v_cmp_gt_f32_e32 vcc, v34, v35
	s_nop 1
	v_cndmask_b32_e32 v34, v35, v34, vcc
	s_nop 1
	v_mov_b32_dpp v35, v34 row_half_mirror row_mask:0xf bank_mask:0xf
	v_cmp_gt_f32_e32 vcc, v34, v35
	s_nop 1
	v_cndmask_b32_e32 v34, v35, v34, vcc
	s_cbranch_execz .LBB527_23
	s_branch .LBB527_25
.LBB527_20:
                                        ; implicit-def: $vgpr34
	s_branch .LBB527_26
.LBB527_21:
                                        ; implicit-def: $vgpr34
	s_branch .LBB527_23
.LBB527_22:
	s_cbranch_execnz .LBB527_25
.LBB527_23:
	s_cmp_eq_u32 s6, 4
	s_waitcnt lgkmcnt(0)
	v_mov_b32_e32 v34, v1
	s_cbranch_scc0 .LBB527_25
; %bb.24:
	s_nop 0
	v_mov_b32_dpp v34, v1 quad_perm:[1,0,3,2] row_mask:0xf bank_mask:0xf
	v_cmp_gt_f32_e32 vcc, v1, v34
	s_nop 1
	v_cndmask_b32_e32 v34, v34, v1, vcc
	s_nop 1
	v_mov_b32_dpp v35, v34 quad_perm:[2,3,0,1] row_mask:0xf bank_mask:0xf
	v_cmp_gt_f32_e32 vcc, v34, v35
	s_nop 1
	v_cndmask_b32_e32 v34, v35, v34, vcc
.LBB527_25:
	s_cbranch_execnz .LBB527_29
.LBB527_26:
	s_cmp_lg_u32 s6, 2
	s_cbranch_scc1 .LBB527_28
; %bb.27:
	s_waitcnt lgkmcnt(0)
	v_mov_b32_dpp v34, v1 quad_perm:[1,0,3,2] row_mask:0xf bank_mask:0xf
	v_cmp_gt_f32_e32 vcc, v1, v34
	s_nop 1
	v_cndmask_b32_e32 v1, v34, v1, vcc
.LBB527_28:
	s_waitcnt lgkmcnt(0)
	v_mov_b32_e32 v34, v1
.LBB527_29:
	s_abs_i32 s10, s6
	v_cvt_f32_u32_e32 v1, s10
	s_sub_i32 s12, 0, s10
	s_waitcnt lgkmcnt(0)
	v_mul_f32_e32 v37, 0x3b888889, v34
	s_ashr_i32 s11, s6, 31
	v_rcp_iflag_f32_e32 v1, v1
	s_nop 0
	v_mul_f32_e32 v1, 0x4f7ffffe, v1
	v_cvt_u32_f32_e32 v1, v1
	v_mul_lo_u32 v34, s12, v1
	v_mul_hi_u32 v34, v1, v34
	v_add_u32_e32 v1, v1, v34
	v_mul_hi_u32 v1, v0, v1
	v_mul_lo_u32 v34, v1, s10
	v_sub_u32_e32 v34, v0, v34
	v_add_u32_e32 v35, 1, v1
	v_cmp_le_u32_e32 vcc, s10, v34
	s_nop 1
	v_cndmask_b32_e32 v1, v1, v35, vcc
	v_subrev_u32_e32 v35, s10, v34
	v_cndmask_b32_e32 v34, v34, v35, vcc
	v_add_u32_e32 v35, 1, v1
	v_cmp_le_u32_e32 vcc, s10, v34
	s_nop 1
	v_cndmask_b32_e32 v1, v1, v35, vcc
	v_xor_b32_e32 v1, s11, v1
	v_subrev_u32_e32 v34, s11, v1
	v_mul_lo_u32 v1, v34, s6
	v_sub_u32_e32 v0, v0, v1
	v_cmp_eq_u32_e32 vcc, 0, v0
	s_and_saveexec_b64 s[10:11], vcc
	s_cbranch_execz .LBB527_35
; %bb.30:
	s_bitcmp0_b32 s7, 0
	s_cbranch_scc0 .LBB527_32
; %bb.31:
	s_abs_i32 s6, s5
	v_cvt_f32_u32_e32 v0, s6
	s_sub_i32 s12, 0, s6
	s_abs_i32 s7, s20
	s_xor_b32 s5, s20, s5
	v_rcp_iflag_f32_e32 v0, v0
	s_ashr_i32 s5, s5, 31
	v_ashrrev_i32_e32 v35, 31, v34
	v_mov_b32_e32 v1, s2
	v_mul_f32_e32 v0, 0x4f7ffffe, v0
	v_cvt_u32_f32_e32 v0, v0
	s_nop 0
	v_readfirstlane_b32 s13, v0
	s_mul_i32 s12, s12, s13
	s_mul_hi_u32 s12, s13, s12
	s_add_i32 s13, s13, s12
	s_mul_hi_u32 s12, s7, s13
	s_mul_i32 s13, s12, s6
	s_sub_i32 s7, s7, s13
	s_add_i32 s14, s12, 1
	s_sub_i32 s13, s7, s6
	s_cmp_ge_u32 s7, s6
	s_cselect_b32 s12, s14, s12
	s_cselect_b32 s7, s13, s7
	s_add_i32 s13, s12, 1
	s_cmp_ge_u32 s7, s6
	s_cselect_b32 s6, s13, s12
	s_xor_b32 s6, s6, s5
	s_sub_i32 s5, s6, s5
	s_ashr_i32 s6, s5, 31
	s_mul_i32 s12, s6, s2
	v_mad_u64_u32 v[0:1], s[6:7], s5, v1, v[34:35]
	v_add_u32_e32 v1, s12, v1
	s_cbranch_execz .LBB527_33
	s_branch .LBB527_34
.LBB527_32:
                                        ; implicit-def: $vgpr0_vgpr1
.LBB527_33:
	s_load_dword s0, s[0:1], 0x28
	v_mov_b32_e32 v1, 0
	s_waitcnt lgkmcnt(0)
	v_mul_lo_u32 v0, s0, v34
	v_lshl_add_u64 v[0:1], v[0:1], 0, s[2:3]
.LBB527_34:
	v_lshl_add_u64 v[0:1], v[0:1], 2, s[22:23]
	global_store_dword v[0:1], v37, off
.LBB527_35:
	s_or_b64 exec, exec, s[10:11]
	s_add_i32 s0, s4, 3
	s_ashr_i32 s1, s0, 31
	s_lshr_b32 s1, s1, 30
	s_add_i32 s0, s0, s1
	s_and_b32 s6, s0, -4
	s_mul_i32 s0, s21, s2
	s_mul_hi_u32 s1, s20, s2
	s_add_i32 s1, s1, s0
	s_mul_i32 s0, s20, s2
	;;#ASMSTART
	v_rcp_f32 v0, v37
	;;#ASMEND
	s_add_u32 s4, s8, s0
	v_mov_b32_e32 v1, v0
	;;#ASMSTART
	v_pk_mul_f32 v[26:27], v[26:27], v[0:1]
	;;#ASMEND
	v_mov_b32_e32 v34, 0xc3700000
	v_mov_b32_e32 v35, 0x43700000
	;;#ASMSTART
	v_med3_f32 v26, v26, v34, v35
v_med3_f32 v27, v27, v34, v35
v_cvt_pk_fp8_f32 v37, v26, v27
	;;#ASMEND
	s_addc_u32 s0, s9, s1
	;;#ASMSTART
	v_pk_mul_f32 v[26:27], v[30:31], v[0:1]
	;;#ASMEND
	s_and_b32 s5, s0, 0xffff
	;;#ASMSTART
	v_med3_f32 v26, v26, v34, v35
v_med3_f32 v27, v27, v34, v35
v_cvt_pk_fp8_f32 v30, v26, v27
	;;#ASMEND
	s_mov_b32 s0, 0x5040100
	v_perm_b32 v26, v30, v37, s0
	s_mov_b32 s1, 0x1060504
	v_perm_b32 v26, v26, v30, s1
	;;#ASMSTART
	v_pk_mul_f32 v[30:31], v[32:33], v[0:1]
	;;#ASMEND
	s_mov_b32 s2, 0x1000504
	v_mov_b32_e32 v27, v31
	;;#ASMSTART
	v_med3_f32 v30, v30, v34, v35
v_med3_f32 v27, v27, v34, v35
v_cvt_pk_fp8_f32 v31, v30, v27
	;;#ASMEND
	;;#ASMSTART
	v_pk_mul_f32 v[28:29], v[28:29], v[0:1]
	;;#ASMEND
	s_mov_b32 s7, 0x20000
	v_mov_b32_e32 v27, v29
	;;#ASMSTART
	v_med3_f32 v28, v28, v34, v35
v_med3_f32 v27, v27, v34, v35
v_cvt_pk_fp8_f32 v29, v28, v27
	;;#ASMEND
	;;#ASMSTART
	v_pk_mul_f32 v[22:23], v[22:23], v[0:1]
	;;#ASMEND
	s_nop 0
	;;#ASMSTART
	v_med3_f32 v22, v22, v34, v35
v_med3_f32 v23, v23, v34, v35
v_cvt_pk_fp8_f32 v28, v22, v23
	;;#ASMEND
	;;#ASMSTART
	v_pk_mul_f32 v[18:19], v[18:19], v[0:1]
	;;#ASMEND
	v_perm_b32 v27, v31, v29, s2
	;;#ASMSTART
	v_med3_f32 v18, v18, v34, v35
v_med3_f32 v19, v19, v34, v35
v_cvt_pk_fp8_f32 v22, v18, v19
	;;#ASMEND
	s_nop 0
	;;#ASMSTART
	v_pk_mul_f32 v[18:19], v[24:25], v[0:1]
	;;#ASMEND
	v_perm_b32 v28, v28, v22, s2
	;;#ASMSTART
	v_med3_f32 v18, v18, v34, v35
v_med3_f32 v19, v19, v34, v35
v_cvt_pk_fp8_f32 v22, v18, v19
	;;#ASMEND
	s_nop 0
	;;#ASMSTART
	v_pk_mul_f32 v[18:19], v[20:21], v[0:1]
	;;#ASMEND
	s_nop 0
	;;#ASMSTART
	v_med3_f32 v18, v18, v34, v35
v_med3_f32 v19, v19, v34, v35
v_cvt_pk_fp8_f32 v20, v18, v19
	;;#ASMEND
	s_nop 0
	v_perm_b32 v29, v22, v20, s2
	buffer_store_dwordx4 v[26:29], v36, s[4:7], 0 offen
	;;#ASMSTART
	s_nop 0
	;;#ASMEND
	;;#ASMSTART
	v_pk_mul_f32 v[14:15], v[14:15], v[0:1]
	;;#ASMEND
	s_nop 0
	;;#ASMSTART
	v_med3_f32 v14, v14, v34, v35
v_med3_f32 v15, v15, v34, v35
v_cvt_pk_fp8_f32 v18, v14, v15
	;;#ASMEND
	;;#ASMSTART
	v_pk_mul_f32 v[10:11], v[10:11], v[0:1]
	;;#ASMEND
	s_nop 0
	;;#ASMSTART
	v_med3_f32 v10, v10, v34, v35
v_med3_f32 v11, v11, v34, v35
v_cvt_pk_fp8_f32 v14, v10, v11
	;;#ASMEND
	s_nop 0
	v_perm_b32 v10, v14, v18, s0
	v_perm_b32 v10, v10, v14, s1
	;;#ASMSTART
	v_pk_mul_f32 v[14:15], v[16:17], v[0:1]
	;;#ASMEND
	s_nop 0
	v_mov_b32_e32 v11, v15
	;;#ASMSTART
	v_med3_f32 v14, v14, v34, v35
v_med3_f32 v11, v11, v34, v35
v_cvt_pk_fp8_f32 v15, v14, v11
	;;#ASMEND
	;;#ASMSTART
	v_pk_mul_f32 v[12:13], v[12:13], v[0:1]
	;;#ASMEND
	s_nop 0
	v_mov_b32_e32 v11, v13
	;;#ASMSTART
	v_med3_f32 v12, v12, v34, v35
v_med3_f32 v11, v11, v34, v35
v_cvt_pk_fp8_f32 v13, v12, v11
	;;#ASMEND
	;;#ASMSTART
	v_pk_mul_f32 v[6:7], v[6:7], v[0:1]
	;;#ASMEND
	s_nop 0
	;;#ASMSTART
	v_med3_f32 v6, v6, v34, v35
v_med3_f32 v7, v7, v34, v35
v_cvt_pk_fp8_f32 v12, v6, v7
	;;#ASMEND
	;;#ASMSTART
	v_pk_mul_f32 v[2:3], v[2:3], v[0:1]
	;;#ASMEND
	v_perm_b32 v11, v15, v13, s2
	;;#ASMSTART
	v_med3_f32 v2, v2, v34, v35
v_med3_f32 v3, v3, v34, v35
v_cvt_pk_fp8_f32 v6, v2, v3
	;;#ASMEND
	s_nop 0
	;;#ASMSTART
	v_pk_mul_f32 v[2:3], v[8:9], v[0:1]
	;;#ASMEND
	v_perm_b32 v12, v12, v6, s2
	;;#ASMSTART
	v_med3_f32 v2, v2, v34, v35
v_med3_f32 v3, v3, v34, v35
v_cvt_pk_fp8_f32 v6, v2, v3
	;;#ASMEND
	;;#ASMSTART
	v_pk_mul_f32 v[0:1], v[4:5], v[0:1]
	;;#ASMEND
	s_nop 0
	;;#ASMSTART
	v_med3_f32 v0, v0, v34, v35
v_med3_f32 v1, v1, v34, v35
v_cvt_pk_fp8_f32 v2, v0, v1
	;;#ASMEND
	s_nop 0
	v_perm_b32 v13, v6, v2, s2
	buffer_store_dwordx4 v[10:13], v36, s[4:7], 16 offen
	;;#ASMSTART
	s_nop 0
	;;#ASMEND
.LBB527_36:
	s_endpgm
	.section	.rodata,"a",@progbits
	.p2align	6, 0x0
	.amdhsa_kernel _ZN5aiter24act_and_mul_quant_kernelIDF16_DB8_TnPFfRKT_EXadL_ZNS_11silu_kernelIDF16_EEfS4_EELi256ELi32ELb1EEEvPT0_PS3_Pfiifb
		.amdhsa_group_segment_fixed_size 0
		.amdhsa_private_segment_fixed_size 0
		.amdhsa_kernarg_size 296
		.amdhsa_user_sgpr_count 2
		.amdhsa_user_sgpr_dispatch_ptr 0
		.amdhsa_user_sgpr_queue_ptr 0
		.amdhsa_user_sgpr_kernarg_segment_ptr 1
		.amdhsa_user_sgpr_dispatch_id 0
		.amdhsa_user_sgpr_kernarg_preload_length 0
		.amdhsa_user_sgpr_kernarg_preload_offset 0
		.amdhsa_user_sgpr_private_segment_size 0
		.amdhsa_uses_dynamic_stack 0
		.amdhsa_enable_private_segment 0
		.amdhsa_system_sgpr_workgroup_id_x 1
		.amdhsa_system_sgpr_workgroup_id_y 0
		.amdhsa_system_sgpr_workgroup_id_z 0
		.amdhsa_system_sgpr_workgroup_info 0
		.amdhsa_system_vgpr_workitem_id 0
		.amdhsa_next_free_vgpr 56
		.amdhsa_next_free_sgpr 26
		.amdhsa_accum_offset 56
		.amdhsa_reserve_vcc 1
		.amdhsa_float_round_mode_32 0
		.amdhsa_float_round_mode_16_64 0
		.amdhsa_float_denorm_mode_32 3
		.amdhsa_float_denorm_mode_16_64 3
		.amdhsa_dx10_clamp 1
		.amdhsa_ieee_mode 1
		.amdhsa_fp16_overflow 0
		.amdhsa_tg_split 0
		.amdhsa_exception_fp_ieee_invalid_op 0
		.amdhsa_exception_fp_denorm_src 0
		.amdhsa_exception_fp_ieee_div_zero 0
		.amdhsa_exception_fp_ieee_overflow 0
		.amdhsa_exception_fp_ieee_underflow 0
		.amdhsa_exception_fp_ieee_inexact 0
		.amdhsa_exception_int_div_zero 0
	.end_amdhsa_kernel
	.section	.text._ZN5aiter24act_and_mul_quant_kernelIDF16_DB8_TnPFfRKT_EXadL_ZNS_11silu_kernelIDF16_EEfS4_EELi256ELi32ELb1EEEvPT0_PS3_Pfiifb,"axG",@progbits,_ZN5aiter24act_and_mul_quant_kernelIDF16_DB8_TnPFfRKT_EXadL_ZNS_11silu_kernelIDF16_EEfS4_EELi256ELi32ELb1EEEvPT0_PS3_Pfiifb,comdat
.Lfunc_end527:
	.size	_ZN5aiter24act_and_mul_quant_kernelIDF16_DB8_TnPFfRKT_EXadL_ZNS_11silu_kernelIDF16_EEfS4_EELi256ELi32ELb1EEEvPT0_PS3_Pfiifb, .Lfunc_end527-_ZN5aiter24act_and_mul_quant_kernelIDF16_DB8_TnPFfRKT_EXadL_ZNS_11silu_kernelIDF16_EEfS4_EELi256ELi32ELb1EEEvPT0_PS3_Pfiifb
                                        ; -- End function
	.section	.AMDGPU.csdata,"",@progbits
; Kernel info:
; codeLenInByte = 6432
; NumSgprs: 32
; NumVgprs: 56
; NumAgprs: 0
; TotalNumVgprs: 56
; ScratchSize: 0
; MemoryBound: 0
; FloatMode: 240
; IeeeMode: 1
; LDSByteSize: 0 bytes/workgroup (compile time only)
; SGPRBlocks: 3
; VGPRBlocks: 6
; NumSGPRsForWavesPerEU: 32
; NumVGPRsForWavesPerEU: 56
; AccumOffset: 56
; Occupancy: 8
; WaveLimiterHint : 0
; COMPUTE_PGM_RSRC2:SCRATCH_EN: 0
; COMPUTE_PGM_RSRC2:USER_SGPR: 2
; COMPUTE_PGM_RSRC2:TRAP_HANDLER: 0
; COMPUTE_PGM_RSRC2:TGID_X_EN: 1
; COMPUTE_PGM_RSRC2:TGID_Y_EN: 0
; COMPUTE_PGM_RSRC2:TGID_Z_EN: 0
; COMPUTE_PGM_RSRC2:TIDIG_COMP_CNT: 0
; COMPUTE_PGM_RSRC3_GFX90A:ACCUM_OFFSET: 13
; COMPUTE_PGM_RSRC3_GFX90A:TG_SPLIT: 0
	.section	.text._ZN5aiter24act_and_mul_quant_kernelItDB8_TnPFfRKT_EXadL_ZNS_11silu_kernelItEEfS4_EELi256ELi32ELb1EEEvPT0_PS3_Pfiifb,"axG",@progbits,_ZN5aiter24act_and_mul_quant_kernelItDB8_TnPFfRKT_EXadL_ZNS_11silu_kernelItEEfS4_EELi256ELi32ELb1EEEvPT0_PS3_Pfiifb,comdat
	.protected	_ZN5aiter24act_and_mul_quant_kernelItDB8_TnPFfRKT_EXadL_ZNS_11silu_kernelItEEfS4_EELi256ELi32ELb1EEEvPT0_PS3_Pfiifb ; -- Begin function _ZN5aiter24act_and_mul_quant_kernelItDB8_TnPFfRKT_EXadL_ZNS_11silu_kernelItEEfS4_EELi256ELi32ELb1EEEvPT0_PS3_Pfiifb
	.globl	_ZN5aiter24act_and_mul_quant_kernelItDB8_TnPFfRKT_EXadL_ZNS_11silu_kernelItEEfS4_EELi256ELi32ELb1EEEvPT0_PS3_Pfiifb
	.p2align	8
	.type	_ZN5aiter24act_and_mul_quant_kernelItDB8_TnPFfRKT_EXadL_ZNS_11silu_kernelItEEfS4_EELi256ELi32ELb1EEEvPT0_PS3_Pfiifb,@function
_ZN5aiter24act_and_mul_quant_kernelItDB8_TnPFfRKT_EXadL_ZNS_11silu_kernelItEEfS4_EELi256ELi32ELb1EEEvPT0_PS3_Pfiifb: ; @_ZN5aiter24act_and_mul_quant_kernelItDB8_TnPFfRKT_EXadL_ZNS_11silu_kernelItEEfS4_EELi256ELi32ELb1EEEvPT0_PS3_Pfiifb
; %bb.0:
	s_load_dwordx4 s[4:7], s[0:1], 0x18
	v_lshlrev_b32_e32 v36, 5, v0
	s_waitcnt lgkmcnt(0)
	v_cmp_gt_i32_e32 vcc, s4, v36
	s_and_saveexec_b64 s[8:9], vcc
	s_cbranch_execz .LBB528_36
; %bb.1:
	s_load_dwordx4 s[8:11], s[0:1], 0x0
	s_load_dwordx2 s[22:23], s[0:1], 0x10
	s_ashr_i32 s21, s4, 31
	s_mul_hi_u32 s3, s2, s4
	s_mul_i32 s12, s2, s21
	s_add_i32 s13, s3, s12
	s_mul_i32 s12, s2, s4
	s_lshl_b64 s[12:13], s[12:13], 2
	s_mov_b32 s20, s4
	s_waitcnt lgkmcnt(0)
	s_add_u32 s12, s10, s12
	s_addc_u32 s3, s11, s13
	s_lshl_b64 s[10:11], s[20:21], 1
	s_add_u32 s16, s12, s10
	s_addc_u32 s10, s3, s11
	s_lshl_b32 s11, s4, 1
	s_add_i32 s11, s11, 2
	s_and_b32 s18, s11, -4
	s_and_b32 s17, s10, 0xffff
	s_mov_b32 s19, 0x20000
	v_lshlrev_b32_e32 v34, 6, v0
	buffer_load_dwordx4 v[26:29], v34, s[16:19], 0 offen sc0 nt
	s_and_b32 s13, s3, 0xffff
	s_mov_b32 s14, s18
	s_mov_b32 s15, s19
	buffer_load_dwordx4 v[30:33], v34, s[12:15], 0 offen sc0 nt
	buffer_load_dwordx4 v[18:21], v34, s[16:19], 16 offen sc0 nt
	;; [unrolled: 1-line block ×7, first 2 shown]
	v_max_f32_e64 v37, s6, s6
	s_mov_b32 s24, 0xbfb8aa3b
	s_mov_b32 s10, 0x42ce8ed0
	;; [unrolled: 1-line block ×3, first 2 shown]
	v_mov_b32_e32 v1, 0x7f800000
	s_mov_b32 s3, 0
	s_waitcnt vmcnt(7)
	v_lshlrev_b32_e32 v34, 16, v26
	v_and_b32_e32 v26, 0xffff0000, v26
	v_med3_f32 v35, -s6, v26, s6
	v_lshlrev_b32_e32 v44, 16, v27
	s_waitcnt vmcnt(6)
	v_and_b32_e32 v26, 0xffff0000, v30
	v_lshlrev_b32_e32 v30, 16, v30
	v_max_f32_e32 v30, v30, v30
	v_and_b32_e32 v38, 0xffff0000, v31
	v_lshlrev_b32_e32 v31, 16, v31
	v_max_f32_e32 v26, v26, v26
	v_min_f32_e32 v30, v30, v37
	v_max_f32_e32 v31, v31, v31
	v_max_f32_e32 v38, v38, v38
	v_min_f32_e32 v26, v26, v37
	v_and_b32_e32 v30, 0xffff0000, v30
	v_min_f32_e32 v40, v31, v37
	v_min_f32_e32 v38, v38, v37
	v_and_b32_e32 v31, 0xffff0000, v26
	v_mul_f32_e32 v26, 0xbfb8aa3b, v30
	v_and_b32_e32 v39, 0xffff0000, v38
	v_and_b32_e32 v38, 0xffff0000, v40
	v_mul_f32_e32 v40, 0xbfb8aa3b, v31
	v_fma_f32 v43, v30, s24, -v26
	v_rndne_f32_e32 v45, v26
	v_mul_f32_e32 v41, 0xbfb8aa3b, v38
	v_fma_f32 v46, v31, s24, -v40
	v_rndne_f32_e32 v47, v40
	v_fmac_f32_e32 v43, 0xb2a5705f, v30
	v_sub_f32_e32 v26, v26, v45
	v_mul_f32_e32 v42, 0xbfb8aa3b, v39
	v_fma_f32 v48, v38, s24, -v41
	v_rndne_f32_e32 v49, v41
	v_fmac_f32_e32 v46, 0xb2a5705f, v31
	v_sub_f32_e32 v40, v40, v47
	v_add_f32_e32 v26, v26, v43
	v_fma_f32 v50, v39, s24, -v42
	v_rndne_f32_e32 v51, v42
	v_cvt_i32_f32_e32 v45, v45
	v_fmac_f32_e32 v48, 0xb2a5705f, v38
	v_sub_f32_e32 v41, v41, v49
	v_add_f32_e32 v40, v40, v46
	v_exp_f32_e32 v26, v26
	v_cvt_i32_f32_e32 v47, v47
	v_fmac_f32_e32 v50, 0xb2a5705f, v39
	v_sub_f32_e32 v42, v42, v51
	v_add_f32_e32 v41, v41, v48
	v_exp_f32_e32 v40, v40
	v_cvt_i32_f32_e32 v49, v49
	v_add_f32_e32 v42, v42, v50
	v_exp_f32_e32 v41, v41
	v_cvt_i32_f32_e32 v51, v51
	v_exp_f32_e32 v42, v42
	v_ldexp_f32 v26, v26, v45
	v_cmp_nlt_f32_e32 vcc, s10, v30
	v_ldexp_f32 v40, v40, v47
	v_ldexp_f32 v41, v41, v49
	v_cndmask_b32_e32 v26, 0, v26, vcc
	v_cmp_nlt_f32_e32 vcc, s10, v31
	v_ldexp_f32 v43, v42, v51
	v_med3_f32 v34, -s6, v34, s6
	v_cndmask_b32_e32 v40, 0, v40, vcc
	v_cmp_nlt_f32_e32 vcc, s10, v38
	v_and_b32_e32 v27, 0xffff0000, v27
	v_med3_f32 v27, -s6, v27, s6
	v_cndmask_b32_e32 v42, 0, v41, vcc
	v_cmp_ngt_f32_e32 vcc, s11, v30
	s_nop 1
	v_cndmask_b32_e32 v26, v1, v26, vcc
	v_cmp_ngt_f32_e32 vcc, s11, v31
	v_add_f32_e32 v26, 1.0, v26
	s_nop 0
	v_cndmask_b32_e32 v40, v1, v40, vcc
	v_cmp_ngt_f32_e32 vcc, s11, v38
	v_add_f32_e32 v41, 1.0, v40
	v_rcp_f32_e32 v40, v26
	v_cndmask_b32_e32 v26, v1, v42, vcc
	v_add_f32_e32 v26, 1.0, v26
	v_cmp_nlt_f32_e32 vcc, s10, v39
	v_rcp_f32_e32 v42, v26
	v_rcp_f32_e32 v41, v41
	v_cndmask_b32_e32 v26, 0, v43, vcc
	v_cmp_ngt_f32_e32 vcc, s11, v39
	v_pk_mul_f32 v[30:31], v[40:41], v[30:31]
	s_nop 0
	v_cndmask_b32_e32 v26, v1, v26, vcc
	v_add_f32_e32 v26, 1.0, v26
	v_rcp_f32_e32 v43, v26
	;;#ASMSTART
	v_pk_mul_f32 v[30:31], v[30:31], v[34:35]
	;;#ASMEND
	v_med3_f32 v26, -s6, v44, s6
	v_lshlrev_b32_e32 v40, 16, v28
	v_pk_mul_f32 v[34:35], v[42:43], v[38:39]
	v_and_b32_e32 v28, 0xffff0000, v28
	;;#ASMSTART
	v_pk_mul_f32 v[26:27], v[34:35], v[26:27]
	;;#ASMEND
	v_and_b32_e32 v35, 0xffff0000, v32
	v_lshlrev_b32_e32 v32, 16, v32
	v_max_f32_e32 v32, v32, v32
	v_min_f32_e32 v32, v32, v37
	v_and_b32_e32 v34, 0xffff0000, v32
	v_mul_f32_e32 v32, 0xbfb8aa3b, v34
	v_fma_f32 v38, v34, s24, -v32
	v_rndne_f32_e32 v39, v32
	v_fmac_f32_e32 v38, 0xb2a5705f, v34
	v_sub_f32_e32 v32, v32, v39
	v_add_f32_e32 v32, v32, v38
	v_exp_f32_e32 v32, v32
	v_cvt_i32_f32_e32 v38, v39
	v_max_f32_e32 v35, v35, v35
	v_min_f32_e32 v35, v35, v37
	v_and_b32_e32 v35, 0xffff0000, v35
	v_ldexp_f32 v32, v32, v38
	v_mul_f32_e32 v38, 0xbfb8aa3b, v35
	v_fma_f32 v39, v35, s24, -v38
	v_rndne_f32_e32 v41, v38
	v_fmac_f32_e32 v39, 0xb2a5705f, v35
	v_sub_f32_e32 v38, v38, v41
	v_add_f32_e32 v38, v38, v39
	v_cmp_nlt_f32_e32 vcc, s10, v34
	v_exp_f32_e32 v39, v38
	v_cvt_i32_f32_e32 v41, v41
	v_cndmask_b32_e32 v32, 0, v32, vcc
	v_cmp_ngt_f32_e32 vcc, s11, v34
	v_med3_f32 v40, -s6, v40, s6
	s_nop 0
	v_cndmask_b32_e32 v32, v1, v32, vcc
	v_add_f32_e32 v32, 1.0, v32
	v_rcp_f32_e32 v38, v32
	v_ldexp_f32 v32, v39, v41
	v_cmp_nlt_f32_e32 vcc, s10, v35
	v_med3_f32 v41, -s6, v28, s6
	v_lshlrev_b32_e32 v28, 16, v29
	v_cndmask_b32_e32 v32, 0, v32, vcc
	v_cmp_ngt_f32_e32 vcc, s11, v35
	v_and_b32_e32 v29, 0xffff0000, v29
	v_med3_f32 v28, -s6, v28, s6
	v_cndmask_b32_e32 v32, v1, v32, vcc
	v_add_f32_e32 v32, 1.0, v32
	v_rcp_f32_e32 v39, v32
	v_lshlrev_b32_e32 v32, 16, v33
	v_max_f32_e32 v32, v32, v32
	v_min_f32_e32 v32, v32, v37
	v_and_b32_e32 v32, 0xffff0000, v32
	v_pk_mul_f32 v[34:35], v[38:39], v[34:35]
	v_and_b32_e32 v38, 0xffff0000, v33
	v_mul_f32_e32 v33, 0xbfb8aa3b, v32
	;;#ASMSTART
	v_pk_mul_f32 v[34:35], v[34:35], v[40:41]
	;;#ASMEND
	v_fma_f32 v39, v32, s24, -v33
	v_rndne_f32_e32 v40, v33
	v_fmac_f32_e32 v39, 0xb2a5705f, v32
	v_sub_f32_e32 v33, v33, v40
	v_add_f32_e32 v33, v33, v39
	v_exp_f32_e32 v39, v33
	v_cvt_i32_f32_e32 v40, v40
	v_max_f32_e32 v33, v38, v38
	v_min_f32_e32 v33, v33, v37
	v_and_b32_e32 v33, 0xffff0000, v33
	v_ldexp_f32 v38, v39, v40
	v_mul_f32_e32 v39, 0xbfb8aa3b, v33
	v_fma_f32 v40, v33, s24, -v39
	v_rndne_f32_e32 v41, v39
	v_fmac_f32_e32 v40, 0xb2a5705f, v33
	v_sub_f32_e32 v39, v39, v41
	v_add_f32_e32 v39, v39, v40
	v_exp_f32_e32 v39, v39
	v_cvt_i32_f32_e32 v40, v41
	v_cmp_nlt_f32_e32 vcc, s10, v32
	v_med3_f32 v29, -s6, v29, s6
	v_ldexp_f32 v39, v39, v40
	v_cndmask_b32_e32 v38, 0, v38, vcc
	v_cmp_ngt_f32_e32 vcc, s11, v32
	s_waitcnt vmcnt(5)
	v_lshlrev_b32_e32 v40, 16, v18
	v_and_b32_e32 v18, 0xffff0000, v18
	v_cndmask_b32_e32 v38, v1, v38, vcc
	v_cmp_nlt_f32_e32 vcc, s10, v33
	v_add_f32_e32 v38, 1.0, v38
	v_rcp_f32_e32 v38, v38
	v_cndmask_b32_e32 v39, 0, v39, vcc
	v_cmp_ngt_f32_e32 vcc, s11, v33
	v_med3_f32 v40, -s6, v40, s6
	s_nop 0
	v_cndmask_b32_e32 v39, v1, v39, vcc
	v_add_f32_e32 v39, 1.0, v39
	v_rcp_f32_e32 v39, v39
	s_nop 0
	v_pk_mul_f32 v[32:33], v[38:39], v[32:33]
	s_nop 0
	;;#ASMSTART
	v_pk_mul_f32 v[28:29], v[32:33], v[28:29]
	;;#ASMEND
	s_waitcnt vmcnt(2)
	v_and_b32_e32 v33, 0xffff0000, v22
	v_lshlrev_b32_e32 v22, 16, v22
	v_max_f32_e32 v22, v22, v22
	v_min_f32_e32 v22, v22, v37
	v_and_b32_e32 v32, 0xffff0000, v22
	v_mul_f32_e32 v22, 0xbfb8aa3b, v32
	v_fma_f32 v38, v32, s24, -v22
	v_rndne_f32_e32 v39, v22
	v_fmac_f32_e32 v38, 0xb2a5705f, v32
	v_sub_f32_e32 v22, v22, v39
	v_add_f32_e32 v22, v22, v38
	v_exp_f32_e32 v22, v22
	v_cvt_i32_f32_e32 v38, v39
	v_max_f32_e32 v33, v33, v33
	v_min_f32_e32 v33, v33, v37
	v_and_b32_e32 v33, 0xffff0000, v33
	v_ldexp_f32 v22, v22, v38
	v_mul_f32_e32 v38, 0xbfb8aa3b, v33
	v_fma_f32 v39, v33, s24, -v38
	v_rndne_f32_e32 v41, v38
	v_fmac_f32_e32 v39, 0xb2a5705f, v33
	v_sub_f32_e32 v38, v38, v41
	v_add_f32_e32 v38, v38, v39
	v_cmp_nlt_f32_e32 vcc, s10, v32
	v_exp_f32_e32 v39, v38
	v_cvt_i32_f32_e32 v41, v41
	v_cndmask_b32_e32 v22, 0, v22, vcc
	v_cmp_ngt_f32_e32 vcc, s11, v32
	s_nop 1
	v_cndmask_b32_e32 v22, v1, v22, vcc
	v_add_f32_e32 v22, 1.0, v22
	v_rcp_f32_e32 v38, v22
	v_ldexp_f32 v22, v39, v41
	v_cmp_nlt_f32_e32 vcc, s10, v33
	v_med3_f32 v41, -s6, v18, s6
	v_lshlrev_b32_e32 v18, 16, v19
	v_cndmask_b32_e32 v22, 0, v22, vcc
	v_cmp_ngt_f32_e32 vcc, s11, v33
	v_and_b32_e32 v19, 0xffff0000, v19
	v_med3_f32 v18, -s6, v18, s6
	v_cndmask_b32_e32 v22, v1, v22, vcc
	v_add_f32_e32 v22, 1.0, v22
	v_rcp_f32_e32 v39, v22
	v_lshlrev_b32_e32 v22, 16, v23
	v_max_f32_e32 v22, v22, v22
	v_min_f32_e32 v22, v22, v37
	v_and_b32_e32 v22, 0xffff0000, v22
	v_pk_mul_f32 v[32:33], v[38:39], v[32:33]
	v_and_b32_e32 v38, 0xffff0000, v23
	v_mul_f32_e32 v23, 0xbfb8aa3b, v22
	;;#ASMSTART
	v_pk_mul_f32 v[32:33], v[32:33], v[40:41]
	;;#ASMEND
	v_fma_f32 v39, v22, s24, -v23
	v_rndne_f32_e32 v40, v23
	v_fmac_f32_e32 v39, 0xb2a5705f, v22
	v_sub_f32_e32 v23, v23, v40
	v_add_f32_e32 v23, v23, v39
	v_exp_f32_e32 v39, v23
	v_cvt_i32_f32_e32 v40, v40
	v_max_f32_e32 v23, v38, v38
	v_min_f32_e32 v23, v23, v37
	v_and_b32_e32 v23, 0xffff0000, v23
	v_ldexp_f32 v38, v39, v40
	v_mul_f32_e32 v39, 0xbfb8aa3b, v23
	v_fma_f32 v40, v23, s24, -v39
	v_rndne_f32_e32 v41, v39
	v_fmac_f32_e32 v40, 0xb2a5705f, v23
	v_sub_f32_e32 v39, v39, v41
	v_add_f32_e32 v39, v39, v40
	v_exp_f32_e32 v39, v39
	v_cvt_i32_f32_e32 v40, v41
	v_cmp_nlt_f32_e32 vcc, s10, v22
	v_med3_f32 v19, -s6, v19, s6
	v_ldexp_f32 v39, v39, v40
	v_cndmask_b32_e32 v38, 0, v38, vcc
	v_cmp_ngt_f32_e32 vcc, s11, v22
	v_lshlrev_b32_e32 v40, 16, v20
	v_and_b32_e32 v20, 0xffff0000, v20
	v_cndmask_b32_e32 v38, v1, v38, vcc
	v_cmp_nlt_f32_e32 vcc, s10, v23
	v_add_f32_e32 v38, 1.0, v38
	v_rcp_f32_e32 v38, v38
	v_cndmask_b32_e32 v39, 0, v39, vcc
	v_cmp_ngt_f32_e32 vcc, s11, v23
	v_med3_f32 v40, -s6, v40, s6
	s_nop 0
	v_cndmask_b32_e32 v39, v1, v39, vcc
	v_add_f32_e32 v39, 1.0, v39
	v_rcp_f32_e32 v39, v39
	s_nop 0
	v_pk_mul_f32 v[22:23], v[38:39], v[22:23]
	s_nop 0
	;;#ASMSTART
	v_pk_mul_f32 v[18:19], v[22:23], v[18:19]
	;;#ASMEND
	v_lshlrev_b32_e32 v22, 16, v24
	v_max_f32_e32 v22, v22, v22
	v_min_f32_e32 v22, v22, v37
	v_and_b32_e32 v22, 0xffff0000, v22
	v_and_b32_e32 v23, 0xffff0000, v24
	v_mul_f32_e32 v24, 0xbfb8aa3b, v22
	v_fma_f32 v38, v22, s24, -v24
	v_rndne_f32_e32 v39, v24
	v_fmac_f32_e32 v38, 0xb2a5705f, v22
	v_sub_f32_e32 v24, v24, v39
	v_add_f32_e32 v24, v24, v38
	v_exp_f32_e32 v24, v24
	v_cvt_i32_f32_e32 v38, v39
	v_max_f32_e32 v23, v23, v23
	v_min_f32_e32 v23, v23, v37
	v_and_b32_e32 v23, 0xffff0000, v23
	v_ldexp_f32 v24, v24, v38
	v_mul_f32_e32 v38, 0xbfb8aa3b, v23
	v_fma_f32 v39, v23, s24, -v38
	v_rndne_f32_e32 v41, v38
	v_fmac_f32_e32 v39, 0xb2a5705f, v23
	v_sub_f32_e32 v38, v38, v41
	v_add_f32_e32 v38, v38, v39
	v_cmp_nlt_f32_e32 vcc, s10, v22
	v_exp_f32_e32 v39, v38
	v_cvt_i32_f32_e32 v41, v41
	v_cndmask_b32_e32 v24, 0, v24, vcc
	v_cmp_ngt_f32_e32 vcc, s11, v22
	s_nop 1
	v_cndmask_b32_e32 v24, v1, v24, vcc
	v_add_f32_e32 v24, 1.0, v24
	v_rcp_f32_e32 v38, v24
	v_ldexp_f32 v24, v39, v41
	v_cmp_nlt_f32_e32 vcc, s10, v23
	v_med3_f32 v41, -s6, v20, s6
	v_lshlrev_b32_e32 v20, 16, v21
	v_cndmask_b32_e32 v24, 0, v24, vcc
	v_cmp_ngt_f32_e32 vcc, s11, v23
	v_and_b32_e32 v21, 0xffff0000, v21
	v_med3_f32 v20, -s6, v20, s6
	v_cndmask_b32_e32 v24, v1, v24, vcc
	v_add_f32_e32 v24, 1.0, v24
	v_rcp_f32_e32 v39, v24
	v_lshlrev_b32_e32 v24, 16, v25
	v_max_f32_e32 v24, v24, v24
	v_min_f32_e32 v24, v24, v37
	v_and_b32_e32 v24, 0xffff0000, v24
	v_pk_mul_f32 v[22:23], v[38:39], v[22:23]
	v_and_b32_e32 v38, 0xffff0000, v25
	v_mul_f32_e32 v25, 0xbfb8aa3b, v24
	;;#ASMSTART
	v_pk_mul_f32 v[22:23], v[22:23], v[40:41]
	;;#ASMEND
	v_fma_f32 v39, v24, s24, -v25
	v_rndne_f32_e32 v40, v25
	v_fmac_f32_e32 v39, 0xb2a5705f, v24
	v_sub_f32_e32 v25, v25, v40
	v_add_f32_e32 v25, v25, v39
	v_exp_f32_e32 v39, v25
	v_cvt_i32_f32_e32 v40, v40
	v_max_f32_e32 v25, v38, v38
	v_min_f32_e32 v25, v25, v37
	v_and_b32_e32 v25, 0xffff0000, v25
	v_ldexp_f32 v38, v39, v40
	v_mul_f32_e32 v39, 0xbfb8aa3b, v25
	v_fma_f32 v40, v25, s24, -v39
	v_rndne_f32_e32 v41, v39
	v_fmac_f32_e32 v40, 0xb2a5705f, v25
	v_sub_f32_e32 v39, v39, v41
	v_add_f32_e32 v39, v39, v40
	v_exp_f32_e32 v39, v39
	v_cvt_i32_f32_e32 v40, v41
	v_cmp_nlt_f32_e32 vcc, s10, v24
	v_med3_f32 v21, -s6, v21, s6
	v_ldexp_f32 v39, v39, v40
	v_cndmask_b32_e32 v38, 0, v38, vcc
	v_cmp_ngt_f32_e32 vcc, s11, v24
	v_lshlrev_b32_e32 v40, 16, v10
	v_and_b32_e32 v10, 0xffff0000, v10
	v_cndmask_b32_e32 v38, v1, v38, vcc
	v_cmp_nlt_f32_e32 vcc, s10, v25
	v_add_f32_e32 v38, 1.0, v38
	v_rcp_f32_e32 v38, v38
	v_cndmask_b32_e32 v39, 0, v39, vcc
	v_cmp_ngt_f32_e32 vcc, s11, v25
	v_med3_f32 v40, -s6, v40, s6
	s_nop 0
	v_cndmask_b32_e32 v39, v1, v39, vcc
	v_add_f32_e32 v39, 1.0, v39
	v_rcp_f32_e32 v39, v39
	s_nop 0
	v_pk_mul_f32 v[24:25], v[38:39], v[24:25]
	s_nop 0
	;;#ASMSTART
	v_pk_mul_f32 v[20:21], v[24:25], v[20:21]
	;;#ASMEND
	s_waitcnt vmcnt(1)
	v_and_b32_e32 v25, 0xffff0000, v14
	v_lshlrev_b32_e32 v14, 16, v14
	v_max_f32_e32 v14, v14, v14
	v_min_f32_e32 v14, v14, v37
	v_and_b32_e32 v24, 0xffff0000, v14
	v_mul_f32_e32 v14, 0xbfb8aa3b, v24
	v_fma_f32 v38, v24, s24, -v14
	v_rndne_f32_e32 v39, v14
	v_fmac_f32_e32 v38, 0xb2a5705f, v24
	v_sub_f32_e32 v14, v14, v39
	v_add_f32_e32 v14, v14, v38
	v_exp_f32_e32 v14, v14
	v_cvt_i32_f32_e32 v38, v39
	v_max_f32_e32 v25, v25, v25
	v_min_f32_e32 v25, v25, v37
	v_and_b32_e32 v25, 0xffff0000, v25
	v_ldexp_f32 v14, v14, v38
	v_mul_f32_e32 v38, 0xbfb8aa3b, v25
	v_fma_f32 v39, v25, s24, -v38
	v_rndne_f32_e32 v41, v38
	v_fmac_f32_e32 v39, 0xb2a5705f, v25
	v_sub_f32_e32 v38, v38, v41
	v_add_f32_e32 v38, v38, v39
	v_cmp_nlt_f32_e32 vcc, s10, v24
	v_exp_f32_e32 v39, v38
	v_cvt_i32_f32_e32 v41, v41
	v_cndmask_b32_e32 v14, 0, v14, vcc
	v_cmp_ngt_f32_e32 vcc, s11, v24
	s_nop 1
	v_cndmask_b32_e32 v14, v1, v14, vcc
	v_add_f32_e32 v14, 1.0, v14
	v_rcp_f32_e32 v38, v14
	v_ldexp_f32 v14, v39, v41
	v_cmp_nlt_f32_e32 vcc, s10, v25
	v_med3_f32 v41, -s6, v10, s6
	v_lshlrev_b32_e32 v10, 16, v11
	v_cndmask_b32_e32 v14, 0, v14, vcc
	v_cmp_ngt_f32_e32 vcc, s11, v25
	v_and_b32_e32 v11, 0xffff0000, v11
	v_med3_f32 v10, -s6, v10, s6
	v_cndmask_b32_e32 v14, v1, v14, vcc
	v_add_f32_e32 v14, 1.0, v14
	v_rcp_f32_e32 v39, v14
	v_lshlrev_b32_e32 v14, 16, v15
	v_max_f32_e32 v14, v14, v14
	v_min_f32_e32 v14, v14, v37
	v_and_b32_e32 v14, 0xffff0000, v14
	v_pk_mul_f32 v[24:25], v[38:39], v[24:25]
	v_and_b32_e32 v38, 0xffff0000, v15
	v_mul_f32_e32 v15, 0xbfb8aa3b, v14
	;;#ASMSTART
	v_pk_mul_f32 v[24:25], v[24:25], v[40:41]
	;;#ASMEND
	v_fma_f32 v39, v14, s24, -v15
	v_rndne_f32_e32 v40, v15
	v_fmac_f32_e32 v39, 0xb2a5705f, v14
	v_sub_f32_e32 v15, v15, v40
	v_add_f32_e32 v15, v15, v39
	v_exp_f32_e32 v39, v15
	v_cvt_i32_f32_e32 v40, v40
	v_max_f32_e32 v15, v38, v38
	v_min_f32_e32 v15, v15, v37
	v_and_b32_e32 v15, 0xffff0000, v15
	v_ldexp_f32 v38, v39, v40
	v_mul_f32_e32 v39, 0xbfb8aa3b, v15
	v_fma_f32 v40, v15, s24, -v39
	v_rndne_f32_e32 v41, v39
	v_fmac_f32_e32 v40, 0xb2a5705f, v15
	v_sub_f32_e32 v39, v39, v41
	v_add_f32_e32 v39, v39, v40
	v_exp_f32_e32 v39, v39
	v_cvt_i32_f32_e32 v40, v41
	v_cmp_nlt_f32_e32 vcc, s10, v14
	v_med3_f32 v11, -s6, v11, s6
	v_ldexp_f32 v39, v39, v40
	v_cndmask_b32_e32 v38, 0, v38, vcc
	v_cmp_ngt_f32_e32 vcc, s11, v14
	v_lshlrev_b32_e32 v40, 16, v12
	v_and_b32_e32 v12, 0xffff0000, v12
	v_cndmask_b32_e32 v38, v1, v38, vcc
	v_cmp_nlt_f32_e32 vcc, s10, v15
	v_add_f32_e32 v38, 1.0, v38
	v_rcp_f32_e32 v38, v38
	v_cndmask_b32_e32 v39, 0, v39, vcc
	v_cmp_ngt_f32_e32 vcc, s11, v15
	v_med3_f32 v40, -s6, v40, s6
	s_nop 0
	v_cndmask_b32_e32 v39, v1, v39, vcc
	v_add_f32_e32 v39, 1.0, v39
	v_rcp_f32_e32 v39, v39
	s_nop 0
	v_pk_mul_f32 v[14:15], v[38:39], v[14:15]
	s_nop 0
	;;#ASMSTART
	v_pk_mul_f32 v[10:11], v[14:15], v[10:11]
	;;#ASMEND
	v_lshlrev_b32_e32 v14, 16, v16
	v_max_f32_e32 v14, v14, v14
	v_min_f32_e32 v14, v14, v37
	v_and_b32_e32 v14, 0xffff0000, v14
	v_and_b32_e32 v15, 0xffff0000, v16
	v_mul_f32_e32 v16, 0xbfb8aa3b, v14
	v_fma_f32 v38, v14, s24, -v16
	v_rndne_f32_e32 v39, v16
	v_fmac_f32_e32 v38, 0xb2a5705f, v14
	v_sub_f32_e32 v16, v16, v39
	v_add_f32_e32 v16, v16, v38
	v_exp_f32_e32 v16, v16
	v_cvt_i32_f32_e32 v38, v39
	v_max_f32_e32 v15, v15, v15
	v_min_f32_e32 v15, v15, v37
	v_and_b32_e32 v15, 0xffff0000, v15
	v_ldexp_f32 v16, v16, v38
	v_mul_f32_e32 v38, 0xbfb8aa3b, v15
	v_fma_f32 v39, v15, s24, -v38
	v_rndne_f32_e32 v41, v38
	v_fmac_f32_e32 v39, 0xb2a5705f, v15
	v_sub_f32_e32 v38, v38, v41
	v_add_f32_e32 v38, v38, v39
	v_cmp_nlt_f32_e32 vcc, s10, v14
	v_exp_f32_e32 v39, v38
	v_cvt_i32_f32_e32 v41, v41
	v_cndmask_b32_e32 v16, 0, v16, vcc
	v_cmp_ngt_f32_e32 vcc, s11, v14
	s_nop 1
	v_cndmask_b32_e32 v16, v1, v16, vcc
	v_add_f32_e32 v16, 1.0, v16
	v_rcp_f32_e32 v38, v16
	v_ldexp_f32 v16, v39, v41
	v_cmp_nlt_f32_e32 vcc, s10, v15
	v_med3_f32 v41, -s6, v12, s6
	v_lshlrev_b32_e32 v12, 16, v13
	v_cndmask_b32_e32 v16, 0, v16, vcc
	v_cmp_ngt_f32_e32 vcc, s11, v15
	v_and_b32_e32 v13, 0xffff0000, v13
	v_med3_f32 v12, -s6, v12, s6
	v_cndmask_b32_e32 v16, v1, v16, vcc
	v_add_f32_e32 v16, 1.0, v16
	v_rcp_f32_e32 v39, v16
	v_lshlrev_b32_e32 v16, 16, v17
	v_max_f32_e32 v16, v16, v16
	v_min_f32_e32 v16, v16, v37
	v_and_b32_e32 v16, 0xffff0000, v16
	v_pk_mul_f32 v[14:15], v[38:39], v[14:15]
	v_and_b32_e32 v38, 0xffff0000, v17
	v_mul_f32_e32 v17, 0xbfb8aa3b, v16
	;;#ASMSTART
	v_pk_mul_f32 v[14:15], v[14:15], v[40:41]
	;;#ASMEND
	v_fma_f32 v39, v16, s24, -v17
	v_rndne_f32_e32 v40, v17
	v_fmac_f32_e32 v39, 0xb2a5705f, v16
	v_sub_f32_e32 v17, v17, v40
	v_add_f32_e32 v17, v17, v39
	v_exp_f32_e32 v39, v17
	v_cvt_i32_f32_e32 v40, v40
	v_max_f32_e32 v17, v38, v38
	v_min_f32_e32 v17, v17, v37
	v_and_b32_e32 v17, 0xffff0000, v17
	v_ldexp_f32 v38, v39, v40
	v_mul_f32_e32 v39, 0xbfb8aa3b, v17
	v_fma_f32 v40, v17, s24, -v39
	v_rndne_f32_e32 v41, v39
	v_fmac_f32_e32 v40, 0xb2a5705f, v17
	v_sub_f32_e32 v39, v39, v41
	v_add_f32_e32 v39, v39, v40
	v_exp_f32_e32 v39, v39
	v_cvt_i32_f32_e32 v40, v41
	v_cmp_nlt_f32_e32 vcc, s10, v16
	v_med3_f32 v13, -s6, v13, s6
	v_ldexp_f32 v39, v39, v40
	v_cndmask_b32_e32 v38, 0, v38, vcc
	v_cmp_ngt_f32_e32 vcc, s11, v16
	v_lshlrev_b32_e32 v40, 16, v2
	v_and_b32_e32 v2, 0xffff0000, v2
	v_cndmask_b32_e32 v38, v1, v38, vcc
	v_cmp_nlt_f32_e32 vcc, s10, v17
	v_add_f32_e32 v38, 1.0, v38
	v_rcp_f32_e32 v38, v38
	v_cndmask_b32_e32 v39, 0, v39, vcc
	v_cmp_ngt_f32_e32 vcc, s11, v17
	v_med3_f32 v40, -s6, v40, s6
	s_nop 0
	v_cndmask_b32_e32 v39, v1, v39, vcc
	v_add_f32_e32 v39, 1.0, v39
	v_rcp_f32_e32 v39, v39
	s_nop 0
	v_pk_mul_f32 v[16:17], v[38:39], v[16:17]
	s_nop 0
	;;#ASMSTART
	v_pk_mul_f32 v[12:13], v[16:17], v[12:13]
	;;#ASMEND
	s_waitcnt vmcnt(0)
	v_and_b32_e32 v17, 0xffff0000, v6
	v_lshlrev_b32_e32 v6, 16, v6
	v_max_f32_e32 v6, v6, v6
	v_min_f32_e32 v6, v6, v37
	v_and_b32_e32 v16, 0xffff0000, v6
	v_mul_f32_e32 v6, 0xbfb8aa3b, v16
	v_fma_f32 v38, v16, s24, -v6
	v_rndne_f32_e32 v39, v6
	v_fmac_f32_e32 v38, 0xb2a5705f, v16
	v_sub_f32_e32 v6, v6, v39
	v_add_f32_e32 v6, v6, v38
	v_exp_f32_e32 v6, v6
	v_cvt_i32_f32_e32 v38, v39
	v_max_f32_e32 v17, v17, v17
	v_min_f32_e32 v17, v17, v37
	v_and_b32_e32 v17, 0xffff0000, v17
	v_ldexp_f32 v6, v6, v38
	v_mul_f32_e32 v38, 0xbfb8aa3b, v17
	v_fma_f32 v39, v17, s24, -v38
	v_rndne_f32_e32 v41, v38
	v_fmac_f32_e32 v39, 0xb2a5705f, v17
	v_sub_f32_e32 v38, v38, v41
	v_add_f32_e32 v38, v38, v39
	v_cmp_nlt_f32_e32 vcc, s10, v16
	v_exp_f32_e32 v39, v38
	v_cvt_i32_f32_e32 v41, v41
	v_cndmask_b32_e32 v6, 0, v6, vcc
	v_cmp_ngt_f32_e32 vcc, s11, v16
	s_nop 1
	v_cndmask_b32_e32 v6, v1, v6, vcc
	v_add_f32_e32 v6, 1.0, v6
	v_rcp_f32_e32 v38, v6
	v_ldexp_f32 v6, v39, v41
	v_cmp_nlt_f32_e32 vcc, s10, v17
	v_med3_f32 v41, -s6, v2, s6
	v_lshlrev_b32_e32 v2, 16, v3
	v_cndmask_b32_e32 v6, 0, v6, vcc
	v_cmp_ngt_f32_e32 vcc, s11, v17
	v_and_b32_e32 v3, 0xffff0000, v3
	v_med3_f32 v2, -s6, v2, s6
	v_cndmask_b32_e32 v6, v1, v6, vcc
	v_add_f32_e32 v6, 1.0, v6
	v_rcp_f32_e32 v39, v6
	v_lshlrev_b32_e32 v6, 16, v7
	v_max_f32_e32 v6, v6, v6
	v_min_f32_e32 v6, v6, v37
	v_and_b32_e32 v6, 0xffff0000, v6
	v_pk_mul_f32 v[16:17], v[38:39], v[16:17]
	v_and_b32_e32 v38, 0xffff0000, v7
	v_mul_f32_e32 v7, 0xbfb8aa3b, v6
	;;#ASMSTART
	v_pk_mul_f32 v[16:17], v[16:17], v[40:41]
	;;#ASMEND
	v_fma_f32 v39, v6, s24, -v7
	v_rndne_f32_e32 v40, v7
	v_fmac_f32_e32 v39, 0xb2a5705f, v6
	v_sub_f32_e32 v7, v7, v40
	v_add_f32_e32 v7, v7, v39
	v_exp_f32_e32 v39, v7
	v_cvt_i32_f32_e32 v40, v40
	v_max_f32_e32 v7, v38, v38
	v_min_f32_e32 v7, v7, v37
	v_and_b32_e32 v7, 0xffff0000, v7
	v_ldexp_f32 v38, v39, v40
	v_mul_f32_e32 v39, 0xbfb8aa3b, v7
	v_fma_f32 v40, v7, s24, -v39
	v_rndne_f32_e32 v41, v39
	v_fmac_f32_e32 v40, 0xb2a5705f, v7
	v_sub_f32_e32 v39, v39, v41
	v_add_f32_e32 v39, v39, v40
	v_exp_f32_e32 v39, v39
	v_cvt_i32_f32_e32 v40, v41
	v_cmp_nlt_f32_e32 vcc, s10, v6
	v_med3_f32 v3, -s6, v3, s6
	v_ldexp_f32 v39, v39, v40
	v_cndmask_b32_e32 v38, 0, v38, vcc
	v_cmp_ngt_f32_e32 vcc, s11, v6
	v_lshlrev_b32_e32 v40, 16, v4
	v_and_b32_e32 v4, 0xffff0000, v4
	v_cndmask_b32_e32 v38, v1, v38, vcc
	v_cmp_nlt_f32_e32 vcc, s10, v7
	v_add_f32_e32 v38, 1.0, v38
	v_rcp_f32_e32 v38, v38
	v_cndmask_b32_e32 v39, 0, v39, vcc
	v_cmp_ngt_f32_e32 vcc, s11, v7
	v_med3_f32 v40, -s6, v40, s6
	s_nop 0
	v_cndmask_b32_e32 v39, v1, v39, vcc
	v_add_f32_e32 v39, 1.0, v39
	v_rcp_f32_e32 v39, v39
	s_nop 0
	v_pk_mul_f32 v[6:7], v[38:39], v[6:7]
	s_nop 0
	;;#ASMSTART
	v_pk_mul_f32 v[2:3], v[6:7], v[2:3]
	;;#ASMEND
	v_lshlrev_b32_e32 v6, 16, v8
	v_max_f32_e32 v6, v6, v6
	v_min_f32_e32 v6, v6, v37
	v_and_b32_e32 v6, 0xffff0000, v6
	v_and_b32_e32 v7, 0xffff0000, v8
	v_mul_f32_e32 v8, 0xbfb8aa3b, v6
	v_fma_f32 v38, v6, s24, -v8
	v_rndne_f32_e32 v39, v8
	v_fmac_f32_e32 v38, 0xb2a5705f, v6
	v_sub_f32_e32 v8, v8, v39
	v_add_f32_e32 v8, v8, v38
	v_exp_f32_e32 v8, v8
	v_cvt_i32_f32_e32 v38, v39
	v_max_f32_e32 v7, v7, v7
	v_min_f32_e32 v7, v7, v37
	v_and_b32_e32 v7, 0xffff0000, v7
	v_ldexp_f32 v8, v8, v38
	v_mul_f32_e32 v38, 0xbfb8aa3b, v7
	v_fma_f32 v39, v7, s24, -v38
	v_rndne_f32_e32 v41, v38
	v_fmac_f32_e32 v39, 0xb2a5705f, v7
	v_sub_f32_e32 v38, v38, v41
	v_add_f32_e32 v38, v38, v39
	v_cmp_nlt_f32_e32 vcc, s10, v6
	v_exp_f32_e32 v39, v38
	v_cvt_i32_f32_e32 v41, v41
	v_cndmask_b32_e32 v8, 0, v8, vcc
	v_cmp_ngt_f32_e32 vcc, s11, v6
	s_nop 1
	v_cndmask_b32_e32 v8, v1, v8, vcc
	v_add_f32_e32 v8, 1.0, v8
	v_rcp_f32_e32 v38, v8
	v_ldexp_f32 v8, v39, v41
	v_cmp_nlt_f32_e32 vcc, s10, v7
	v_med3_f32 v41, -s6, v4, s6
	v_lshlrev_b32_e32 v4, 16, v5
	v_cndmask_b32_e32 v8, 0, v8, vcc
	v_cmp_ngt_f32_e32 vcc, s11, v7
	v_med3_f32 v4, -s6, v4, s6
	s_nop 0
	v_cndmask_b32_e32 v8, v1, v8, vcc
	v_add_f32_e32 v8, 1.0, v8
	v_rcp_f32_e32 v39, v8
	v_lshlrev_b32_e32 v8, 16, v9
	v_max_f32_e32 v8, v8, v8
	v_min_f32_e32 v8, v8, v37
	v_and_b32_e32 v8, 0xffff0000, v8
	v_pk_mul_f32 v[6:7], v[38:39], v[6:7]
	v_and_b32_e32 v38, 0xffff0000, v9
	v_mul_f32_e32 v9, 0xbfb8aa3b, v8
	;;#ASMSTART
	v_pk_mul_f32 v[6:7], v[6:7], v[40:41]
	;;#ASMEND
	v_fma_f32 v39, v8, s24, -v9
	v_rndne_f32_e32 v40, v9
	v_fmac_f32_e32 v39, 0xb2a5705f, v8
	v_sub_f32_e32 v9, v9, v40
	v_add_f32_e32 v9, v9, v39
	v_exp_f32_e32 v39, v9
	v_cvt_i32_f32_e32 v40, v40
	v_max_f32_e32 v9, v38, v38
	v_min_f32_e32 v9, v9, v37
	v_and_b32_e32 v9, 0xffff0000, v9
	v_mul_f32_e32 v38, 0xbfb8aa3b, v9
	v_ldexp_f32 v37, v39, v40
	v_fma_f32 v39, v9, s24, -v38
	v_rndne_f32_e32 v40, v38
	v_fmac_f32_e32 v39, 0xb2a5705f, v9
	v_sub_f32_e32 v38, v38, v40
	v_add_f32_e32 v38, v38, v39
	v_cmp_nlt_f32_e32 vcc, s10, v8
	v_exp_f32_e32 v39, v38
	v_cvt_i32_f32_e32 v40, v40
	v_cndmask_b32_e32 v37, 0, v37, vcc
	v_cmp_ngt_f32_e32 vcc, s11, v8
	s_nop 1
	v_cndmask_b32_e32 v37, v1, v37, vcc
	v_add_f32_e32 v37, 1.0, v37
	v_rcp_f32_e32 v38, v37
	v_ldexp_f32 v37, v39, v40
	v_cmp_nlt_f32_e32 vcc, s10, v9
	s_nop 1
	v_cndmask_b32_e32 v37, 0, v37, vcc
	v_cmp_ngt_f32_e32 vcc, s11, v9
	s_nop 1
	v_cndmask_b32_e32 v1, v1, v37, vcc
	v_add_f32_e32 v1, 1.0, v1
	v_rcp_f32_e32 v39, v1
	v_and_b32_e32 v1, 0xffff0000, v5
	v_med3_f32 v5, -s6, v1, s6
	v_and_b32_e32 v1, 0x7fffffff, v30
	v_pk_mul_f32 v[8:9], v[38:39], v[8:9]
	s_ashr_i32 s6, s5, 31
	;;#ASMSTART
	v_pk_mul_f32 v[4:5], v[8:9], v[4:5]
	;;#ASMEND
	v_and_b32_e32 v8, 0x7fffffff, v31
	v_mov_b32_e32 v9, 0x2edbe6ff
	;;#ASMSTART
	v_max3_f32 v1, v9, v1, v8

	;;#ASMEND
	v_and_b32_e32 v8, 0x7fffffff, v26
	v_and_b32_e32 v9, 0x7fffffff, v27
	;;#ASMSTART
	v_max3_f32 v1, v1, v8, v9

	;;#ASMEND
	v_and_b32_e32 v8, 0x7fffffff, v34
	v_and_b32_e32 v9, 0x7fffffff, v35
	;; [unrolled: 6-line block ×11, first 2 shown]
	;;#ASMSTART
	v_max3_f32 v1, v1, v8, v9

	;;#ASMEND
	s_lshr_b32 s6, s6, 27
	v_and_b32_e32 v8, 0x7fffffff, v16
	v_and_b32_e32 v9, 0x7fffffff, v17
	;;#ASMSTART
	v_max3_f32 v1, v1, v8, v9

	;;#ASMEND
	s_add_i32 s6, s5, s6
	v_and_b32_e32 v8, 0x7fffffff, v2
	v_and_b32_e32 v9, 0x7fffffff, v3
	;;#ASMSTART
	v_max3_f32 v1, v1, v8, v9

	;;#ASMEND
	s_ashr_i32 s6, s6, 5
	v_and_b32_e32 v8, 0x7fffffff, v6
	v_and_b32_e32 v9, 0x7fffffff, v7
	;;#ASMSTART
	v_max3_f32 v1, v1, v8, v9

	;;#ASMEND
	s_cmp_lt_i32 s6, 16
	v_and_b32_e32 v8, 0x7fffffff, v4
	v_and_b32_e32 v9, 0x7fffffff, v5
	;;#ASMSTART
	v_max3_f32 v1, v1, v8, v9

	;;#ASMEND
	s_cbranch_scc1 .LBB528_7
; %bb.2:
	s_cmp_lt_i32 s6, 32
	s_cbranch_scc1 .LBB528_8
; %bb.3:
	s_cmp_lt_i32 s6, 64
	s_cbranch_scc1 .LBB528_9
; %bb.4:
	s_cmp_eq_u32 s6, 64
	v_mov_b32_e32 v8, v1
	s_cbranch_scc0 .LBB528_6
; %bb.5:
	s_nop 0
	v_mov_b32_dpp v8, v1 quad_perm:[1,0,3,2] row_mask:0xf bank_mask:0xf
	v_cmp_gt_f32_e32 vcc, v1, v8
	v_bfrev_b32_e32 v37, 0.5
	s_nop 0
	v_cndmask_b32_e32 v8, v8, v1, vcc
	s_nop 1
	v_mov_b32_dpp v9, v8 quad_perm:[2,3,0,1] row_mask:0xf bank_mask:0xf
	v_cmp_gt_f32_e32 vcc, v8, v9
	s_nop 1
	v_cndmask_b32_e32 v8, v9, v8, vcc
	s_nop 1
	v_mov_b32_dpp v9, v8 row_ror:4 row_mask:0xf bank_mask:0xf
	v_cmp_gt_f32_e32 vcc, v8, v9
	s_nop 1
	v_cndmask_b32_e32 v8, v9, v8, vcc
	s_nop 1
	v_mov_b32_dpp v9, v8 row_ror:8 row_mask:0xf bank_mask:0xf
	v_cmp_gt_f32_e32 vcc, v8, v9
	s_nop 1
	v_cndmask_b32_e32 v8, v9, v8, vcc
	s_nop 1
	v_mov_b32_dpp v9, v8 row_bcast:15 row_mask:0xf bank_mask:0xf
	v_cmp_gt_f32_e32 vcc, v8, v9
	s_nop 1
	v_cndmask_b32_e32 v8, v9, v8, vcc
	s_nop 1
	v_mov_b32_dpp v9, v8 row_bcast:31 row_mask:0xf bank_mask:0xf
	v_cmp_gt_f32_e32 vcc, v8, v9
	s_nop 1
	v_cndmask_b32_e32 v8, v9, v8, vcc
	v_mbcnt_lo_u32_b32 v9, -1, 0
	v_mbcnt_hi_u32_b32 v9, -1, v9
	v_lshl_or_b32 v9, v9, 2, v37
	ds_bpermute_b32 v8, v9, v8
.LBB528_6:
	s_cbranch_execz .LBB528_10
	s_branch .LBB528_12
.LBB528_7:
                                        ; implicit-def: $vgpr8
	s_branch .LBB528_16
.LBB528_8:
                                        ; implicit-def: $vgpr8
	s_branch .LBB528_13
.LBB528_9:
                                        ; implicit-def: $vgpr8
.LBB528_10:
	s_cmp_eq_u32 s6, 32
	s_waitcnt lgkmcnt(0)
	v_mov_b32_e32 v8, v1
	s_cbranch_scc0 .LBB528_12
; %bb.11:
	s_nop 0
	v_mov_b32_dpp v8, v1 quad_perm:[1,0,3,2] row_mask:0xf bank_mask:0xf
	v_cmp_gt_f32_e32 vcc, v1, v8
	v_mov_b32_e32 v37, 0x7c
	s_nop 0
	v_cndmask_b32_e32 v8, v8, v1, vcc
	s_nop 1
	v_mov_b32_dpp v9, v8 quad_perm:[2,3,0,1] row_mask:0xf bank_mask:0xf
	v_cmp_gt_f32_e32 vcc, v8, v9
	s_nop 1
	v_cndmask_b32_e32 v8, v9, v8, vcc
	s_nop 1
	v_mov_b32_dpp v9, v8 row_half_mirror row_mask:0xf bank_mask:0xf
	v_cmp_gt_f32_e32 vcc, v8, v9
	s_nop 1
	v_cndmask_b32_e32 v8, v9, v8, vcc
	s_nop 1
	v_mov_b32_dpp v9, v8 row_mirror row_mask:0xf bank_mask:0xf
	v_cmp_gt_f32_e32 vcc, v8, v9
	s_nop 1
	v_cndmask_b32_e32 v8, v9, v8, vcc
	s_nop 1
	v_mov_b32_dpp v9, v8 row_bcast:15 row_mask:0xa bank_mask:0xf
	v_cmp_gt_f32_e32 vcc, v8, v9
	s_nop 1
	v_cndmask_b32_e32 v8, v9, v8, vcc
	v_mbcnt_lo_u32_b32 v9, -1, 0
	v_mbcnt_hi_u32_b32 v9, -1, v9
	v_lshl_or_b32 v9, v9, 2, v37
	ds_bpermute_b32 v8, v9, v8
.LBB528_12:
	s_cbranch_execnz .LBB528_15
.LBB528_13:
	s_cmp_eq_u32 s6, 16
	s_waitcnt lgkmcnt(0)
	v_mov_b32_e32 v8, v1
	s_cbranch_scc0 .LBB528_15
; %bb.14:
	s_nop 0
	v_mov_b32_dpp v8, v1 quad_perm:[1,0,3,2] row_mask:0xf bank_mask:0xf
	v_cmp_gt_f32_e32 vcc, v1, v8
	s_nop 1
	v_cndmask_b32_e32 v8, v8, v1, vcc
	s_nop 1
	v_mov_b32_dpp v9, v8 quad_perm:[2,3,0,1] row_mask:0xf bank_mask:0xf
	v_cmp_gt_f32_e32 vcc, v8, v9
	s_nop 1
	v_cndmask_b32_e32 v8, v9, v8, vcc
	s_nop 1
	v_mov_b32_dpp v9, v8 row_half_mirror row_mask:0xf bank_mask:0xf
	v_cmp_gt_f32_e32 vcc, v8, v9
	s_nop 1
	v_cndmask_b32_e32 v8, v9, v8, vcc
	s_nop 1
	v_mov_b32_dpp v9, v8 row_mirror row_mask:0xf bank_mask:0xf
	v_cmp_gt_f32_e32 vcc, v8, v9
	s_nop 1
	v_cndmask_b32_e32 v8, v9, v8, vcc
.LBB528_15:
	s_cbranch_execnz .LBB528_29
.LBB528_16:
	s_cmp_lt_i32 s6, 4
	s_cbranch_scc1 .LBB528_20
; %bb.17:
	s_cmp_lt_i32 s6, 8
	s_cbranch_scc1 .LBB528_21
; %bb.18:
	s_cmp_eq_u32 s6, 8
	s_waitcnt lgkmcnt(0)
	v_mov_b32_e32 v8, v1
	s_cbranch_scc0 .LBB528_22
; %bb.19:
	s_nop 0
	v_mov_b32_dpp v8, v1 quad_perm:[1,0,3,2] row_mask:0xf bank_mask:0xf
	v_cmp_gt_f32_e32 vcc, v1, v8
	s_nop 1
	v_cndmask_b32_e32 v8, v8, v1, vcc
	s_nop 1
	v_mov_b32_dpp v9, v8 quad_perm:[2,3,0,1] row_mask:0xf bank_mask:0xf
	v_cmp_gt_f32_e32 vcc, v8, v9
	s_nop 1
	v_cndmask_b32_e32 v8, v9, v8, vcc
	s_nop 1
	v_mov_b32_dpp v9, v8 row_half_mirror row_mask:0xf bank_mask:0xf
	v_cmp_gt_f32_e32 vcc, v8, v9
	s_nop 1
	v_cndmask_b32_e32 v8, v9, v8, vcc
	s_cbranch_execz .LBB528_23
	s_branch .LBB528_25
.LBB528_20:
                                        ; implicit-def: $vgpr8
	s_branch .LBB528_26
.LBB528_21:
                                        ; implicit-def: $vgpr8
	s_branch .LBB528_23
.LBB528_22:
	s_cbranch_execnz .LBB528_25
.LBB528_23:
	s_cmp_eq_u32 s6, 4
	s_waitcnt lgkmcnt(0)
	v_mov_b32_e32 v8, v1
	s_cbranch_scc0 .LBB528_25
; %bb.24:
	s_nop 0
	v_mov_b32_dpp v8, v1 quad_perm:[1,0,3,2] row_mask:0xf bank_mask:0xf
	v_cmp_gt_f32_e32 vcc, v1, v8
	s_nop 1
	v_cndmask_b32_e32 v8, v8, v1, vcc
	s_nop 1
	v_mov_b32_dpp v9, v8 quad_perm:[2,3,0,1] row_mask:0xf bank_mask:0xf
	v_cmp_gt_f32_e32 vcc, v8, v9
	s_nop 1
	v_cndmask_b32_e32 v8, v9, v8, vcc
.LBB528_25:
	s_cbranch_execnz .LBB528_29
.LBB528_26:
	s_cmp_lg_u32 s6, 2
	s_cbranch_scc1 .LBB528_28
; %bb.27:
	s_waitcnt lgkmcnt(0)
	v_mov_b32_dpp v8, v1 quad_perm:[1,0,3,2] row_mask:0xf bank_mask:0xf
	v_cmp_gt_f32_e32 vcc, v1, v8
	s_nop 1
	v_cndmask_b32_e32 v1, v8, v1, vcc
.LBB528_28:
	s_waitcnt lgkmcnt(0)
	v_mov_b32_e32 v8, v1
.LBB528_29:
	s_abs_i32 s10, s6
	v_cvt_f32_u32_e32 v1, s10
	s_sub_i32 s12, 0, s10
	s_waitcnt lgkmcnt(0)
	v_mul_f32_e32 v37, 0x3b888889, v8
	s_ashr_i32 s11, s6, 31
	v_rcp_iflag_f32_e32 v1, v1
	s_nop 0
	v_mul_f32_e32 v1, 0x4f7ffffe, v1
	v_cvt_u32_f32_e32 v1, v1
	v_mul_lo_u32 v8, s12, v1
	v_mul_hi_u32 v8, v1, v8
	v_add_u32_e32 v1, v1, v8
	v_mul_hi_u32 v1, v0, v1
	v_mul_lo_u32 v8, v1, s10
	v_sub_u32_e32 v8, v0, v8
	v_add_u32_e32 v9, 1, v1
	v_cmp_le_u32_e32 vcc, s10, v8
	s_nop 1
	v_cndmask_b32_e32 v1, v1, v9, vcc
	v_subrev_u32_e32 v9, s10, v8
	v_cndmask_b32_e32 v8, v8, v9, vcc
	v_add_u32_e32 v9, 1, v1
	v_cmp_le_u32_e32 vcc, s10, v8
	s_nop 1
	v_cndmask_b32_e32 v1, v1, v9, vcc
	v_xor_b32_e32 v1, s11, v1
	v_subrev_u32_e32 v8, s11, v1
	v_mul_lo_u32 v1, v8, s6
	v_sub_u32_e32 v0, v0, v1
	v_cmp_eq_u32_e32 vcc, 0, v0
	s_and_saveexec_b64 s[10:11], vcc
	s_cbranch_execz .LBB528_35
; %bb.30:
	s_bitcmp0_b32 s7, 0
	s_cbranch_scc0 .LBB528_32
; %bb.31:
	s_abs_i32 s6, s5
	v_cvt_f32_u32_e32 v0, s6
	s_sub_i32 s12, 0, s6
	s_abs_i32 s7, s20
	s_xor_b32 s5, s20, s5
	v_rcp_iflag_f32_e32 v0, v0
	s_ashr_i32 s5, s5, 31
	v_ashrrev_i32_e32 v9, 31, v8
	v_mov_b32_e32 v1, s2
	v_mul_f32_e32 v0, 0x4f7ffffe, v0
	v_cvt_u32_f32_e32 v0, v0
	s_nop 0
	v_readfirstlane_b32 s13, v0
	s_mul_i32 s12, s12, s13
	s_mul_hi_u32 s12, s13, s12
	s_add_i32 s13, s13, s12
	s_mul_hi_u32 s12, s7, s13
	s_mul_i32 s13, s12, s6
	s_sub_i32 s7, s7, s13
	s_add_i32 s14, s12, 1
	s_sub_i32 s13, s7, s6
	s_cmp_ge_u32 s7, s6
	s_cselect_b32 s12, s14, s12
	s_cselect_b32 s7, s13, s7
	s_add_i32 s13, s12, 1
	s_cmp_ge_u32 s7, s6
	s_cselect_b32 s6, s13, s12
	s_xor_b32 s6, s6, s5
	s_sub_i32 s5, s6, s5
	s_ashr_i32 s6, s5, 31
	s_mul_i32 s12, s6, s2
	v_mad_u64_u32 v[0:1], s[6:7], s5, v1, v[8:9]
	v_add_u32_e32 v1, s12, v1
	s_cbranch_execz .LBB528_33
	s_branch .LBB528_34
.LBB528_32:
                                        ; implicit-def: $vgpr0_vgpr1
.LBB528_33:
	s_load_dword s0, s[0:1], 0x28
	v_mov_b32_e32 v1, 0
	s_waitcnt lgkmcnt(0)
	v_mul_lo_u32 v0, s0, v8
	v_lshl_add_u64 v[0:1], v[0:1], 0, s[2:3]
.LBB528_34:
	v_lshl_add_u64 v[0:1], v[0:1], 2, s[22:23]
	global_store_dword v[0:1], v37, off
.LBB528_35:
	s_or_b64 exec, exec, s[10:11]
	s_add_i32 s0, s4, 3
	s_ashr_i32 s1, s0, 31
	s_lshr_b32 s1, s1, 30
	s_add_i32 s0, s0, s1
	s_and_b32 s6, s0, -4
	s_mul_i32 s0, s21, s2
	s_mul_hi_u32 s1, s20, s2
	s_add_i32 s1, s1, s0
	s_mul_i32 s0, s20, s2
	;;#ASMSTART
	v_rcp_f32 v0, v37
	;;#ASMEND
	s_add_u32 s4, s8, s0
	v_mov_b32_e32 v1, v0
	;;#ASMSTART
	v_pk_mul_f32 v[8:9], v[30:31], v[0:1]
	;;#ASMEND
	v_mov_b32_e32 v30, 0xc3700000
	v_mov_b32_e32 v31, 0x43700000
	;;#ASMSTART
	v_med3_f32 v8, v8, v30, v31
v_med3_f32 v9, v9, v30, v31
v_cvt_pk_fp8_f32 v37, v8, v9
	;;#ASMEND
	s_addc_u32 s0, s9, s1
	;;#ASMSTART
	v_pk_mul_f32 v[8:9], v[26:27], v[0:1]
	;;#ASMEND
	s_and_b32 s5, s0, 0xffff
	;;#ASMSTART
	v_med3_f32 v8, v8, v30, v31
v_med3_f32 v9, v9, v30, v31
v_cvt_pk_fp8_f32 v26, v8, v9
	;;#ASMEND
	s_mov_b32 s0, 0x5040100
	v_perm_b32 v8, v26, v37, s0
	s_mov_b32 s1, 0x1060504
	v_perm_b32 v26, v8, v26, s1
	;;#ASMSTART
	v_pk_mul_f32 v[8:9], v[34:35], v[0:1]
	;;#ASMEND
	s_mov_b32 s2, 0x1000504
	;;#ASMSTART
	v_med3_f32 v8, v8, v30, v31
v_med3_f32 v9, v9, v30, v31
v_cvt_pk_fp8_f32 v27, v8, v9
	;;#ASMEND
	s_mov_b32 s7, 0x20000
	;;#ASMSTART
	v_pk_mul_f32 v[8:9], v[28:29], v[0:1]
	;;#ASMEND
	s_nop 0
	;;#ASMSTART
	v_med3_f32 v8, v8, v30, v31
v_med3_f32 v9, v9, v30, v31
v_cvt_pk_fp8_f32 v28, v8, v9
	;;#ASMEND
	s_nop 0
	;;#ASMSTART
	v_pk_mul_f32 v[8:9], v[32:33], v[0:1]
	;;#ASMEND
	v_perm_b32 v27, v27, v28, s2
	;;#ASMSTART
	v_med3_f32 v8, v8, v30, v31
v_med3_f32 v9, v9, v30, v31
v_cvt_pk_fp8_f32 v28, v8, v9
	;;#ASMEND
	s_nop 0
	;;#ASMSTART
	v_pk_mul_f32 v[8:9], v[18:19], v[0:1]
	;;#ASMEND
	s_nop 0
	;;#ASMSTART
	v_med3_f32 v8, v8, v30, v31
v_med3_f32 v9, v9, v30, v31
v_cvt_pk_fp8_f32 v18, v8, v9
	;;#ASMEND
	s_nop 0
	;;#ASMSTART
	v_pk_mul_f32 v[8:9], v[22:23], v[0:1]
	;;#ASMEND
	v_perm_b32 v28, v28, v18, s2
	;;#ASMSTART
	v_med3_f32 v8, v8, v30, v31
v_med3_f32 v9, v9, v30, v31
v_cvt_pk_fp8_f32 v18, v8, v9
	;;#ASMEND
	s_nop 0
	;;#ASMSTART
	v_pk_mul_f32 v[8:9], v[20:21], v[0:1]
	;;#ASMEND
	s_nop 0
	;;#ASMSTART
	v_med3_f32 v8, v8, v30, v31
v_med3_f32 v9, v9, v30, v31
v_cvt_pk_fp8_f32 v19, v8, v9
	;;#ASMEND
	s_nop 0
	v_perm_b32 v29, v18, v19, s2
	buffer_store_dwordx4 v[26:29], v36, s[4:7], 0 offen
	;;#ASMSTART
	s_nop 0
	;;#ASMEND
	;;#ASMSTART
	v_pk_mul_f32 v[8:9], v[24:25], v[0:1]
	;;#ASMEND
	s_nop 0
	;;#ASMSTART
	v_med3_f32 v8, v8, v30, v31
v_med3_f32 v9, v9, v30, v31
v_cvt_pk_fp8_f32 v18, v8, v9
	;;#ASMEND
	s_nop 0
	;;#ASMSTART
	v_pk_mul_f32 v[8:9], v[10:11], v[0:1]
	;;#ASMEND
	s_nop 0
	;;#ASMSTART
	v_med3_f32 v8, v8, v30, v31
v_med3_f32 v9, v9, v30, v31
v_cvt_pk_fp8_f32 v10, v8, v9
	;;#ASMEND
	s_nop 0
	v_perm_b32 v8, v10, v18, s0
	v_perm_b32 v8, v8, v10, s1
	;;#ASMSTART
	v_pk_mul_f32 v[10:11], v[14:15], v[0:1]
	;;#ASMEND
	s_nop 0
	v_mov_b32_e32 v9, v11
	;;#ASMSTART
	v_med3_f32 v10, v10, v30, v31
v_med3_f32 v9, v9, v30, v31
v_cvt_pk_fp8_f32 v14, v10, v9
	;;#ASMEND
	s_nop 0
	;;#ASMSTART
	v_pk_mul_f32 v[10:11], v[12:13], v[0:1]
	;;#ASMEND
	s_nop 0
	v_mov_b32_e32 v9, v11
	;;#ASMSTART
	v_med3_f32 v10, v10, v30, v31
v_med3_f32 v9, v9, v30, v31
v_cvt_pk_fp8_f32 v11, v10, v9
	;;#ASMEND
	s_nop 0
	v_perm_b32 v9, v14, v11, s2
	;;#ASMSTART
	v_pk_mul_f32 v[10:11], v[16:17], v[0:1]
	;;#ASMEND
	s_nop 0
	;;#ASMSTART
	v_med3_f32 v10, v10, v30, v31
v_med3_f32 v11, v11, v30, v31
v_cvt_pk_fp8_f32 v12, v10, v11
	;;#ASMEND
	;;#ASMSTART
	v_pk_mul_f32 v[2:3], v[2:3], v[0:1]
	;;#ASMEND
	s_nop 0
	;;#ASMSTART
	v_med3_f32 v2, v2, v30, v31
v_med3_f32 v3, v3, v30, v31
v_cvt_pk_fp8_f32 v10, v2, v3
	;;#ASMEND
	s_nop 0
	;;#ASMSTART
	v_pk_mul_f32 v[2:3], v[6:7], v[0:1]
	;;#ASMEND
	v_perm_b32 v10, v12, v10, s2
	;;#ASMSTART
	v_med3_f32 v2, v2, v30, v31
v_med3_f32 v3, v3, v30, v31
v_cvt_pk_fp8_f32 v6, v2, v3
	;;#ASMEND
	;;#ASMSTART
	v_pk_mul_f32 v[0:1], v[4:5], v[0:1]
	;;#ASMEND
	s_nop 0
	;;#ASMSTART
	v_med3_f32 v0, v0, v30, v31
v_med3_f32 v1, v1, v30, v31
v_cvt_pk_fp8_f32 v2, v0, v1
	;;#ASMEND
	s_nop 0
	v_perm_b32 v11, v6, v2, s2
	buffer_store_dwordx4 v[8:11], v36, s[4:7], 16 offen
	;;#ASMSTART
	s_nop 0
	;;#ASMEND
.LBB528_36:
	s_endpgm
	.section	.rodata,"a",@progbits
	.p2align	6, 0x0
	.amdhsa_kernel _ZN5aiter24act_and_mul_quant_kernelItDB8_TnPFfRKT_EXadL_ZNS_11silu_kernelItEEfS4_EELi256ELi32ELb1EEEvPT0_PS3_Pfiifb
		.amdhsa_group_segment_fixed_size 0
		.amdhsa_private_segment_fixed_size 0
		.amdhsa_kernarg_size 296
		.amdhsa_user_sgpr_count 2
		.amdhsa_user_sgpr_dispatch_ptr 0
		.amdhsa_user_sgpr_queue_ptr 0
		.amdhsa_user_sgpr_kernarg_segment_ptr 1
		.amdhsa_user_sgpr_dispatch_id 0
		.amdhsa_user_sgpr_kernarg_preload_length 0
		.amdhsa_user_sgpr_kernarg_preload_offset 0
		.amdhsa_user_sgpr_private_segment_size 0
		.amdhsa_uses_dynamic_stack 0
		.amdhsa_enable_private_segment 0
		.amdhsa_system_sgpr_workgroup_id_x 1
		.amdhsa_system_sgpr_workgroup_id_y 0
		.amdhsa_system_sgpr_workgroup_id_z 0
		.amdhsa_system_sgpr_workgroup_info 0
		.amdhsa_system_vgpr_workitem_id 0
		.amdhsa_next_free_vgpr 52
		.amdhsa_next_free_sgpr 25
		.amdhsa_accum_offset 52
		.amdhsa_reserve_vcc 1
		.amdhsa_float_round_mode_32 0
		.amdhsa_float_round_mode_16_64 0
		.amdhsa_float_denorm_mode_32 3
		.amdhsa_float_denorm_mode_16_64 3
		.amdhsa_dx10_clamp 1
		.amdhsa_ieee_mode 1
		.amdhsa_fp16_overflow 0
		.amdhsa_tg_split 0
		.amdhsa_exception_fp_ieee_invalid_op 0
		.amdhsa_exception_fp_denorm_src 0
		.amdhsa_exception_fp_ieee_div_zero 0
		.amdhsa_exception_fp_ieee_overflow 0
		.amdhsa_exception_fp_ieee_underflow 0
		.amdhsa_exception_fp_ieee_inexact 0
		.amdhsa_exception_int_div_zero 0
	.end_amdhsa_kernel
	.section	.text._ZN5aiter24act_and_mul_quant_kernelItDB8_TnPFfRKT_EXadL_ZNS_11silu_kernelItEEfS4_EELi256ELi32ELb1EEEvPT0_PS3_Pfiifb,"axG",@progbits,_ZN5aiter24act_and_mul_quant_kernelItDB8_TnPFfRKT_EXadL_ZNS_11silu_kernelItEEfS4_EELi256ELi32ELb1EEEvPT0_PS3_Pfiifb,comdat
.Lfunc_end528:
	.size	_ZN5aiter24act_and_mul_quant_kernelItDB8_TnPFfRKT_EXadL_ZNS_11silu_kernelItEEfS4_EELi256ELi32ELb1EEEvPT0_PS3_Pfiifb, .Lfunc_end528-_ZN5aiter24act_and_mul_quant_kernelItDB8_TnPFfRKT_EXadL_ZNS_11silu_kernelItEEfS4_EELi256ELi32ELb1EEEvPT0_PS3_Pfiifb
                                        ; -- End function
	.section	.AMDGPU.csdata,"",@progbits
; Kernel info:
; codeLenInByte = 6612
; NumSgprs: 31
; NumVgprs: 52
; NumAgprs: 0
; TotalNumVgprs: 52
; ScratchSize: 0
; MemoryBound: 0
; FloatMode: 240
; IeeeMode: 1
; LDSByteSize: 0 bytes/workgroup (compile time only)
; SGPRBlocks: 3
; VGPRBlocks: 6
; NumSGPRsForWavesPerEU: 31
; NumVGPRsForWavesPerEU: 52
; AccumOffset: 52
; Occupancy: 8
; WaveLimiterHint : 0
; COMPUTE_PGM_RSRC2:SCRATCH_EN: 0
; COMPUTE_PGM_RSRC2:USER_SGPR: 2
; COMPUTE_PGM_RSRC2:TRAP_HANDLER: 0
; COMPUTE_PGM_RSRC2:TGID_X_EN: 1
; COMPUTE_PGM_RSRC2:TGID_Y_EN: 0
; COMPUTE_PGM_RSRC2:TGID_Z_EN: 0
; COMPUTE_PGM_RSRC2:TIDIG_COMP_CNT: 0
; COMPUTE_PGM_RSRC3_GFX90A:ACCUM_OFFSET: 12
; COMPUTE_PGM_RSRC3_GFX90A:TG_SPLIT: 0
	.section	.text._ZN5aiter24act_and_mul_quant_kernelIDF16_DB8_TnPFfRKT_EXadL_ZNS_11silu_kernelIDF16_EEfS4_EELi64ELi8ELb0EEEvPT0_PS3_Pfiifb,"axG",@progbits,_ZN5aiter24act_and_mul_quant_kernelIDF16_DB8_TnPFfRKT_EXadL_ZNS_11silu_kernelIDF16_EEfS4_EELi64ELi8ELb0EEEvPT0_PS3_Pfiifb,comdat
	.protected	_ZN5aiter24act_and_mul_quant_kernelIDF16_DB8_TnPFfRKT_EXadL_ZNS_11silu_kernelIDF16_EEfS4_EELi64ELi8ELb0EEEvPT0_PS3_Pfiifb ; -- Begin function _ZN5aiter24act_and_mul_quant_kernelIDF16_DB8_TnPFfRKT_EXadL_ZNS_11silu_kernelIDF16_EEfS4_EELi64ELi8ELb0EEEvPT0_PS3_Pfiifb
	.globl	_ZN5aiter24act_and_mul_quant_kernelIDF16_DB8_TnPFfRKT_EXadL_ZNS_11silu_kernelIDF16_EEfS4_EELi64ELi8ELb0EEEvPT0_PS3_Pfiifb
	.p2align	8
	.type	_ZN5aiter24act_and_mul_quant_kernelIDF16_DB8_TnPFfRKT_EXadL_ZNS_11silu_kernelIDF16_EEfS4_EELi64ELi8ELb0EEEvPT0_PS3_Pfiifb,@function
_ZN5aiter24act_and_mul_quant_kernelIDF16_DB8_TnPFfRKT_EXadL_ZNS_11silu_kernelIDF16_EEfS4_EELi64ELi8ELb0EEEvPT0_PS3_Pfiifb: ; @_ZN5aiter24act_and_mul_quant_kernelIDF16_DB8_TnPFfRKT_EXadL_ZNS_11silu_kernelIDF16_EEfS4_EELi64ELi8ELb0EEEvPT0_PS3_Pfiifb
; %bb.0:
	s_load_dwordx2 s[8:9], s[0:1], 0x18
	v_lshlrev_b32_e32 v18, 3, v0
	s_waitcnt lgkmcnt(0)
	v_cmp_gt_i32_e32 vcc, s8, v18
	s_and_saveexec_b64 s[4:5], vcc
	s_cbranch_execz .LBB529_36
; %bb.1:
	s_load_dwordx4 s[4:7], s[0:1], 0x0
	s_load_dwordx2 s[12:13], s[0:1], 0x10
	s_ashr_i32 s11, s8, 31
	s_mul_hi_u32 s3, s2, s8
	s_mul_i32 s14, s2, s11
	s_add_i32 s15, s3, s14
	s_mul_i32 s14, s2, s8
	s_lshl_b64 s[14:15], s[14:15], 2
	s_mov_b32 s10, s8
	s_waitcnt lgkmcnt(0)
	s_add_u32 s16, s6, s14
	s_addc_u32 s3, s7, s15
	s_lshl_b64 s[6:7], s[10:11], 1
	s_add_u32 s20, s16, s6
	s_addc_u32 s6, s3, s7
	s_lshl_b32 s7, s8, 1
	s_add_i32 s7, s7, 2
	s_and_b32 s22, s7, -4
	s_mov_b32 s23, 0x20000
	s_and_b32 s21, s6, 0xffff
	s_and_b32 s17, s3, 0xffff
	s_mov_b32 s18, s22
	v_lshlrev_b32_e32 v1, 4, v0
	s_mov_b32 s19, s23
	buffer_load_dwordx4 v[2:5], v1, s[20:23], 0 offen sc0 nt
	buffer_load_dwordx4 v[6:9], v1, s[16:19], 0 offen sc0 nt
	s_mov_b32 s7, 0xbfb8aa3b
	s_mov_b32 s15, 0xb2a5705f
	;; [unrolled: 1-line block ×4, first 2 shown]
	v_mov_b32_e32 v1, 0x7f800000
	s_mov_b32 s3, 0
	s_waitcnt vmcnt(1)
	v_cvt_f32_f16_e32 v10, v4
	s_waitcnt vmcnt(0)
	v_cvt_f32_f16_e32 v16, v6
	v_cvt_f32_f16_sdwa v17, v6 dst_sel:DWORD dst_unused:UNUSED_PAD src0_sel:WORD_1
	v_cvt_f32_f16_e32 v20, v7
	v_cvt_f32_f16_sdwa v21, v7 dst_sel:DWORD dst_unused:UNUSED_PAD src0_sel:WORD_1
	v_cvt_f32_f16_sdwa v11, v4 dst_sel:DWORD dst_unused:UNUSED_PAD src0_sel:WORD_1
	v_mul_f32_e32 v4, 0xbfb8aa3b, v16
	v_mul_f32_e32 v13, 0xbfb8aa3b, v17
	v_fma_mix_f32 v24, v6, s7, -v4 op_sel_hi:[1,0,0]
	v_rndne_f32_e32 v25, v4
	v_mul_f32_e32 v19, 0xbfb8aa3b, v20
	v_fma_mix_f32 v26, v6, s7, -v13 op_sel:[1,0,0] op_sel_hi:[1,0,0]
	v_rndne_f32_e32 v27, v13
	v_fma_mix_f32 v24, v6, s15, v24 op_sel_hi:[1,0,0]
	v_sub_f32_e32 v4, v4, v25
	v_mul_f32_e32 v22, 0xbfb8aa3b, v21
	v_fma_mix_f32 v28, v7, s7, -v19 op_sel_hi:[1,0,0]
	v_rndne_f32_e32 v29, v19
	v_fma_mix_f32 v6, v6, s15, v26 op_sel:[1,0,0] op_sel_hi:[1,0,0]
	v_sub_f32_e32 v13, v13, v27
	v_add_f32_e32 v4, v4, v24
	v_fma_mix_f32 v30, v7, s7, -v22 op_sel:[1,0,0] op_sel_hi:[1,0,0]
	v_rndne_f32_e32 v31, v22
	v_cvt_i32_f32_e32 v25, v25
	v_cvt_i32_f32_e32 v26, v27
	v_fma_mix_f32 v27, v7, s15, v28 op_sel_hi:[1,0,0]
	v_sub_f32_e32 v19, v19, v29
	v_add_f32_e32 v6, v13, v6
	v_exp_f32_e32 v4, v4
	v_fma_mix_f32 v7, v7, s15, v30 op_sel:[1,0,0] op_sel_hi:[1,0,0]
	v_sub_f32_e32 v22, v22, v31
	v_add_f32_e32 v13, v19, v27
	v_exp_f32_e32 v6, v6
	v_cvt_i32_f32_e32 v28, v29
	v_add_f32_e32 v7, v22, v7
	v_exp_f32_e32 v13, v13
	v_cvt_i32_f32_e32 v29, v31
	v_exp_f32_e32 v7, v7
	v_ldexp_f32 v4, v4, v25
	v_cmp_nlt_f32_e32 vcc, s6, v16
	v_ldexp_f32 v6, v6, v26
	v_ldexp_f32 v13, v13, v28
	v_cndmask_b32_e32 v4, 0, v4, vcc
	v_cmp_nlt_f32_e32 vcc, s6, v17
	v_cvt_f32_f16_e32 v12, v8
	v_ldexp_f32 v7, v7, v29
	v_cndmask_b32_e32 v6, 0, v6, vcc
	v_cmp_nlt_f32_e32 vcc, s6, v20
	v_mul_f32_e32 v23, 0xbfb8aa3b, v12
	v_rndne_f32_e32 v33, v23
	v_cndmask_b32_e32 v13, 0, v13, vcc
	v_cmp_nlt_f32_e32 vcc, s6, v21
	v_fma_mix_f32 v32, v8, s7, -v23 op_sel_hi:[1,0,0]
	v_sub_f32_e32 v31, v23, v33
	v_cndmask_b32_e32 v7, 0, v7, vcc
	v_cmp_ngt_f32_e32 vcc, s14, v16
	v_cvt_f32_f16_e32 v14, v2
	v_fma_mix_f32 v30, v8, s15, v32 op_sel_hi:[1,0,0]
	v_cndmask_b32_e32 v4, v1, v4, vcc
	v_cmp_ngt_f32_e32 vcc, s14, v17
	v_add_f32_e32 v4, 1.0, v4
	v_cvt_f32_f16_sdwa v15, v2 dst_sel:DWORD dst_unused:UNUSED_PAD src0_sel:WORD_1
	v_cndmask_b32_e32 v6, v1, v6, vcc
	v_cmp_ngt_f32_e32 vcc, s14, v20
	v_add_f32_e32 v19, 1.0, v6
	v_rcp_f32_e32 v6, v4
	v_cndmask_b32_e32 v13, v1, v13, vcc
	v_cmp_ngt_f32_e32 vcc, s14, v21
	v_add_f32_e32 v13, 1.0, v13
	v_rcp_f32_e32 v22, v13
	v_cndmask_b32_e32 v7, v1, v7, vcc
	v_add_f32_e32 v23, 1.0, v7
	v_rcp_f32_e32 v7, v19
	v_cvt_f32_f16_sdwa v13, v8 dst_sel:DWORD dst_unused:UNUSED_PAD src0_sel:WORD_1
	v_rcp_f32_e32 v23, v23
	v_add_f32_e32 v4, v31, v30
	v_pk_mul_f32 v[6:7], v[6:7], v[16:17]
	v_cvt_i32_f32_e32 v32, v33
	;;#ASMSTART
	v_pk_mul_f32 v[6:7], v[6:7], v[14:15]
	;;#ASMEND
	v_mul_f32_e32 v14, 0xbfb8aa3b, v13
	v_exp_f32_e32 v4, v4
	v_fma_mix_f32 v15, v8, s7, -v14 op_sel:[1,0,0] op_sel_hi:[1,0,0]
	v_cvt_f32_f16_e32 v2, v3
	v_fma_mix_f32 v8, v8, s15, v15 op_sel:[1,0,0] op_sel_hi:[1,0,0]
	v_rndne_f32_e32 v15, v14
	v_sub_f32_e32 v14, v14, v15
	v_cvt_f32_f16_sdwa v3, v3 dst_sel:DWORD dst_unused:UNUSED_PAD src0_sel:WORD_1
	v_pk_mul_f32 v[16:17], v[22:23], v[20:21]
	v_add_f32_e32 v8, v14, v8
	;;#ASMSTART
	v_pk_mul_f32 v[2:3], v[16:17], v[2:3]
	;;#ASMEND
	v_ldexp_f32 v4, v4, v32
	v_cmp_nlt_f32_e32 vcc, s6, v12
	v_exp_f32_e32 v8, v8
	v_cvt_i32_f32_e32 v15, v15
	v_cvt_f32_f16_e32 v16, v9
	v_cndmask_b32_e32 v4, 0, v4, vcc
	v_cmp_ngt_f32_e32 vcc, s14, v12
	s_nop 1
	v_cndmask_b32_e32 v4, v1, v4, vcc
	v_add_f32_e32 v4, 1.0, v4
	v_rcp_f32_e32 v14, v4
	v_ldexp_f32 v4, v8, v15
	v_mul_f32_e32 v8, 0xbfb8aa3b, v16
	v_fma_mix_f32 v15, v9, s7, -v8 op_sel_hi:[1,0,0]
	v_rndne_f32_e32 v17, v8
	v_fma_mix_f32 v15, v9, s15, v15 op_sel_hi:[1,0,0]
	v_sub_f32_e32 v8, v8, v17
	v_add_f32_e32 v8, v8, v15
	v_exp_f32_e32 v8, v8
	v_cvt_i32_f32_e32 v19, v17
	v_cvt_f32_f16_sdwa v17, v9 dst_sel:DWORD dst_unused:UNUSED_PAD src0_sel:WORD_1
	v_cmp_nlt_f32_e32 vcc, s6, v13
	v_ldexp_f32 v8, v8, v19
	v_mul_f32_e32 v19, 0xbfb8aa3b, v17
	v_fma_mix_f32 v20, v9, s7, -v19 op_sel:[1,0,0] op_sel_hi:[1,0,0]
	v_cndmask_b32_e32 v4, 0, v4, vcc
	v_fma_mix_f32 v9, v9, s15, v20 op_sel:[1,0,0] op_sel_hi:[1,0,0]
	v_rndne_f32_e32 v20, v19
	v_sub_f32_e32 v19, v19, v20
	v_cmp_ngt_f32_e32 vcc, s14, v13
	v_add_f32_e32 v9, v19, v9
	v_exp_f32_e32 v9, v9
	v_cndmask_b32_e32 v4, v1, v4, vcc
	v_cmp_nlt_f32_e32 vcc, s6, v16
	v_cvt_i32_f32_e32 v19, v20
	v_add_f32_e32 v4, 1.0, v4
	v_cndmask_b32_e32 v8, 0, v8, vcc
	v_cmp_ngt_f32_e32 vcc, s14, v16
	v_rcp_f32_e32 v15, v4
	v_cvt_f32_f16_e32 v4, v5
	v_cndmask_b32_e32 v8, v1, v8, vcc
	v_add_f32_e32 v8, 1.0, v8
	v_rcp_f32_e32 v20, v8
	v_ldexp_f32 v8, v9, v19
	v_cmp_nlt_f32_e32 vcc, s6, v17
	s_ashr_i32 s6, s9, 31
	v_cvt_f32_f16_sdwa v5, v5 dst_sel:DWORD dst_unused:UNUSED_PAD src0_sel:WORD_1
	v_cndmask_b32_e32 v8, 0, v8, vcc
	v_cmp_ngt_f32_e32 vcc, s14, v17
	s_lshr_b32 s6, s6, 29
	s_add_i32 s6, s9, s6
	v_cndmask_b32_e32 v1, v1, v8, vcc
	v_add_f32_e32 v1, 1.0, v1
	v_rcp_f32_e32 v21, v1
	v_pk_mul_f32 v[8:9], v[14:15], v[12:13]
	v_and_b32_e32 v1, 0x7fffffff, v6
	;;#ASMSTART
	v_pk_mul_f32 v[8:9], v[8:9], v[10:11]
	;;#ASMEND
	v_pk_mul_f32 v[10:11], v[20:21], v[16:17]
	s_ashr_i32 s14, s6, 3
	;;#ASMSTART
	v_pk_mul_f32 v[4:5], v[10:11], v[4:5]
	;;#ASMEND
	v_and_b32_e32 v10, 0x7fffffff, v7
	v_mov_b32_e32 v11, 0x2edbe6ff
	;;#ASMSTART
	v_max3_f32 v1, v11, v1, v10

	;;#ASMEND
	v_and_b32_e32 v10, 0x7fffffff, v2
	v_and_b32_e32 v11, 0x7fffffff, v3
	;;#ASMSTART
	v_max3_f32 v1, v1, v10, v11

	;;#ASMEND
	v_and_b32_e32 v10, 0x7fffffff, v8
	v_and_b32_e32 v11, 0x7fffffff, v9
	;;#ASMSTART
	v_max3_f32 v1, v1, v10, v11

	;;#ASMEND
	s_cmp_lt_i32 s14, 16
	v_and_b32_e32 v10, 0x7fffffff, v4
	v_and_b32_e32 v11, 0x7fffffff, v5
	;;#ASMSTART
	v_max3_f32 v1, v1, v10, v11

	;;#ASMEND
	s_cbranch_scc1 .LBB529_7
; %bb.2:
	s_cmp_lt_i32 s14, 32
	s_cbranch_scc1 .LBB529_8
; %bb.3:
	s_cmp_lt_i32 s14, 64
	s_cbranch_scc1 .LBB529_9
; %bb.4:
	s_cmp_eq_u32 s14, 64
	v_mov_b32_e32 v10, v1
	s_cbranch_scc0 .LBB529_6
; %bb.5:
	s_nop 0
	v_mov_b32_dpp v10, v1 quad_perm:[1,0,3,2] row_mask:0xf bank_mask:0xf
	v_cmp_gt_f32_e32 vcc, v1, v10
	v_bfrev_b32_e32 v12, 0.5
	s_nop 0
	v_cndmask_b32_e32 v10, v10, v1, vcc
	s_nop 1
	v_mov_b32_dpp v11, v10 quad_perm:[2,3,0,1] row_mask:0xf bank_mask:0xf
	v_cmp_gt_f32_e32 vcc, v10, v11
	s_nop 1
	v_cndmask_b32_e32 v10, v11, v10, vcc
	s_nop 1
	v_mov_b32_dpp v11, v10 row_ror:4 row_mask:0xf bank_mask:0xf
	v_cmp_gt_f32_e32 vcc, v10, v11
	s_nop 1
	v_cndmask_b32_e32 v10, v11, v10, vcc
	s_nop 1
	v_mov_b32_dpp v11, v10 row_ror:8 row_mask:0xf bank_mask:0xf
	v_cmp_gt_f32_e32 vcc, v10, v11
	s_nop 1
	v_cndmask_b32_e32 v10, v11, v10, vcc
	s_nop 1
	v_mov_b32_dpp v11, v10 row_bcast:15 row_mask:0xf bank_mask:0xf
	v_cmp_gt_f32_e32 vcc, v10, v11
	s_nop 1
	v_cndmask_b32_e32 v10, v11, v10, vcc
	s_nop 1
	v_mov_b32_dpp v11, v10 row_bcast:31 row_mask:0xf bank_mask:0xf
	v_cmp_gt_f32_e32 vcc, v10, v11
	s_nop 1
	v_cndmask_b32_e32 v10, v11, v10, vcc
	v_mbcnt_lo_u32_b32 v11, -1, 0
	v_mbcnt_hi_u32_b32 v11, -1, v11
	v_lshl_or_b32 v11, v11, 2, v12
	ds_bpermute_b32 v10, v11, v10
.LBB529_6:
	s_cbranch_execz .LBB529_10
	s_branch .LBB529_12
.LBB529_7:
                                        ; implicit-def: $vgpr10
	s_branch .LBB529_16
.LBB529_8:
                                        ; implicit-def: $vgpr10
	s_branch .LBB529_13
.LBB529_9:
                                        ; implicit-def: $vgpr10
.LBB529_10:
	s_cmp_eq_u32 s14, 32
	s_waitcnt lgkmcnt(0)
	v_mov_b32_e32 v10, v1
	s_cbranch_scc0 .LBB529_12
; %bb.11:
	s_nop 0
	v_mov_b32_dpp v10, v1 quad_perm:[1,0,3,2] row_mask:0xf bank_mask:0xf
	v_cmp_gt_f32_e32 vcc, v1, v10
	v_mov_b32_e32 v12, 0x7c
	s_nop 0
	v_cndmask_b32_e32 v10, v10, v1, vcc
	s_nop 1
	v_mov_b32_dpp v11, v10 quad_perm:[2,3,0,1] row_mask:0xf bank_mask:0xf
	v_cmp_gt_f32_e32 vcc, v10, v11
	s_nop 1
	v_cndmask_b32_e32 v10, v11, v10, vcc
	s_nop 1
	v_mov_b32_dpp v11, v10 row_half_mirror row_mask:0xf bank_mask:0xf
	v_cmp_gt_f32_e32 vcc, v10, v11
	s_nop 1
	v_cndmask_b32_e32 v10, v11, v10, vcc
	s_nop 1
	v_mov_b32_dpp v11, v10 row_mirror row_mask:0xf bank_mask:0xf
	v_cmp_gt_f32_e32 vcc, v10, v11
	s_nop 1
	v_cndmask_b32_e32 v10, v11, v10, vcc
	s_nop 1
	v_mov_b32_dpp v11, v10 row_bcast:15 row_mask:0xa bank_mask:0xf
	v_cmp_gt_f32_e32 vcc, v10, v11
	s_nop 1
	v_cndmask_b32_e32 v10, v11, v10, vcc
	v_mbcnt_lo_u32_b32 v11, -1, 0
	v_mbcnt_hi_u32_b32 v11, -1, v11
	v_lshl_or_b32 v11, v11, 2, v12
	ds_bpermute_b32 v10, v11, v10
.LBB529_12:
	s_cbranch_execnz .LBB529_15
.LBB529_13:
	s_cmp_eq_u32 s14, 16
	s_waitcnt lgkmcnt(0)
	v_mov_b32_e32 v10, v1
	s_cbranch_scc0 .LBB529_15
; %bb.14:
	s_nop 0
	v_mov_b32_dpp v10, v1 quad_perm:[1,0,3,2] row_mask:0xf bank_mask:0xf
	v_cmp_gt_f32_e32 vcc, v1, v10
	s_nop 1
	v_cndmask_b32_e32 v10, v10, v1, vcc
	s_nop 1
	v_mov_b32_dpp v11, v10 quad_perm:[2,3,0,1] row_mask:0xf bank_mask:0xf
	v_cmp_gt_f32_e32 vcc, v10, v11
	s_nop 1
	v_cndmask_b32_e32 v10, v11, v10, vcc
	s_nop 1
	v_mov_b32_dpp v11, v10 row_half_mirror row_mask:0xf bank_mask:0xf
	v_cmp_gt_f32_e32 vcc, v10, v11
	s_nop 1
	v_cndmask_b32_e32 v10, v11, v10, vcc
	s_nop 1
	v_mov_b32_dpp v11, v10 row_mirror row_mask:0xf bank_mask:0xf
	v_cmp_gt_f32_e32 vcc, v10, v11
	s_nop 1
	v_cndmask_b32_e32 v10, v11, v10, vcc
.LBB529_15:
	s_cbranch_execnz .LBB529_29
.LBB529_16:
	s_cmp_lt_i32 s14, 4
	s_cbranch_scc1 .LBB529_20
; %bb.17:
	s_cmp_lt_i32 s14, 8
	s_cbranch_scc1 .LBB529_21
; %bb.18:
	s_cmp_eq_u32 s14, 8
	s_waitcnt lgkmcnt(0)
	v_mov_b32_e32 v10, v1
	s_cbranch_scc0 .LBB529_22
; %bb.19:
	s_nop 0
	v_mov_b32_dpp v10, v1 quad_perm:[1,0,3,2] row_mask:0xf bank_mask:0xf
	v_cmp_gt_f32_e32 vcc, v1, v10
	s_nop 1
	v_cndmask_b32_e32 v10, v10, v1, vcc
	s_nop 1
	v_mov_b32_dpp v11, v10 quad_perm:[2,3,0,1] row_mask:0xf bank_mask:0xf
	v_cmp_gt_f32_e32 vcc, v10, v11
	s_nop 1
	v_cndmask_b32_e32 v10, v11, v10, vcc
	s_nop 1
	v_mov_b32_dpp v11, v10 row_half_mirror row_mask:0xf bank_mask:0xf
	v_cmp_gt_f32_e32 vcc, v10, v11
	s_nop 1
	v_cndmask_b32_e32 v10, v11, v10, vcc
	s_cbranch_execz .LBB529_23
	s_branch .LBB529_25
.LBB529_20:
                                        ; implicit-def: $vgpr10
	s_branch .LBB529_26
.LBB529_21:
                                        ; implicit-def: $vgpr10
	s_branch .LBB529_23
.LBB529_22:
	s_cbranch_execnz .LBB529_25
.LBB529_23:
	s_cmp_eq_u32 s14, 4
	s_waitcnt lgkmcnt(0)
	v_mov_b32_e32 v10, v1
	s_cbranch_scc0 .LBB529_25
; %bb.24:
	s_nop 0
	v_mov_b32_dpp v10, v1 quad_perm:[1,0,3,2] row_mask:0xf bank_mask:0xf
	v_cmp_gt_f32_e32 vcc, v1, v10
	s_nop 1
	v_cndmask_b32_e32 v10, v10, v1, vcc
	s_nop 1
	v_mov_b32_dpp v11, v10 quad_perm:[2,3,0,1] row_mask:0xf bank_mask:0xf
	v_cmp_gt_f32_e32 vcc, v10, v11
	s_nop 1
	v_cndmask_b32_e32 v10, v11, v10, vcc
.LBB529_25:
	s_cbranch_execnz .LBB529_29
.LBB529_26:
	s_cmp_lg_u32 s14, 2
	s_cbranch_scc1 .LBB529_28
; %bb.27:
	s_waitcnt lgkmcnt(0)
	v_mov_b32_dpp v10, v1 quad_perm:[1,0,3,2] row_mask:0xf bank_mask:0xf
	v_cmp_gt_f32_e32 vcc, v1, v10
	s_nop 1
	v_cndmask_b32_e32 v1, v10, v1, vcc
.LBB529_28:
	s_waitcnt lgkmcnt(0)
	v_mov_b32_e32 v10, v1
.LBB529_29:
	s_abs_i32 s6, s14
	v_cvt_f32_u32_e32 v1, s6
	s_sub_i32 s15, 0, s6
	s_waitcnt lgkmcnt(0)
	v_mul_f32_e32 v12, 0x3b888889, v10
	s_ashr_i32 s7, s14, 31
	v_rcp_iflag_f32_e32 v1, v1
	s_nop 0
	v_mul_f32_e32 v1, 0x4f7ffffe, v1
	v_cvt_u32_f32_e32 v1, v1
	v_mul_lo_u32 v10, s15, v1
	v_mul_hi_u32 v10, v1, v10
	v_add_u32_e32 v1, v1, v10
	v_mul_hi_u32 v1, v0, v1
	v_mul_lo_u32 v10, v1, s6
	v_sub_u32_e32 v10, v0, v10
	v_add_u32_e32 v11, 1, v1
	v_cmp_le_u32_e32 vcc, s6, v10
	s_nop 1
	v_cndmask_b32_e32 v1, v1, v11, vcc
	v_subrev_u32_e32 v11, s6, v10
	v_cndmask_b32_e32 v10, v10, v11, vcc
	v_add_u32_e32 v11, 1, v1
	v_cmp_le_u32_e32 vcc, s6, v10
	s_nop 1
	v_cndmask_b32_e32 v1, v1, v11, vcc
	v_xor_b32_e32 v1, s7, v1
	v_subrev_u32_e32 v10, s7, v1
	v_mul_lo_u32 v1, v10, s14
	v_sub_u32_e32 v0, v0, v1
	v_cmp_eq_u32_e32 vcc, 0, v0
	s_and_saveexec_b64 s[6:7], vcc
	s_cbranch_execz .LBB529_35
; %bb.30:
	s_load_dword s14, s[0:1], 0x24
	s_waitcnt lgkmcnt(0)
	s_bitcmp0_b32 s14, 0
	s_cbranch_scc0 .LBB529_32
; %bb.31:
	s_abs_i32 s14, s9
	v_cvt_f32_u32_e32 v0, s14
	s_sub_i32 s16, 0, s14
	s_abs_i32 s15, s10
	s_xor_b32 s9, s10, s9
	v_rcp_iflag_f32_e32 v0, v0
	s_ashr_i32 s9, s9, 31
	v_ashrrev_i32_e32 v11, 31, v10
	v_mov_b32_e32 v1, s2
	v_mul_f32_e32 v0, 0x4f7ffffe, v0
	v_cvt_u32_f32_e32 v0, v0
	s_nop 0
	v_readfirstlane_b32 s17, v0
	s_mul_i32 s16, s16, s17
	s_mul_hi_u32 s16, s17, s16
	s_add_i32 s17, s17, s16
	s_mul_hi_u32 s16, s15, s17
	s_mul_i32 s17, s16, s14
	s_sub_i32 s15, s15, s17
	s_add_i32 s18, s16, 1
	s_sub_i32 s17, s15, s14
	s_cmp_ge_u32 s15, s14
	s_cselect_b32 s16, s18, s16
	s_cselect_b32 s15, s17, s15
	s_add_i32 s17, s16, 1
	s_cmp_ge_u32 s15, s14
	s_cselect_b32 s14, s17, s16
	s_xor_b32 s14, s14, s9
	s_sub_i32 s9, s14, s9
	s_ashr_i32 s14, s9, 31
	s_mul_i32 s16, s14, s2
	v_mad_u64_u32 v[0:1], s[14:15], s9, v1, v[10:11]
	v_add_u32_e32 v1, s16, v1
	s_cbranch_execz .LBB529_33
	s_branch .LBB529_34
.LBB529_32:
                                        ; implicit-def: $vgpr0_vgpr1
.LBB529_33:
	s_load_dword s0, s[0:1], 0x28
	v_mov_b32_e32 v1, 0
	s_waitcnt lgkmcnt(0)
	v_mul_lo_u32 v0, s0, v10
	v_lshl_add_u64 v[0:1], v[0:1], 0, s[2:3]
.LBB529_34:
	v_lshl_add_u64 v[0:1], v[0:1], 2, s[12:13]
	global_store_dword v[0:1], v12, off
.LBB529_35:
	s_or_b64 exec, exec, s[6:7]
	s_add_i32 s0, s8, 3
	s_ashr_i32 s1, s0, 31
	s_lshr_b32 s1, s1, 30
	s_add_i32 s0, s0, s1
	s_and_b32 s6, s0, -4
	s_mul_i32 s0, s11, s2
	s_mul_hi_u32 s1, s10, s2
	s_add_i32 s1, s1, s0
	s_mul_i32 s0, s10, s2
	s_add_u32 s4, s4, s0
	;;#ASMSTART
	v_rcp_f32 v0, v12
	;;#ASMEND
	s_addc_u32 s0, s5, s1
	v_mov_b32_e32 v1, v0
	;;#ASMSTART
	v_pk_mul_f32 v[6:7], v[6:7], v[0:1]
	;;#ASMEND
	v_mov_b32_e32 v10, 0xc3700000
	v_mov_b32_e32 v11, 0x43700000
	;;#ASMSTART
	v_med3_f32 v6, v6, v10, v11
v_med3_f32 v7, v7, v10, v11
v_cvt_pk_fp8_f32 v12, v6, v7
	;;#ASMEND
	;;#ASMSTART
	v_pk_mul_f32 v[2:3], v[2:3], v[0:1]
	;;#ASMEND
	s_and_b32 s5, s0, 0xffff
	;;#ASMSTART
	v_med3_f32 v2, v2, v10, v11
v_med3_f32 v3, v3, v10, v11
v_cvt_pk_fp8_f32 v6, v2, v3
	;;#ASMEND
	s_mov_b32 s0, 0x5040100
	v_perm_b32 v3, v6, v12, s0
	s_movk_i32 s0, 0xff
	v_and_b32_e32 v2, 0xffffff00, v6
	v_and_b32_sdwa v6, v3, s0 dst_sel:DWORD dst_unused:UNUSED_PAD src0_sel:WORD_1 src1_sel:DWORD
	s_mov_b32 s1, 0xffff
	v_or_b32_sdwa v2, v6, v2 dst_sel:WORD_1 dst_unused:UNUSED_PAD src0_sel:DWORD src1_sel:DWORD
	;;#ASMSTART
	v_pk_mul_f32 v[6:7], v[8:9], v[0:1]
	;;#ASMEND
	s_mov_b32 s7, 0x20000
	v_and_or_b32 v2, v3, s1, v2
	v_mov_b32_e32 v3, v7
	;;#ASMSTART
	v_med3_f32 v6, v6, v10, v11
v_med3_f32 v3, v3, v10, v11
v_cvt_pk_fp8_f32 v7, v6, v3
	;;#ASMEND
	;;#ASMSTART
	v_pk_mul_f32 v[0:1], v[4:5], v[0:1]
	;;#ASMEND
	s_nop 0
	;;#ASMSTART
	v_med3_f32 v0, v0, v10, v11
v_med3_f32 v1, v1, v10, v11
v_cvt_pk_fp8_f32 v3, v0, v1
	;;#ASMEND
	s_nop 0
	v_lshlrev_b32_e32 v0, 16, v3
	v_and_or_b32 v3, v7, s1, v0
	buffer_store_dwordx2 v[2:3], v18, s[4:7], 0 offen
	;;#ASMSTART
	s_nop 0
	;;#ASMEND
.LBB529_36:
	s_endpgm
	.section	.rodata,"a",@progbits
	.p2align	6, 0x0
	.amdhsa_kernel _ZN5aiter24act_and_mul_quant_kernelIDF16_DB8_TnPFfRKT_EXadL_ZNS_11silu_kernelIDF16_EEfS4_EELi64ELi8ELb0EEEvPT0_PS3_Pfiifb
		.amdhsa_group_segment_fixed_size 0
		.amdhsa_private_segment_fixed_size 0
		.amdhsa_kernarg_size 296
		.amdhsa_user_sgpr_count 2
		.amdhsa_user_sgpr_dispatch_ptr 0
		.amdhsa_user_sgpr_queue_ptr 0
		.amdhsa_user_sgpr_kernarg_segment_ptr 1
		.amdhsa_user_sgpr_dispatch_id 0
		.amdhsa_user_sgpr_kernarg_preload_length 0
		.amdhsa_user_sgpr_kernarg_preload_offset 0
		.amdhsa_user_sgpr_private_segment_size 0
		.amdhsa_uses_dynamic_stack 0
		.amdhsa_enable_private_segment 0
		.amdhsa_system_sgpr_workgroup_id_x 1
		.amdhsa_system_sgpr_workgroup_id_y 0
		.amdhsa_system_sgpr_workgroup_id_z 0
		.amdhsa_system_sgpr_workgroup_info 0
		.amdhsa_system_vgpr_workitem_id 0
		.amdhsa_next_free_vgpr 34
		.amdhsa_next_free_sgpr 24
		.amdhsa_accum_offset 36
		.amdhsa_reserve_vcc 1
		.amdhsa_float_round_mode_32 0
		.amdhsa_float_round_mode_16_64 0
		.amdhsa_float_denorm_mode_32 3
		.amdhsa_float_denorm_mode_16_64 3
		.amdhsa_dx10_clamp 1
		.amdhsa_ieee_mode 1
		.amdhsa_fp16_overflow 0
		.amdhsa_tg_split 0
		.amdhsa_exception_fp_ieee_invalid_op 0
		.amdhsa_exception_fp_denorm_src 0
		.amdhsa_exception_fp_ieee_div_zero 0
		.amdhsa_exception_fp_ieee_overflow 0
		.amdhsa_exception_fp_ieee_underflow 0
		.amdhsa_exception_fp_ieee_inexact 0
		.amdhsa_exception_int_div_zero 0
	.end_amdhsa_kernel
	.section	.text._ZN5aiter24act_and_mul_quant_kernelIDF16_DB8_TnPFfRKT_EXadL_ZNS_11silu_kernelIDF16_EEfS4_EELi64ELi8ELb0EEEvPT0_PS3_Pfiifb,"axG",@progbits,_ZN5aiter24act_and_mul_quant_kernelIDF16_DB8_TnPFfRKT_EXadL_ZNS_11silu_kernelIDF16_EEfS4_EELi64ELi8ELb0EEEvPT0_PS3_Pfiifb,comdat
.Lfunc_end529:
	.size	_ZN5aiter24act_and_mul_quant_kernelIDF16_DB8_TnPFfRKT_EXadL_ZNS_11silu_kernelIDF16_EEfS4_EELi64ELi8ELb0EEEvPT0_PS3_Pfiifb, .Lfunc_end529-_ZN5aiter24act_and_mul_quant_kernelIDF16_DB8_TnPFfRKT_EXadL_ZNS_11silu_kernelIDF16_EEfS4_EELi64ELi8ELb0EEEvPT0_PS3_Pfiifb
                                        ; -- End function
	.section	.AMDGPU.csdata,"",@progbits
; Kernel info:
; codeLenInByte = 2564
; NumSgprs: 30
; NumVgprs: 34
; NumAgprs: 0
; TotalNumVgprs: 34
; ScratchSize: 0
; MemoryBound: 0
; FloatMode: 240
; IeeeMode: 1
; LDSByteSize: 0 bytes/workgroup (compile time only)
; SGPRBlocks: 3
; VGPRBlocks: 4
; NumSGPRsForWavesPerEU: 30
; NumVGPRsForWavesPerEU: 34
; AccumOffset: 36
; Occupancy: 8
; WaveLimiterHint : 0
; COMPUTE_PGM_RSRC2:SCRATCH_EN: 0
; COMPUTE_PGM_RSRC2:USER_SGPR: 2
; COMPUTE_PGM_RSRC2:TRAP_HANDLER: 0
; COMPUTE_PGM_RSRC2:TGID_X_EN: 1
; COMPUTE_PGM_RSRC2:TGID_Y_EN: 0
; COMPUTE_PGM_RSRC2:TGID_Z_EN: 0
; COMPUTE_PGM_RSRC2:TIDIG_COMP_CNT: 0
; COMPUTE_PGM_RSRC3_GFX90A:ACCUM_OFFSET: 8
; COMPUTE_PGM_RSRC3_GFX90A:TG_SPLIT: 0
	.section	.text._ZN5aiter24act_and_mul_quant_kernelItDB8_TnPFfRKT_EXadL_ZNS_11silu_kernelItEEfS4_EELi64ELi8ELb0EEEvPT0_PS3_Pfiifb,"axG",@progbits,_ZN5aiter24act_and_mul_quant_kernelItDB8_TnPFfRKT_EXadL_ZNS_11silu_kernelItEEfS4_EELi64ELi8ELb0EEEvPT0_PS3_Pfiifb,comdat
	.protected	_ZN5aiter24act_and_mul_quant_kernelItDB8_TnPFfRKT_EXadL_ZNS_11silu_kernelItEEfS4_EELi64ELi8ELb0EEEvPT0_PS3_Pfiifb ; -- Begin function _ZN5aiter24act_and_mul_quant_kernelItDB8_TnPFfRKT_EXadL_ZNS_11silu_kernelItEEfS4_EELi64ELi8ELb0EEEvPT0_PS3_Pfiifb
	.globl	_ZN5aiter24act_and_mul_quant_kernelItDB8_TnPFfRKT_EXadL_ZNS_11silu_kernelItEEfS4_EELi64ELi8ELb0EEEvPT0_PS3_Pfiifb
	.p2align	8
	.type	_ZN5aiter24act_and_mul_quant_kernelItDB8_TnPFfRKT_EXadL_ZNS_11silu_kernelItEEfS4_EELi64ELi8ELb0EEEvPT0_PS3_Pfiifb,@function
_ZN5aiter24act_and_mul_quant_kernelItDB8_TnPFfRKT_EXadL_ZNS_11silu_kernelItEEfS4_EELi64ELi8ELb0EEEvPT0_PS3_Pfiifb: ; @_ZN5aiter24act_and_mul_quant_kernelItDB8_TnPFfRKT_EXadL_ZNS_11silu_kernelItEEfS4_EELi64ELi8ELb0EEEvPT0_PS3_Pfiifb
; %bb.0:
	s_load_dwordx2 s[8:9], s[0:1], 0x18
	v_lshlrev_b32_e32 v16, 3, v0
	s_waitcnt lgkmcnt(0)
	v_cmp_gt_i32_e32 vcc, s8, v16
	s_and_saveexec_b64 s[4:5], vcc
	s_cbranch_execz .LBB530_36
; %bb.1:
	s_load_dwordx4 s[4:7], s[0:1], 0x0
	s_load_dwordx2 s[12:13], s[0:1], 0x10
	s_ashr_i32 s11, s8, 31
	s_mul_hi_u32 s3, s2, s8
	s_mul_i32 s14, s2, s11
	s_add_i32 s15, s3, s14
	s_mul_i32 s14, s2, s8
	s_lshl_b64 s[14:15], s[14:15], 2
	s_mov_b32 s10, s8
	s_waitcnt lgkmcnt(0)
	s_add_u32 s16, s6, s14
	s_addc_u32 s3, s7, s15
	s_lshl_b64 s[6:7], s[10:11], 1
	s_add_u32 s20, s16, s6
	s_addc_u32 s6, s3, s7
	s_lshl_b32 s7, s8, 1
	s_add_i32 s7, s7, 2
	s_and_b32 s22, s7, -4
	s_mov_b32 s23, 0x20000
	s_and_b32 s21, s6, 0xffff
	s_and_b32 s17, s3, 0xffff
	s_mov_b32 s18, s22
	v_lshlrev_b32_e32 v1, 4, v0
	s_mov_b32 s19, s23
	buffer_load_dwordx4 v[2:5], v1, s[20:23], 0 offen sc0 nt
	buffer_load_dwordx4 v[6:9], v1, s[16:19], 0 offen sc0 nt
	s_mov_b32 s14, 0xbfb8aa3b
	s_mov_b32 s6, 0x42ce8ed0
	;; [unrolled: 1-line block ×3, first 2 shown]
	v_mov_b32_e32 v1, 0x7f800000
	s_mov_b32 s3, 0
	s_waitcnt vmcnt(1)
	v_and_b32_e32 v11, 0xffff0000, v2
	s_waitcnt vmcnt(0)
	v_lshlrev_b32_e32 v12, 16, v6
	v_and_b32_e32 v13, 0xffff0000, v6
	v_mul_f32_e32 v6, 0xbfb8aa3b, v12
	v_lshlrev_b32_e32 v10, 16, v2
	v_and_b32_e32 v19, 0xffff0000, v3
	v_lshlrev_b32_e32 v18, 16, v3
	v_and_b32_e32 v3, 0xffff0000, v7
	v_lshlrev_b32_e32 v2, 16, v7
	v_mul_f32_e32 v7, 0xbfb8aa3b, v13
	v_fma_f32 v21, v12, s14, -v6
	v_rndne_f32_e32 v22, v6
	v_mul_f32_e32 v15, 0xbfb8aa3b, v2
	v_fma_f32 v23, v13, s14, -v7
	v_rndne_f32_e32 v24, v7
	v_fmac_f32_e32 v21, 0xb2a5705f, v12
	v_sub_f32_e32 v6, v6, v22
	v_mul_f32_e32 v17, 0xbfb8aa3b, v3
	v_fma_f32 v25, v2, s14, -v15
	v_rndne_f32_e32 v26, v15
	v_fmac_f32_e32 v23, 0xb2a5705f, v13
	v_sub_f32_e32 v7, v7, v24
	v_add_f32_e32 v6, v6, v21
	v_fma_f32 v27, v3, s14, -v17
	v_rndne_f32_e32 v28, v17
	v_cvt_i32_f32_e32 v22, v22
	v_fmac_f32_e32 v25, 0xb2a5705f, v2
	v_sub_f32_e32 v15, v15, v26
	v_add_f32_e32 v7, v7, v23
	v_exp_f32_e32 v6, v6
	v_cvt_i32_f32_e32 v24, v24
	v_fmac_f32_e32 v27, 0xb2a5705f, v3
	v_sub_f32_e32 v17, v17, v28
	v_add_f32_e32 v15, v15, v25
	v_exp_f32_e32 v7, v7
	v_cvt_i32_f32_e32 v26, v26
	v_add_f32_e32 v17, v17, v27
	v_exp_f32_e32 v15, v15
	v_cvt_i32_f32_e32 v28, v28
	v_exp_f32_e32 v17, v17
	v_ldexp_f32 v6, v6, v22
	v_cmp_nlt_f32_e32 vcc, s6, v12
	v_ldexp_f32 v7, v7, v24
	v_ldexp_f32 v15, v15, v26
	v_cndmask_b32_e32 v6, 0, v6, vcc
	v_cmp_nlt_f32_e32 vcc, s6, v13
	v_ldexp_f32 v17, v17, v28
	v_lshlrev_b32_e32 v14, 16, v8
	v_cndmask_b32_e32 v7, 0, v7, vcc
	v_cmp_nlt_f32_e32 vcc, s6, v2
	v_mul_f32_e32 v20, 0xbfb8aa3b, v14
	v_fma_f32 v29, v14, s14, -v20
	v_cndmask_b32_e32 v15, 0, v15, vcc
	v_cmp_nlt_f32_e32 vcc, s6, v3
	v_rndne_f32_e32 v30, v20
	v_fmac_f32_e32 v29, 0xb2a5705f, v14
	v_cndmask_b32_e32 v17, 0, v17, vcc
	v_cmp_ngt_f32_e32 vcc, s7, v12
	v_sub_f32_e32 v31, v20, v30
	v_cvt_i32_f32_e32 v30, v30
	v_cndmask_b32_e32 v6, v1, v6, vcc
	v_cmp_ngt_f32_e32 vcc, s7, v13
	v_add_f32_e32 v6, 1.0, v6
	v_rcp_f32_e32 v6, v6
	v_cndmask_b32_e32 v7, v1, v7, vcc
	v_add_f32_e32 v7, 1.0, v7
	v_cmp_ngt_f32_e32 vcc, s7, v2
	v_rcp_f32_e32 v7, v7
	s_nop 0
	v_cndmask_b32_e32 v15, v1, v15, vcc
	v_cmp_ngt_f32_e32 vcc, s7, v3
	v_add_f32_e32 v15, 1.0, v15
	v_rcp_f32_e32 v20, v15
	v_cndmask_b32_e32 v17, v1, v17, vcc
	v_add_f32_e32 v17, 1.0, v17
	v_add_f32_e32 v15, v31, v29
	v_rcp_f32_e32 v21, v17
	v_exp_f32_e32 v17, v15
	v_pk_mul_f32 v[6:7], v[6:7], v[12:13]
	v_and_b32_e32 v15, 0xffff0000, v8
	;;#ASMSTART
	v_pk_mul_f32 v[6:7], v[6:7], v[10:11]
	;;#ASMEND
	v_mul_f32_e32 v10, 0xbfb8aa3b, v15
	v_fma_f32 v12, v15, s14, -v10
	v_rndne_f32_e32 v13, v10
	v_fmac_f32_e32 v12, 0xb2a5705f, v15
	v_sub_f32_e32 v10, v10, v13
	v_add_f32_e32 v10, v10, v12
	v_ldexp_f32 v8, v17, v30
	v_cmp_nlt_f32_e32 vcc, s6, v14
	v_exp_f32_e32 v10, v10
	v_cvt_i32_f32_e32 v13, v13
	v_cndmask_b32_e32 v8, 0, v8, vcc
	v_cmp_ngt_f32_e32 vcc, s7, v14
	v_pk_mul_f32 v[2:3], v[20:21], v[2:3]
	v_and_b32_e32 v11, 0xffff0000, v4
	v_cndmask_b32_e32 v8, v1, v8, vcc
	v_add_f32_e32 v8, 1.0, v8
	v_rcp_f32_e32 v12, v8
	v_ldexp_f32 v8, v10, v13
	v_cmp_nlt_f32_e32 vcc, s6, v15
	;;#ASMSTART
	v_pk_mul_f32 v[2:3], v[2:3], v[18:19]
	;;#ASMEND
	v_lshlrev_b32_e32 v18, 16, v9
	v_and_b32_e32 v19, 0xffff0000, v9
	v_cndmask_b32_e32 v8, 0, v8, vcc
	v_cmp_ngt_f32_e32 vcc, s7, v15
	s_nop 1
	v_cndmask_b32_e32 v8, v1, v8, vcc
	v_add_f32_e32 v8, 1.0, v8
	v_rcp_f32_e32 v13, v8
	v_mul_f32_e32 v8, 0xbfb8aa3b, v18
	v_fma_f32 v10, v18, s14, -v8
	v_rndne_f32_e32 v17, v8
	v_fmac_f32_e32 v10, 0xb2a5705f, v18
	v_sub_f32_e32 v8, v8, v17
	v_add_f32_e32 v8, v8, v10
	v_exp_f32_e32 v8, v8
	v_cvt_i32_f32_e32 v17, v17
	v_lshlrev_b32_e32 v10, 16, v4
	v_pk_mul_f32 v[12:13], v[12:13], v[14:15]
	v_cmp_nlt_f32_e32 vcc, s6, v18
	v_ldexp_f32 v4, v8, v17
	v_mul_f32_e32 v8, 0xbfb8aa3b, v19
	v_fma_f32 v9, v19, s14, -v8
	v_rndne_f32_e32 v14, v8
	v_fmac_f32_e32 v9, 0xb2a5705f, v19
	v_sub_f32_e32 v8, v8, v14
	v_add_f32_e32 v8, v8, v9
	v_exp_f32_e32 v8, v8
	v_cvt_i32_f32_e32 v9, v14
	v_cndmask_b32_e32 v4, 0, v4, vcc
	v_cmp_ngt_f32_e32 vcc, s7, v18
	s_nop 1
	v_cndmask_b32_e32 v4, v1, v4, vcc
	v_add_f32_e32 v4, 1.0, v4
	v_rcp_f32_e32 v14, v4
	v_ldexp_f32 v4, v8, v9
	v_cmp_nlt_f32_e32 vcc, s6, v19
	s_ashr_i32 s6, s9, 31
	;;#ASMSTART
	v_pk_mul_f32 v[8:9], v[12:13], v[10:11]
	;;#ASMEND
	v_and_b32_e32 v11, 0xffff0000, v5
	v_cndmask_b32_e32 v4, 0, v4, vcc
	v_cmp_ngt_f32_e32 vcc, s7, v19
	v_lshlrev_b32_e32 v10, 16, v5
	s_lshr_b32 s6, s6, 29
	v_cndmask_b32_e32 v1, v1, v4, vcc
	v_add_f32_e32 v1, 1.0, v1
	v_rcp_f32_e32 v15, v1
	v_and_b32_e32 v1, 0x7fffffff, v6
	s_add_i32 s6, s9, s6
	s_ashr_i32 s14, s6, 3
	v_pk_mul_f32 v[4:5], v[14:15], v[18:19]
	s_cmp_lt_i32 s14, 16
	;;#ASMSTART
	v_pk_mul_f32 v[4:5], v[4:5], v[10:11]
	;;#ASMEND
	v_and_b32_e32 v10, 0x7fffffff, v7
	v_mov_b32_e32 v11, 0x2edbe6ff
	;;#ASMSTART
	v_max3_f32 v1, v11, v1, v10

	;;#ASMEND
	v_and_b32_e32 v10, 0x7fffffff, v2
	v_and_b32_e32 v11, 0x7fffffff, v3
	;;#ASMSTART
	v_max3_f32 v1, v1, v10, v11

	;;#ASMEND
	v_and_b32_e32 v10, 0x7fffffff, v8
	v_and_b32_e32 v11, 0x7fffffff, v9
	;; [unrolled: 6-line block ×3, first 2 shown]
	;;#ASMSTART
	v_max3_f32 v1, v1, v10, v11

	;;#ASMEND
	s_cbranch_scc1 .LBB530_7
; %bb.2:
	s_cmp_lt_i32 s14, 32
	s_cbranch_scc1 .LBB530_8
; %bb.3:
	s_cmp_lt_i32 s14, 64
	s_cbranch_scc1 .LBB530_9
; %bb.4:
	s_cmp_eq_u32 s14, 64
	v_mov_b32_e32 v10, v1
	s_cbranch_scc0 .LBB530_6
; %bb.5:
	s_nop 0
	v_mov_b32_dpp v10, v1 quad_perm:[1,0,3,2] row_mask:0xf bank_mask:0xf
	v_cmp_gt_f32_e32 vcc, v1, v10
	v_bfrev_b32_e32 v12, 0.5
	s_nop 0
	v_cndmask_b32_e32 v10, v10, v1, vcc
	s_nop 1
	v_mov_b32_dpp v11, v10 quad_perm:[2,3,0,1] row_mask:0xf bank_mask:0xf
	v_cmp_gt_f32_e32 vcc, v10, v11
	s_nop 1
	v_cndmask_b32_e32 v10, v11, v10, vcc
	s_nop 1
	v_mov_b32_dpp v11, v10 row_ror:4 row_mask:0xf bank_mask:0xf
	v_cmp_gt_f32_e32 vcc, v10, v11
	s_nop 1
	v_cndmask_b32_e32 v10, v11, v10, vcc
	s_nop 1
	v_mov_b32_dpp v11, v10 row_ror:8 row_mask:0xf bank_mask:0xf
	v_cmp_gt_f32_e32 vcc, v10, v11
	s_nop 1
	v_cndmask_b32_e32 v10, v11, v10, vcc
	s_nop 1
	v_mov_b32_dpp v11, v10 row_bcast:15 row_mask:0xf bank_mask:0xf
	v_cmp_gt_f32_e32 vcc, v10, v11
	s_nop 1
	v_cndmask_b32_e32 v10, v11, v10, vcc
	s_nop 1
	v_mov_b32_dpp v11, v10 row_bcast:31 row_mask:0xf bank_mask:0xf
	v_cmp_gt_f32_e32 vcc, v10, v11
	s_nop 1
	v_cndmask_b32_e32 v10, v11, v10, vcc
	v_mbcnt_lo_u32_b32 v11, -1, 0
	v_mbcnt_hi_u32_b32 v11, -1, v11
	v_lshl_or_b32 v11, v11, 2, v12
	ds_bpermute_b32 v10, v11, v10
.LBB530_6:
	s_cbranch_execz .LBB530_10
	s_branch .LBB530_12
.LBB530_7:
                                        ; implicit-def: $vgpr10
	s_branch .LBB530_16
.LBB530_8:
                                        ; implicit-def: $vgpr10
	s_branch .LBB530_13
.LBB530_9:
                                        ; implicit-def: $vgpr10
.LBB530_10:
	s_cmp_eq_u32 s14, 32
	s_waitcnt lgkmcnt(0)
	v_mov_b32_e32 v10, v1
	s_cbranch_scc0 .LBB530_12
; %bb.11:
	s_nop 0
	v_mov_b32_dpp v10, v1 quad_perm:[1,0,3,2] row_mask:0xf bank_mask:0xf
	v_cmp_gt_f32_e32 vcc, v1, v10
	v_mov_b32_e32 v12, 0x7c
	s_nop 0
	v_cndmask_b32_e32 v10, v10, v1, vcc
	s_nop 1
	v_mov_b32_dpp v11, v10 quad_perm:[2,3,0,1] row_mask:0xf bank_mask:0xf
	v_cmp_gt_f32_e32 vcc, v10, v11
	s_nop 1
	v_cndmask_b32_e32 v10, v11, v10, vcc
	s_nop 1
	v_mov_b32_dpp v11, v10 row_half_mirror row_mask:0xf bank_mask:0xf
	v_cmp_gt_f32_e32 vcc, v10, v11
	s_nop 1
	v_cndmask_b32_e32 v10, v11, v10, vcc
	s_nop 1
	v_mov_b32_dpp v11, v10 row_mirror row_mask:0xf bank_mask:0xf
	v_cmp_gt_f32_e32 vcc, v10, v11
	s_nop 1
	v_cndmask_b32_e32 v10, v11, v10, vcc
	s_nop 1
	v_mov_b32_dpp v11, v10 row_bcast:15 row_mask:0xa bank_mask:0xf
	v_cmp_gt_f32_e32 vcc, v10, v11
	s_nop 1
	v_cndmask_b32_e32 v10, v11, v10, vcc
	v_mbcnt_lo_u32_b32 v11, -1, 0
	v_mbcnt_hi_u32_b32 v11, -1, v11
	v_lshl_or_b32 v11, v11, 2, v12
	ds_bpermute_b32 v10, v11, v10
.LBB530_12:
	s_cbranch_execnz .LBB530_15
.LBB530_13:
	s_cmp_eq_u32 s14, 16
	s_waitcnt lgkmcnt(0)
	v_mov_b32_e32 v10, v1
	s_cbranch_scc0 .LBB530_15
; %bb.14:
	s_nop 0
	v_mov_b32_dpp v10, v1 quad_perm:[1,0,3,2] row_mask:0xf bank_mask:0xf
	v_cmp_gt_f32_e32 vcc, v1, v10
	s_nop 1
	v_cndmask_b32_e32 v10, v10, v1, vcc
	s_nop 1
	v_mov_b32_dpp v11, v10 quad_perm:[2,3,0,1] row_mask:0xf bank_mask:0xf
	v_cmp_gt_f32_e32 vcc, v10, v11
	s_nop 1
	v_cndmask_b32_e32 v10, v11, v10, vcc
	s_nop 1
	v_mov_b32_dpp v11, v10 row_half_mirror row_mask:0xf bank_mask:0xf
	v_cmp_gt_f32_e32 vcc, v10, v11
	s_nop 1
	v_cndmask_b32_e32 v10, v11, v10, vcc
	s_nop 1
	v_mov_b32_dpp v11, v10 row_mirror row_mask:0xf bank_mask:0xf
	v_cmp_gt_f32_e32 vcc, v10, v11
	s_nop 1
	v_cndmask_b32_e32 v10, v11, v10, vcc
.LBB530_15:
	s_cbranch_execnz .LBB530_29
.LBB530_16:
	s_cmp_lt_i32 s14, 4
	s_cbranch_scc1 .LBB530_20
; %bb.17:
	s_cmp_lt_i32 s14, 8
	s_cbranch_scc1 .LBB530_21
; %bb.18:
	s_cmp_eq_u32 s14, 8
	s_waitcnt lgkmcnt(0)
	v_mov_b32_e32 v10, v1
	s_cbranch_scc0 .LBB530_22
; %bb.19:
	s_nop 0
	v_mov_b32_dpp v10, v1 quad_perm:[1,0,3,2] row_mask:0xf bank_mask:0xf
	v_cmp_gt_f32_e32 vcc, v1, v10
	s_nop 1
	v_cndmask_b32_e32 v10, v10, v1, vcc
	s_nop 1
	v_mov_b32_dpp v11, v10 quad_perm:[2,3,0,1] row_mask:0xf bank_mask:0xf
	v_cmp_gt_f32_e32 vcc, v10, v11
	s_nop 1
	v_cndmask_b32_e32 v10, v11, v10, vcc
	s_nop 1
	v_mov_b32_dpp v11, v10 row_half_mirror row_mask:0xf bank_mask:0xf
	v_cmp_gt_f32_e32 vcc, v10, v11
	s_nop 1
	v_cndmask_b32_e32 v10, v11, v10, vcc
	s_cbranch_execz .LBB530_23
	s_branch .LBB530_25
.LBB530_20:
                                        ; implicit-def: $vgpr10
	s_branch .LBB530_26
.LBB530_21:
                                        ; implicit-def: $vgpr10
	s_branch .LBB530_23
.LBB530_22:
	s_cbranch_execnz .LBB530_25
.LBB530_23:
	s_cmp_eq_u32 s14, 4
	s_waitcnt lgkmcnt(0)
	v_mov_b32_e32 v10, v1
	s_cbranch_scc0 .LBB530_25
; %bb.24:
	s_nop 0
	v_mov_b32_dpp v10, v1 quad_perm:[1,0,3,2] row_mask:0xf bank_mask:0xf
	v_cmp_gt_f32_e32 vcc, v1, v10
	s_nop 1
	v_cndmask_b32_e32 v10, v10, v1, vcc
	s_nop 1
	v_mov_b32_dpp v11, v10 quad_perm:[2,3,0,1] row_mask:0xf bank_mask:0xf
	v_cmp_gt_f32_e32 vcc, v10, v11
	s_nop 1
	v_cndmask_b32_e32 v10, v11, v10, vcc
.LBB530_25:
	s_cbranch_execnz .LBB530_29
.LBB530_26:
	s_cmp_lg_u32 s14, 2
	s_cbranch_scc1 .LBB530_28
; %bb.27:
	s_waitcnt lgkmcnt(0)
	v_mov_b32_dpp v10, v1 quad_perm:[1,0,3,2] row_mask:0xf bank_mask:0xf
	v_cmp_gt_f32_e32 vcc, v1, v10
	s_nop 1
	v_cndmask_b32_e32 v1, v10, v1, vcc
.LBB530_28:
	s_waitcnt lgkmcnt(0)
	v_mov_b32_e32 v10, v1
.LBB530_29:
	s_abs_i32 s6, s14
	v_cvt_f32_u32_e32 v1, s6
	s_sub_i32 s15, 0, s6
	s_waitcnt lgkmcnt(0)
	v_mul_f32_e32 v12, 0x3b888889, v10
	s_ashr_i32 s7, s14, 31
	v_rcp_iflag_f32_e32 v1, v1
	s_nop 0
	v_mul_f32_e32 v1, 0x4f7ffffe, v1
	v_cvt_u32_f32_e32 v1, v1
	v_mul_lo_u32 v10, s15, v1
	v_mul_hi_u32 v10, v1, v10
	v_add_u32_e32 v1, v1, v10
	v_mul_hi_u32 v1, v0, v1
	v_mul_lo_u32 v10, v1, s6
	v_sub_u32_e32 v10, v0, v10
	v_add_u32_e32 v11, 1, v1
	v_cmp_le_u32_e32 vcc, s6, v10
	s_nop 1
	v_cndmask_b32_e32 v1, v1, v11, vcc
	v_subrev_u32_e32 v11, s6, v10
	v_cndmask_b32_e32 v10, v10, v11, vcc
	v_add_u32_e32 v11, 1, v1
	v_cmp_le_u32_e32 vcc, s6, v10
	s_nop 1
	v_cndmask_b32_e32 v1, v1, v11, vcc
	v_xor_b32_e32 v1, s7, v1
	v_subrev_u32_e32 v10, s7, v1
	v_mul_lo_u32 v1, v10, s14
	v_sub_u32_e32 v0, v0, v1
	v_cmp_eq_u32_e32 vcc, 0, v0
	s_and_saveexec_b64 s[6:7], vcc
	s_cbranch_execz .LBB530_35
; %bb.30:
	s_load_dword s14, s[0:1], 0x24
	s_waitcnt lgkmcnt(0)
	s_bitcmp0_b32 s14, 0
	s_cbranch_scc0 .LBB530_32
; %bb.31:
	s_abs_i32 s14, s9
	v_cvt_f32_u32_e32 v0, s14
	s_sub_i32 s16, 0, s14
	s_abs_i32 s15, s10
	s_xor_b32 s9, s10, s9
	v_rcp_iflag_f32_e32 v0, v0
	s_ashr_i32 s9, s9, 31
	v_ashrrev_i32_e32 v11, 31, v10
	v_mov_b32_e32 v1, s2
	v_mul_f32_e32 v0, 0x4f7ffffe, v0
	v_cvt_u32_f32_e32 v0, v0
	s_nop 0
	v_readfirstlane_b32 s17, v0
	s_mul_i32 s16, s16, s17
	s_mul_hi_u32 s16, s17, s16
	s_add_i32 s17, s17, s16
	s_mul_hi_u32 s16, s15, s17
	s_mul_i32 s17, s16, s14
	s_sub_i32 s15, s15, s17
	s_add_i32 s18, s16, 1
	s_sub_i32 s17, s15, s14
	s_cmp_ge_u32 s15, s14
	s_cselect_b32 s16, s18, s16
	s_cselect_b32 s15, s17, s15
	s_add_i32 s17, s16, 1
	s_cmp_ge_u32 s15, s14
	s_cselect_b32 s14, s17, s16
	s_xor_b32 s14, s14, s9
	s_sub_i32 s9, s14, s9
	s_ashr_i32 s14, s9, 31
	s_mul_i32 s16, s14, s2
	v_mad_u64_u32 v[0:1], s[14:15], s9, v1, v[10:11]
	v_add_u32_e32 v1, s16, v1
	s_cbranch_execz .LBB530_33
	s_branch .LBB530_34
.LBB530_32:
                                        ; implicit-def: $vgpr0_vgpr1
.LBB530_33:
	s_load_dword s0, s[0:1], 0x28
	v_mov_b32_e32 v1, 0
	s_waitcnt lgkmcnt(0)
	v_mul_lo_u32 v0, s0, v10
	v_lshl_add_u64 v[0:1], v[0:1], 0, s[2:3]
.LBB530_34:
	v_lshl_add_u64 v[0:1], v[0:1], 2, s[12:13]
	global_store_dword v[0:1], v12, off
.LBB530_35:
	s_or_b64 exec, exec, s[6:7]
	s_add_i32 s0, s8, 3
	s_ashr_i32 s1, s0, 31
	s_lshr_b32 s1, s1, 30
	s_add_i32 s0, s0, s1
	s_and_b32 s6, s0, -4
	s_mul_i32 s0, s11, s2
	s_mul_hi_u32 s1, s10, s2
	s_add_i32 s1, s1, s0
	s_mul_i32 s0, s10, s2
	s_add_u32 s4, s4, s0
	;;#ASMSTART
	v_rcp_f32 v0, v12
	;;#ASMEND
	s_addc_u32 s0, s5, s1
	v_mov_b32_e32 v1, v0
	;;#ASMSTART
	v_pk_mul_f32 v[6:7], v[6:7], v[0:1]
	;;#ASMEND
	v_mov_b32_e32 v10, 0xc3700000
	v_mov_b32_e32 v11, 0x43700000
	;;#ASMSTART
	v_med3_f32 v6, v6, v10, v11
v_med3_f32 v7, v7, v10, v11
v_cvt_pk_fp8_f32 v12, v6, v7
	;;#ASMEND
	;;#ASMSTART
	v_pk_mul_f32 v[2:3], v[2:3], v[0:1]
	;;#ASMEND
	s_and_b32 s5, s0, 0xffff
	;;#ASMSTART
	v_med3_f32 v2, v2, v10, v11
v_med3_f32 v3, v3, v10, v11
v_cvt_pk_fp8_f32 v6, v2, v3
	;;#ASMEND
	s_mov_b32 s0, 0x5040100
	v_perm_b32 v3, v6, v12, s0
	s_movk_i32 s0, 0xff
	v_and_b32_e32 v2, 0xffffff00, v6
	v_and_b32_sdwa v6, v3, s0 dst_sel:DWORD dst_unused:UNUSED_PAD src0_sel:WORD_1 src1_sel:DWORD
	s_mov_b32 s1, 0xffff
	v_or_b32_sdwa v2, v6, v2 dst_sel:WORD_1 dst_unused:UNUSED_PAD src0_sel:DWORD src1_sel:DWORD
	;;#ASMSTART
	v_pk_mul_f32 v[6:7], v[8:9], v[0:1]
	;;#ASMEND
	s_mov_b32 s7, 0x20000
	v_and_or_b32 v2, v3, s1, v2
	v_mov_b32_e32 v3, v7
	;;#ASMSTART
	v_med3_f32 v6, v6, v10, v11
v_med3_f32 v3, v3, v10, v11
v_cvt_pk_fp8_f32 v7, v6, v3
	;;#ASMEND
	;;#ASMSTART
	v_pk_mul_f32 v[0:1], v[4:5], v[0:1]
	;;#ASMEND
	s_nop 0
	;;#ASMSTART
	v_med3_f32 v0, v0, v10, v11
v_med3_f32 v1, v1, v10, v11
v_cvt_pk_fp8_f32 v3, v0, v1
	;;#ASMEND
	s_nop 0
	v_lshlrev_b32_e32 v0, 16, v3
	v_and_or_b32 v3, v7, s1, v0
	buffer_store_dwordx2 v[2:3], v16, s[4:7], 0 offen
	;;#ASMSTART
	s_nop 0
	;;#ASMEND
.LBB530_36:
	s_endpgm
	.section	.rodata,"a",@progbits
	.p2align	6, 0x0
	.amdhsa_kernel _ZN5aiter24act_and_mul_quant_kernelItDB8_TnPFfRKT_EXadL_ZNS_11silu_kernelItEEfS4_EELi64ELi8ELb0EEEvPT0_PS3_Pfiifb
		.amdhsa_group_segment_fixed_size 0
		.amdhsa_private_segment_fixed_size 0
		.amdhsa_kernarg_size 296
		.amdhsa_user_sgpr_count 2
		.amdhsa_user_sgpr_dispatch_ptr 0
		.amdhsa_user_sgpr_queue_ptr 0
		.amdhsa_user_sgpr_kernarg_segment_ptr 1
		.amdhsa_user_sgpr_dispatch_id 0
		.amdhsa_user_sgpr_kernarg_preload_length 0
		.amdhsa_user_sgpr_kernarg_preload_offset 0
		.amdhsa_user_sgpr_private_segment_size 0
		.amdhsa_uses_dynamic_stack 0
		.amdhsa_enable_private_segment 0
		.amdhsa_system_sgpr_workgroup_id_x 1
		.amdhsa_system_sgpr_workgroup_id_y 0
		.amdhsa_system_sgpr_workgroup_id_z 0
		.amdhsa_system_sgpr_workgroup_info 0
		.amdhsa_system_vgpr_workitem_id 0
		.amdhsa_next_free_vgpr 32
		.amdhsa_next_free_sgpr 24
		.amdhsa_accum_offset 32
		.amdhsa_reserve_vcc 1
		.amdhsa_float_round_mode_32 0
		.amdhsa_float_round_mode_16_64 0
		.amdhsa_float_denorm_mode_32 3
		.amdhsa_float_denorm_mode_16_64 3
		.amdhsa_dx10_clamp 1
		.amdhsa_ieee_mode 1
		.amdhsa_fp16_overflow 0
		.amdhsa_tg_split 0
		.amdhsa_exception_fp_ieee_invalid_op 0
		.amdhsa_exception_fp_denorm_src 0
		.amdhsa_exception_fp_ieee_div_zero 0
		.amdhsa_exception_fp_ieee_overflow 0
		.amdhsa_exception_fp_ieee_underflow 0
		.amdhsa_exception_fp_ieee_inexact 0
		.amdhsa_exception_int_div_zero 0
	.end_amdhsa_kernel
	.section	.text._ZN5aiter24act_and_mul_quant_kernelItDB8_TnPFfRKT_EXadL_ZNS_11silu_kernelItEEfS4_EELi64ELi8ELb0EEEvPT0_PS3_Pfiifb,"axG",@progbits,_ZN5aiter24act_and_mul_quant_kernelItDB8_TnPFfRKT_EXadL_ZNS_11silu_kernelItEEfS4_EELi64ELi8ELb0EEEvPT0_PS3_Pfiifb,comdat
.Lfunc_end530:
	.size	_ZN5aiter24act_and_mul_quant_kernelItDB8_TnPFfRKT_EXadL_ZNS_11silu_kernelItEEfS4_EELi64ELi8ELb0EEEvPT0_PS3_Pfiifb, .Lfunc_end530-_ZN5aiter24act_and_mul_quant_kernelItDB8_TnPFfRKT_EXadL_ZNS_11silu_kernelItEEfS4_EELi64ELi8ELb0EEEvPT0_PS3_Pfiifb
                                        ; -- End function
	.section	.AMDGPU.csdata,"",@progbits
; Kernel info:
; codeLenInByte = 2564
; NumSgprs: 30
; NumVgprs: 32
; NumAgprs: 0
; TotalNumVgprs: 32
; ScratchSize: 0
; MemoryBound: 0
; FloatMode: 240
; IeeeMode: 1
; LDSByteSize: 0 bytes/workgroup (compile time only)
; SGPRBlocks: 3
; VGPRBlocks: 3
; NumSGPRsForWavesPerEU: 30
; NumVGPRsForWavesPerEU: 32
; AccumOffset: 32
; Occupancy: 8
; WaveLimiterHint : 0
; COMPUTE_PGM_RSRC2:SCRATCH_EN: 0
; COMPUTE_PGM_RSRC2:USER_SGPR: 2
; COMPUTE_PGM_RSRC2:TRAP_HANDLER: 0
; COMPUTE_PGM_RSRC2:TGID_X_EN: 1
; COMPUTE_PGM_RSRC2:TGID_Y_EN: 0
; COMPUTE_PGM_RSRC2:TGID_Z_EN: 0
; COMPUTE_PGM_RSRC2:TIDIG_COMP_CNT: 0
; COMPUTE_PGM_RSRC3_GFX90A:ACCUM_OFFSET: 7
; COMPUTE_PGM_RSRC3_GFX90A:TG_SPLIT: 0
	.section	.text._ZN5aiter24act_and_mul_quant_kernelIDF16_DB8_TnPFfRKT_EXadL_ZNS_11silu_kernelIDF16_EEfS4_EELi128ELi8ELb0EEEvPT0_PS3_Pfiifb,"axG",@progbits,_ZN5aiter24act_and_mul_quant_kernelIDF16_DB8_TnPFfRKT_EXadL_ZNS_11silu_kernelIDF16_EEfS4_EELi128ELi8ELb0EEEvPT0_PS3_Pfiifb,comdat
	.protected	_ZN5aiter24act_and_mul_quant_kernelIDF16_DB8_TnPFfRKT_EXadL_ZNS_11silu_kernelIDF16_EEfS4_EELi128ELi8ELb0EEEvPT0_PS3_Pfiifb ; -- Begin function _ZN5aiter24act_and_mul_quant_kernelIDF16_DB8_TnPFfRKT_EXadL_ZNS_11silu_kernelIDF16_EEfS4_EELi128ELi8ELb0EEEvPT0_PS3_Pfiifb
	.globl	_ZN5aiter24act_and_mul_quant_kernelIDF16_DB8_TnPFfRKT_EXadL_ZNS_11silu_kernelIDF16_EEfS4_EELi128ELi8ELb0EEEvPT0_PS3_Pfiifb
	.p2align	8
	.type	_ZN5aiter24act_and_mul_quant_kernelIDF16_DB8_TnPFfRKT_EXadL_ZNS_11silu_kernelIDF16_EEfS4_EELi128ELi8ELb0EEEvPT0_PS3_Pfiifb,@function
_ZN5aiter24act_and_mul_quant_kernelIDF16_DB8_TnPFfRKT_EXadL_ZNS_11silu_kernelIDF16_EEfS4_EELi128ELi8ELb0EEEvPT0_PS3_Pfiifb: ; @_ZN5aiter24act_and_mul_quant_kernelIDF16_DB8_TnPFfRKT_EXadL_ZNS_11silu_kernelIDF16_EEfS4_EELi128ELi8ELb0EEEvPT0_PS3_Pfiifb
; %bb.0:
	s_load_dwordx2 s[8:9], s[0:1], 0x18
	v_lshlrev_b32_e32 v18, 3, v0
	s_waitcnt lgkmcnt(0)
	v_cmp_gt_i32_e32 vcc, s8, v18
	s_and_saveexec_b64 s[4:5], vcc
	s_cbranch_execz .LBB531_36
; %bb.1:
	s_load_dwordx4 s[4:7], s[0:1], 0x0
	s_load_dwordx2 s[12:13], s[0:1], 0x10
	s_ashr_i32 s11, s8, 31
	s_mul_hi_u32 s3, s2, s8
	s_mul_i32 s14, s2, s11
	s_add_i32 s15, s3, s14
	s_mul_i32 s14, s2, s8
	s_lshl_b64 s[14:15], s[14:15], 2
	s_mov_b32 s10, s8
	s_waitcnt lgkmcnt(0)
	s_add_u32 s16, s6, s14
	s_addc_u32 s3, s7, s15
	s_lshl_b64 s[6:7], s[10:11], 1
	s_add_u32 s20, s16, s6
	s_addc_u32 s6, s3, s7
	s_lshl_b32 s7, s8, 1
	s_add_i32 s7, s7, 2
	s_and_b32 s22, s7, -4
	s_mov_b32 s23, 0x20000
	s_and_b32 s21, s6, 0xffff
	s_and_b32 s17, s3, 0xffff
	s_mov_b32 s18, s22
	v_lshlrev_b32_e32 v1, 4, v0
	s_mov_b32 s19, s23
	buffer_load_dwordx4 v[2:5], v1, s[20:23], 0 offen sc0 nt
	buffer_load_dwordx4 v[6:9], v1, s[16:19], 0 offen sc0 nt
	s_mov_b32 s7, 0xbfb8aa3b
	s_mov_b32 s15, 0xb2a5705f
	;; [unrolled: 1-line block ×4, first 2 shown]
	v_mov_b32_e32 v1, 0x7f800000
	s_mov_b32 s3, 0
	s_waitcnt vmcnt(1)
	v_cvt_f32_f16_e32 v10, v4
	s_waitcnt vmcnt(0)
	v_cvt_f32_f16_e32 v16, v6
	v_cvt_f32_f16_sdwa v17, v6 dst_sel:DWORD dst_unused:UNUSED_PAD src0_sel:WORD_1
	v_cvt_f32_f16_e32 v20, v7
	v_cvt_f32_f16_sdwa v21, v7 dst_sel:DWORD dst_unused:UNUSED_PAD src0_sel:WORD_1
	v_cvt_f32_f16_sdwa v11, v4 dst_sel:DWORD dst_unused:UNUSED_PAD src0_sel:WORD_1
	v_mul_f32_e32 v4, 0xbfb8aa3b, v16
	v_mul_f32_e32 v13, 0xbfb8aa3b, v17
	v_fma_mix_f32 v24, v6, s7, -v4 op_sel_hi:[1,0,0]
	v_rndne_f32_e32 v25, v4
	v_mul_f32_e32 v19, 0xbfb8aa3b, v20
	v_fma_mix_f32 v26, v6, s7, -v13 op_sel:[1,0,0] op_sel_hi:[1,0,0]
	v_rndne_f32_e32 v27, v13
	v_fma_mix_f32 v24, v6, s15, v24 op_sel_hi:[1,0,0]
	v_sub_f32_e32 v4, v4, v25
	v_mul_f32_e32 v22, 0xbfb8aa3b, v21
	v_fma_mix_f32 v28, v7, s7, -v19 op_sel_hi:[1,0,0]
	v_rndne_f32_e32 v29, v19
	v_fma_mix_f32 v6, v6, s15, v26 op_sel:[1,0,0] op_sel_hi:[1,0,0]
	v_sub_f32_e32 v13, v13, v27
	v_add_f32_e32 v4, v4, v24
	v_fma_mix_f32 v30, v7, s7, -v22 op_sel:[1,0,0] op_sel_hi:[1,0,0]
	v_rndne_f32_e32 v31, v22
	v_cvt_i32_f32_e32 v25, v25
	v_cvt_i32_f32_e32 v26, v27
	v_fma_mix_f32 v27, v7, s15, v28 op_sel_hi:[1,0,0]
	v_sub_f32_e32 v19, v19, v29
	v_add_f32_e32 v6, v13, v6
	v_exp_f32_e32 v4, v4
	v_fma_mix_f32 v7, v7, s15, v30 op_sel:[1,0,0] op_sel_hi:[1,0,0]
	v_sub_f32_e32 v22, v22, v31
	v_add_f32_e32 v13, v19, v27
	v_exp_f32_e32 v6, v6
	v_cvt_i32_f32_e32 v28, v29
	v_add_f32_e32 v7, v22, v7
	v_exp_f32_e32 v13, v13
	v_cvt_i32_f32_e32 v29, v31
	v_exp_f32_e32 v7, v7
	v_ldexp_f32 v4, v4, v25
	v_cmp_nlt_f32_e32 vcc, s6, v16
	v_ldexp_f32 v6, v6, v26
	v_ldexp_f32 v13, v13, v28
	v_cndmask_b32_e32 v4, 0, v4, vcc
	v_cmp_nlt_f32_e32 vcc, s6, v17
	v_cvt_f32_f16_e32 v12, v8
	v_ldexp_f32 v7, v7, v29
	v_cndmask_b32_e32 v6, 0, v6, vcc
	v_cmp_nlt_f32_e32 vcc, s6, v20
	v_mul_f32_e32 v23, 0xbfb8aa3b, v12
	v_rndne_f32_e32 v33, v23
	v_cndmask_b32_e32 v13, 0, v13, vcc
	v_cmp_nlt_f32_e32 vcc, s6, v21
	v_fma_mix_f32 v32, v8, s7, -v23 op_sel_hi:[1,0,0]
	v_sub_f32_e32 v31, v23, v33
	v_cndmask_b32_e32 v7, 0, v7, vcc
	v_cmp_ngt_f32_e32 vcc, s14, v16
	v_cvt_f32_f16_e32 v14, v2
	v_fma_mix_f32 v30, v8, s15, v32 op_sel_hi:[1,0,0]
	v_cndmask_b32_e32 v4, v1, v4, vcc
	v_cmp_ngt_f32_e32 vcc, s14, v17
	v_add_f32_e32 v4, 1.0, v4
	v_cvt_f32_f16_sdwa v15, v2 dst_sel:DWORD dst_unused:UNUSED_PAD src0_sel:WORD_1
	v_cndmask_b32_e32 v6, v1, v6, vcc
	v_cmp_ngt_f32_e32 vcc, s14, v20
	v_add_f32_e32 v19, 1.0, v6
	v_rcp_f32_e32 v6, v4
	v_cndmask_b32_e32 v13, v1, v13, vcc
	v_cmp_ngt_f32_e32 vcc, s14, v21
	v_add_f32_e32 v13, 1.0, v13
	v_rcp_f32_e32 v22, v13
	v_cndmask_b32_e32 v7, v1, v7, vcc
	v_add_f32_e32 v23, 1.0, v7
	v_rcp_f32_e32 v7, v19
	v_cvt_f32_f16_sdwa v13, v8 dst_sel:DWORD dst_unused:UNUSED_PAD src0_sel:WORD_1
	v_rcp_f32_e32 v23, v23
	v_add_f32_e32 v4, v31, v30
	v_pk_mul_f32 v[6:7], v[6:7], v[16:17]
	v_cvt_i32_f32_e32 v32, v33
	;;#ASMSTART
	v_pk_mul_f32 v[6:7], v[6:7], v[14:15]
	;;#ASMEND
	v_mul_f32_e32 v14, 0xbfb8aa3b, v13
	v_exp_f32_e32 v4, v4
	v_fma_mix_f32 v15, v8, s7, -v14 op_sel:[1,0,0] op_sel_hi:[1,0,0]
	v_cvt_f32_f16_e32 v2, v3
	v_fma_mix_f32 v8, v8, s15, v15 op_sel:[1,0,0] op_sel_hi:[1,0,0]
	v_rndne_f32_e32 v15, v14
	v_sub_f32_e32 v14, v14, v15
	v_cvt_f32_f16_sdwa v3, v3 dst_sel:DWORD dst_unused:UNUSED_PAD src0_sel:WORD_1
	v_pk_mul_f32 v[16:17], v[22:23], v[20:21]
	v_add_f32_e32 v8, v14, v8
	;;#ASMSTART
	v_pk_mul_f32 v[2:3], v[16:17], v[2:3]
	;;#ASMEND
	v_ldexp_f32 v4, v4, v32
	v_cmp_nlt_f32_e32 vcc, s6, v12
	v_exp_f32_e32 v8, v8
	v_cvt_i32_f32_e32 v15, v15
	v_cvt_f32_f16_e32 v16, v9
	v_cndmask_b32_e32 v4, 0, v4, vcc
	v_cmp_ngt_f32_e32 vcc, s14, v12
	s_nop 1
	v_cndmask_b32_e32 v4, v1, v4, vcc
	v_add_f32_e32 v4, 1.0, v4
	v_rcp_f32_e32 v14, v4
	v_ldexp_f32 v4, v8, v15
	v_mul_f32_e32 v8, 0xbfb8aa3b, v16
	v_fma_mix_f32 v15, v9, s7, -v8 op_sel_hi:[1,0,0]
	v_rndne_f32_e32 v17, v8
	v_fma_mix_f32 v15, v9, s15, v15 op_sel_hi:[1,0,0]
	v_sub_f32_e32 v8, v8, v17
	v_add_f32_e32 v8, v8, v15
	v_exp_f32_e32 v8, v8
	v_cvt_i32_f32_e32 v19, v17
	v_cvt_f32_f16_sdwa v17, v9 dst_sel:DWORD dst_unused:UNUSED_PAD src0_sel:WORD_1
	v_cmp_nlt_f32_e32 vcc, s6, v13
	v_ldexp_f32 v8, v8, v19
	v_mul_f32_e32 v19, 0xbfb8aa3b, v17
	v_fma_mix_f32 v20, v9, s7, -v19 op_sel:[1,0,0] op_sel_hi:[1,0,0]
	v_cndmask_b32_e32 v4, 0, v4, vcc
	v_fma_mix_f32 v9, v9, s15, v20 op_sel:[1,0,0] op_sel_hi:[1,0,0]
	v_rndne_f32_e32 v20, v19
	v_sub_f32_e32 v19, v19, v20
	v_cmp_ngt_f32_e32 vcc, s14, v13
	v_add_f32_e32 v9, v19, v9
	v_exp_f32_e32 v9, v9
	v_cndmask_b32_e32 v4, v1, v4, vcc
	v_cmp_nlt_f32_e32 vcc, s6, v16
	v_cvt_i32_f32_e32 v19, v20
	v_add_f32_e32 v4, 1.0, v4
	v_cndmask_b32_e32 v8, 0, v8, vcc
	v_cmp_ngt_f32_e32 vcc, s14, v16
	v_rcp_f32_e32 v15, v4
	v_cvt_f32_f16_e32 v4, v5
	v_cndmask_b32_e32 v8, v1, v8, vcc
	v_add_f32_e32 v8, 1.0, v8
	v_rcp_f32_e32 v20, v8
	v_ldexp_f32 v8, v9, v19
	v_cmp_nlt_f32_e32 vcc, s6, v17
	s_ashr_i32 s6, s9, 31
	v_cvt_f32_f16_sdwa v5, v5 dst_sel:DWORD dst_unused:UNUSED_PAD src0_sel:WORD_1
	v_cndmask_b32_e32 v8, 0, v8, vcc
	v_cmp_ngt_f32_e32 vcc, s14, v17
	s_lshr_b32 s6, s6, 29
	s_add_i32 s6, s9, s6
	v_cndmask_b32_e32 v1, v1, v8, vcc
	v_add_f32_e32 v1, 1.0, v1
	v_rcp_f32_e32 v21, v1
	v_pk_mul_f32 v[8:9], v[14:15], v[12:13]
	v_and_b32_e32 v1, 0x7fffffff, v6
	;;#ASMSTART
	v_pk_mul_f32 v[8:9], v[8:9], v[10:11]
	;;#ASMEND
	v_pk_mul_f32 v[10:11], v[20:21], v[16:17]
	s_ashr_i32 s14, s6, 3
	;;#ASMSTART
	v_pk_mul_f32 v[4:5], v[10:11], v[4:5]
	;;#ASMEND
	v_and_b32_e32 v10, 0x7fffffff, v7
	v_mov_b32_e32 v11, 0x2edbe6ff
	;;#ASMSTART
	v_max3_f32 v1, v11, v1, v10

	;;#ASMEND
	v_and_b32_e32 v10, 0x7fffffff, v2
	v_and_b32_e32 v11, 0x7fffffff, v3
	;;#ASMSTART
	v_max3_f32 v1, v1, v10, v11

	;;#ASMEND
	v_and_b32_e32 v10, 0x7fffffff, v8
	v_and_b32_e32 v11, 0x7fffffff, v9
	;;#ASMSTART
	v_max3_f32 v1, v1, v10, v11

	;;#ASMEND
	s_cmp_lt_i32 s14, 16
	v_and_b32_e32 v10, 0x7fffffff, v4
	v_and_b32_e32 v11, 0x7fffffff, v5
	;;#ASMSTART
	v_max3_f32 v1, v1, v10, v11

	;;#ASMEND
	s_cbranch_scc1 .LBB531_7
; %bb.2:
	s_cmp_lt_i32 s14, 32
	s_cbranch_scc1 .LBB531_8
; %bb.3:
	s_cmp_lt_i32 s14, 64
	s_cbranch_scc1 .LBB531_9
; %bb.4:
	s_cmp_eq_u32 s14, 64
	v_mov_b32_e32 v10, v1
	s_cbranch_scc0 .LBB531_6
; %bb.5:
	s_nop 0
	v_mov_b32_dpp v10, v1 quad_perm:[1,0,3,2] row_mask:0xf bank_mask:0xf
	v_cmp_gt_f32_e32 vcc, v1, v10
	v_bfrev_b32_e32 v12, 0.5
	s_nop 0
	v_cndmask_b32_e32 v10, v10, v1, vcc
	s_nop 1
	v_mov_b32_dpp v11, v10 quad_perm:[2,3,0,1] row_mask:0xf bank_mask:0xf
	v_cmp_gt_f32_e32 vcc, v10, v11
	s_nop 1
	v_cndmask_b32_e32 v10, v11, v10, vcc
	s_nop 1
	v_mov_b32_dpp v11, v10 row_ror:4 row_mask:0xf bank_mask:0xf
	v_cmp_gt_f32_e32 vcc, v10, v11
	s_nop 1
	v_cndmask_b32_e32 v10, v11, v10, vcc
	s_nop 1
	v_mov_b32_dpp v11, v10 row_ror:8 row_mask:0xf bank_mask:0xf
	v_cmp_gt_f32_e32 vcc, v10, v11
	s_nop 1
	v_cndmask_b32_e32 v10, v11, v10, vcc
	s_nop 1
	v_mov_b32_dpp v11, v10 row_bcast:15 row_mask:0xf bank_mask:0xf
	v_cmp_gt_f32_e32 vcc, v10, v11
	s_nop 1
	v_cndmask_b32_e32 v10, v11, v10, vcc
	s_nop 1
	v_mov_b32_dpp v11, v10 row_bcast:31 row_mask:0xf bank_mask:0xf
	v_cmp_gt_f32_e32 vcc, v10, v11
	s_nop 1
	v_cndmask_b32_e32 v10, v11, v10, vcc
	v_mbcnt_lo_u32_b32 v11, -1, 0
	v_mbcnt_hi_u32_b32 v11, -1, v11
	v_lshl_or_b32 v11, v11, 2, v12
	ds_bpermute_b32 v10, v11, v10
.LBB531_6:
	s_cbranch_execz .LBB531_10
	s_branch .LBB531_12
.LBB531_7:
                                        ; implicit-def: $vgpr10
	s_branch .LBB531_16
.LBB531_8:
                                        ; implicit-def: $vgpr10
	s_branch .LBB531_13
.LBB531_9:
                                        ; implicit-def: $vgpr10
.LBB531_10:
	s_cmp_eq_u32 s14, 32
	s_waitcnt lgkmcnt(0)
	v_mov_b32_e32 v10, v1
	s_cbranch_scc0 .LBB531_12
; %bb.11:
	s_nop 0
	v_mov_b32_dpp v10, v1 quad_perm:[1,0,3,2] row_mask:0xf bank_mask:0xf
	v_cmp_gt_f32_e32 vcc, v1, v10
	v_mov_b32_e32 v12, 0x7c
	s_nop 0
	v_cndmask_b32_e32 v10, v10, v1, vcc
	s_nop 1
	v_mov_b32_dpp v11, v10 quad_perm:[2,3,0,1] row_mask:0xf bank_mask:0xf
	v_cmp_gt_f32_e32 vcc, v10, v11
	s_nop 1
	v_cndmask_b32_e32 v10, v11, v10, vcc
	s_nop 1
	v_mov_b32_dpp v11, v10 row_half_mirror row_mask:0xf bank_mask:0xf
	v_cmp_gt_f32_e32 vcc, v10, v11
	s_nop 1
	v_cndmask_b32_e32 v10, v11, v10, vcc
	s_nop 1
	v_mov_b32_dpp v11, v10 row_mirror row_mask:0xf bank_mask:0xf
	v_cmp_gt_f32_e32 vcc, v10, v11
	s_nop 1
	v_cndmask_b32_e32 v10, v11, v10, vcc
	s_nop 1
	v_mov_b32_dpp v11, v10 row_bcast:15 row_mask:0xa bank_mask:0xf
	v_cmp_gt_f32_e32 vcc, v10, v11
	s_nop 1
	v_cndmask_b32_e32 v10, v11, v10, vcc
	v_mbcnt_lo_u32_b32 v11, -1, 0
	v_mbcnt_hi_u32_b32 v11, -1, v11
	v_lshl_or_b32 v11, v11, 2, v12
	ds_bpermute_b32 v10, v11, v10
.LBB531_12:
	s_cbranch_execnz .LBB531_15
.LBB531_13:
	s_cmp_eq_u32 s14, 16
	s_waitcnt lgkmcnt(0)
	v_mov_b32_e32 v10, v1
	s_cbranch_scc0 .LBB531_15
; %bb.14:
	s_nop 0
	v_mov_b32_dpp v10, v1 quad_perm:[1,0,3,2] row_mask:0xf bank_mask:0xf
	v_cmp_gt_f32_e32 vcc, v1, v10
	s_nop 1
	v_cndmask_b32_e32 v10, v10, v1, vcc
	s_nop 1
	v_mov_b32_dpp v11, v10 quad_perm:[2,3,0,1] row_mask:0xf bank_mask:0xf
	v_cmp_gt_f32_e32 vcc, v10, v11
	s_nop 1
	v_cndmask_b32_e32 v10, v11, v10, vcc
	s_nop 1
	v_mov_b32_dpp v11, v10 row_half_mirror row_mask:0xf bank_mask:0xf
	v_cmp_gt_f32_e32 vcc, v10, v11
	s_nop 1
	v_cndmask_b32_e32 v10, v11, v10, vcc
	s_nop 1
	v_mov_b32_dpp v11, v10 row_mirror row_mask:0xf bank_mask:0xf
	v_cmp_gt_f32_e32 vcc, v10, v11
	s_nop 1
	v_cndmask_b32_e32 v10, v11, v10, vcc
.LBB531_15:
	s_cbranch_execnz .LBB531_29
.LBB531_16:
	s_cmp_lt_i32 s14, 4
	s_cbranch_scc1 .LBB531_20
; %bb.17:
	s_cmp_lt_i32 s14, 8
	s_cbranch_scc1 .LBB531_21
; %bb.18:
	s_cmp_eq_u32 s14, 8
	s_waitcnt lgkmcnt(0)
	v_mov_b32_e32 v10, v1
	s_cbranch_scc0 .LBB531_22
; %bb.19:
	s_nop 0
	v_mov_b32_dpp v10, v1 quad_perm:[1,0,3,2] row_mask:0xf bank_mask:0xf
	v_cmp_gt_f32_e32 vcc, v1, v10
	s_nop 1
	v_cndmask_b32_e32 v10, v10, v1, vcc
	s_nop 1
	v_mov_b32_dpp v11, v10 quad_perm:[2,3,0,1] row_mask:0xf bank_mask:0xf
	v_cmp_gt_f32_e32 vcc, v10, v11
	s_nop 1
	v_cndmask_b32_e32 v10, v11, v10, vcc
	s_nop 1
	v_mov_b32_dpp v11, v10 row_half_mirror row_mask:0xf bank_mask:0xf
	v_cmp_gt_f32_e32 vcc, v10, v11
	s_nop 1
	v_cndmask_b32_e32 v10, v11, v10, vcc
	s_cbranch_execz .LBB531_23
	s_branch .LBB531_25
.LBB531_20:
                                        ; implicit-def: $vgpr10
	s_branch .LBB531_26
.LBB531_21:
                                        ; implicit-def: $vgpr10
	s_branch .LBB531_23
.LBB531_22:
	s_cbranch_execnz .LBB531_25
.LBB531_23:
	s_cmp_eq_u32 s14, 4
	s_waitcnt lgkmcnt(0)
	v_mov_b32_e32 v10, v1
	s_cbranch_scc0 .LBB531_25
; %bb.24:
	s_nop 0
	v_mov_b32_dpp v10, v1 quad_perm:[1,0,3,2] row_mask:0xf bank_mask:0xf
	v_cmp_gt_f32_e32 vcc, v1, v10
	s_nop 1
	v_cndmask_b32_e32 v10, v10, v1, vcc
	s_nop 1
	v_mov_b32_dpp v11, v10 quad_perm:[2,3,0,1] row_mask:0xf bank_mask:0xf
	v_cmp_gt_f32_e32 vcc, v10, v11
	s_nop 1
	v_cndmask_b32_e32 v10, v11, v10, vcc
.LBB531_25:
	s_cbranch_execnz .LBB531_29
.LBB531_26:
	s_cmp_lg_u32 s14, 2
	s_cbranch_scc1 .LBB531_28
; %bb.27:
	s_waitcnt lgkmcnt(0)
	v_mov_b32_dpp v10, v1 quad_perm:[1,0,3,2] row_mask:0xf bank_mask:0xf
	v_cmp_gt_f32_e32 vcc, v1, v10
	s_nop 1
	v_cndmask_b32_e32 v1, v10, v1, vcc
.LBB531_28:
	s_waitcnt lgkmcnt(0)
	v_mov_b32_e32 v10, v1
.LBB531_29:
	s_abs_i32 s6, s14
	v_cvt_f32_u32_e32 v1, s6
	s_sub_i32 s15, 0, s6
	s_waitcnt lgkmcnt(0)
	v_mul_f32_e32 v12, 0x3b888889, v10
	s_ashr_i32 s7, s14, 31
	v_rcp_iflag_f32_e32 v1, v1
	s_nop 0
	v_mul_f32_e32 v1, 0x4f7ffffe, v1
	v_cvt_u32_f32_e32 v1, v1
	v_mul_lo_u32 v10, s15, v1
	v_mul_hi_u32 v10, v1, v10
	v_add_u32_e32 v1, v1, v10
	v_mul_hi_u32 v1, v0, v1
	v_mul_lo_u32 v10, v1, s6
	v_sub_u32_e32 v10, v0, v10
	v_add_u32_e32 v11, 1, v1
	v_cmp_le_u32_e32 vcc, s6, v10
	s_nop 1
	v_cndmask_b32_e32 v1, v1, v11, vcc
	v_subrev_u32_e32 v11, s6, v10
	v_cndmask_b32_e32 v10, v10, v11, vcc
	v_add_u32_e32 v11, 1, v1
	v_cmp_le_u32_e32 vcc, s6, v10
	s_nop 1
	v_cndmask_b32_e32 v1, v1, v11, vcc
	v_xor_b32_e32 v1, s7, v1
	v_subrev_u32_e32 v10, s7, v1
	v_mul_lo_u32 v1, v10, s14
	v_sub_u32_e32 v0, v0, v1
	v_cmp_eq_u32_e32 vcc, 0, v0
	s_and_saveexec_b64 s[6:7], vcc
	s_cbranch_execz .LBB531_35
; %bb.30:
	s_load_dword s14, s[0:1], 0x24
	s_waitcnt lgkmcnt(0)
	s_bitcmp0_b32 s14, 0
	s_cbranch_scc0 .LBB531_32
; %bb.31:
	s_abs_i32 s14, s9
	v_cvt_f32_u32_e32 v0, s14
	s_sub_i32 s16, 0, s14
	s_abs_i32 s15, s10
	s_xor_b32 s9, s10, s9
	v_rcp_iflag_f32_e32 v0, v0
	s_ashr_i32 s9, s9, 31
	v_ashrrev_i32_e32 v11, 31, v10
	v_mov_b32_e32 v1, s2
	v_mul_f32_e32 v0, 0x4f7ffffe, v0
	v_cvt_u32_f32_e32 v0, v0
	s_nop 0
	v_readfirstlane_b32 s17, v0
	s_mul_i32 s16, s16, s17
	s_mul_hi_u32 s16, s17, s16
	s_add_i32 s17, s17, s16
	s_mul_hi_u32 s16, s15, s17
	s_mul_i32 s17, s16, s14
	s_sub_i32 s15, s15, s17
	s_add_i32 s18, s16, 1
	s_sub_i32 s17, s15, s14
	s_cmp_ge_u32 s15, s14
	s_cselect_b32 s16, s18, s16
	s_cselect_b32 s15, s17, s15
	s_add_i32 s17, s16, 1
	s_cmp_ge_u32 s15, s14
	s_cselect_b32 s14, s17, s16
	s_xor_b32 s14, s14, s9
	s_sub_i32 s9, s14, s9
	s_ashr_i32 s14, s9, 31
	s_mul_i32 s16, s14, s2
	v_mad_u64_u32 v[0:1], s[14:15], s9, v1, v[10:11]
	v_add_u32_e32 v1, s16, v1
	s_cbranch_execz .LBB531_33
	s_branch .LBB531_34
.LBB531_32:
                                        ; implicit-def: $vgpr0_vgpr1
.LBB531_33:
	s_load_dword s0, s[0:1], 0x28
	v_mov_b32_e32 v1, 0
	s_waitcnt lgkmcnt(0)
	v_mul_lo_u32 v0, s0, v10
	v_lshl_add_u64 v[0:1], v[0:1], 0, s[2:3]
.LBB531_34:
	v_lshl_add_u64 v[0:1], v[0:1], 2, s[12:13]
	global_store_dword v[0:1], v12, off
.LBB531_35:
	s_or_b64 exec, exec, s[6:7]
	s_add_i32 s0, s8, 3
	s_ashr_i32 s1, s0, 31
	s_lshr_b32 s1, s1, 30
	s_add_i32 s0, s0, s1
	s_and_b32 s6, s0, -4
	s_mul_i32 s0, s11, s2
	s_mul_hi_u32 s1, s10, s2
	s_add_i32 s1, s1, s0
	s_mul_i32 s0, s10, s2
	s_add_u32 s4, s4, s0
	;;#ASMSTART
	v_rcp_f32 v0, v12
	;;#ASMEND
	s_addc_u32 s0, s5, s1
	v_mov_b32_e32 v1, v0
	;;#ASMSTART
	v_pk_mul_f32 v[6:7], v[6:7], v[0:1]
	;;#ASMEND
	v_mov_b32_e32 v10, 0xc3700000
	v_mov_b32_e32 v11, 0x43700000
	;;#ASMSTART
	v_med3_f32 v6, v6, v10, v11
v_med3_f32 v7, v7, v10, v11
v_cvt_pk_fp8_f32 v12, v6, v7
	;;#ASMEND
	;;#ASMSTART
	v_pk_mul_f32 v[2:3], v[2:3], v[0:1]
	;;#ASMEND
	s_and_b32 s5, s0, 0xffff
	;;#ASMSTART
	v_med3_f32 v2, v2, v10, v11
v_med3_f32 v3, v3, v10, v11
v_cvt_pk_fp8_f32 v6, v2, v3
	;;#ASMEND
	s_mov_b32 s0, 0x5040100
	v_perm_b32 v3, v6, v12, s0
	s_movk_i32 s0, 0xff
	v_and_b32_e32 v2, 0xffffff00, v6
	v_and_b32_sdwa v6, v3, s0 dst_sel:DWORD dst_unused:UNUSED_PAD src0_sel:WORD_1 src1_sel:DWORD
	s_mov_b32 s1, 0xffff
	v_or_b32_sdwa v2, v6, v2 dst_sel:WORD_1 dst_unused:UNUSED_PAD src0_sel:DWORD src1_sel:DWORD
	;;#ASMSTART
	v_pk_mul_f32 v[6:7], v[8:9], v[0:1]
	;;#ASMEND
	s_mov_b32 s7, 0x20000
	v_and_or_b32 v2, v3, s1, v2
	v_mov_b32_e32 v3, v7
	;;#ASMSTART
	v_med3_f32 v6, v6, v10, v11
v_med3_f32 v3, v3, v10, v11
v_cvt_pk_fp8_f32 v7, v6, v3
	;;#ASMEND
	;;#ASMSTART
	v_pk_mul_f32 v[0:1], v[4:5], v[0:1]
	;;#ASMEND
	s_nop 0
	;;#ASMSTART
	v_med3_f32 v0, v0, v10, v11
v_med3_f32 v1, v1, v10, v11
v_cvt_pk_fp8_f32 v3, v0, v1
	;;#ASMEND
	s_nop 0
	v_lshlrev_b32_e32 v0, 16, v3
	v_and_or_b32 v3, v7, s1, v0
	buffer_store_dwordx2 v[2:3], v18, s[4:7], 0 offen
	;;#ASMSTART
	s_nop 0
	;;#ASMEND
.LBB531_36:
	s_endpgm
	.section	.rodata,"a",@progbits
	.p2align	6, 0x0
	.amdhsa_kernel _ZN5aiter24act_and_mul_quant_kernelIDF16_DB8_TnPFfRKT_EXadL_ZNS_11silu_kernelIDF16_EEfS4_EELi128ELi8ELb0EEEvPT0_PS3_Pfiifb
		.amdhsa_group_segment_fixed_size 0
		.amdhsa_private_segment_fixed_size 0
		.amdhsa_kernarg_size 296
		.amdhsa_user_sgpr_count 2
		.amdhsa_user_sgpr_dispatch_ptr 0
		.amdhsa_user_sgpr_queue_ptr 0
		.amdhsa_user_sgpr_kernarg_segment_ptr 1
		.amdhsa_user_sgpr_dispatch_id 0
		.amdhsa_user_sgpr_kernarg_preload_length 0
		.amdhsa_user_sgpr_kernarg_preload_offset 0
		.amdhsa_user_sgpr_private_segment_size 0
		.amdhsa_uses_dynamic_stack 0
		.amdhsa_enable_private_segment 0
		.amdhsa_system_sgpr_workgroup_id_x 1
		.amdhsa_system_sgpr_workgroup_id_y 0
		.amdhsa_system_sgpr_workgroup_id_z 0
		.amdhsa_system_sgpr_workgroup_info 0
		.amdhsa_system_vgpr_workitem_id 0
		.amdhsa_next_free_vgpr 34
		.amdhsa_next_free_sgpr 24
		.amdhsa_accum_offset 36
		.amdhsa_reserve_vcc 1
		.amdhsa_float_round_mode_32 0
		.amdhsa_float_round_mode_16_64 0
		.amdhsa_float_denorm_mode_32 3
		.amdhsa_float_denorm_mode_16_64 3
		.amdhsa_dx10_clamp 1
		.amdhsa_ieee_mode 1
		.amdhsa_fp16_overflow 0
		.amdhsa_tg_split 0
		.amdhsa_exception_fp_ieee_invalid_op 0
		.amdhsa_exception_fp_denorm_src 0
		.amdhsa_exception_fp_ieee_div_zero 0
		.amdhsa_exception_fp_ieee_overflow 0
		.amdhsa_exception_fp_ieee_underflow 0
		.amdhsa_exception_fp_ieee_inexact 0
		.amdhsa_exception_int_div_zero 0
	.end_amdhsa_kernel
	.section	.text._ZN5aiter24act_and_mul_quant_kernelIDF16_DB8_TnPFfRKT_EXadL_ZNS_11silu_kernelIDF16_EEfS4_EELi128ELi8ELb0EEEvPT0_PS3_Pfiifb,"axG",@progbits,_ZN5aiter24act_and_mul_quant_kernelIDF16_DB8_TnPFfRKT_EXadL_ZNS_11silu_kernelIDF16_EEfS4_EELi128ELi8ELb0EEEvPT0_PS3_Pfiifb,comdat
.Lfunc_end531:
	.size	_ZN5aiter24act_and_mul_quant_kernelIDF16_DB8_TnPFfRKT_EXadL_ZNS_11silu_kernelIDF16_EEfS4_EELi128ELi8ELb0EEEvPT0_PS3_Pfiifb, .Lfunc_end531-_ZN5aiter24act_and_mul_quant_kernelIDF16_DB8_TnPFfRKT_EXadL_ZNS_11silu_kernelIDF16_EEfS4_EELi128ELi8ELb0EEEvPT0_PS3_Pfiifb
                                        ; -- End function
	.section	.AMDGPU.csdata,"",@progbits
; Kernel info:
; codeLenInByte = 2564
; NumSgprs: 30
; NumVgprs: 34
; NumAgprs: 0
; TotalNumVgprs: 34
; ScratchSize: 0
; MemoryBound: 0
; FloatMode: 240
; IeeeMode: 1
; LDSByteSize: 0 bytes/workgroup (compile time only)
; SGPRBlocks: 3
; VGPRBlocks: 4
; NumSGPRsForWavesPerEU: 30
; NumVGPRsForWavesPerEU: 34
; AccumOffset: 36
; Occupancy: 8
; WaveLimiterHint : 0
; COMPUTE_PGM_RSRC2:SCRATCH_EN: 0
; COMPUTE_PGM_RSRC2:USER_SGPR: 2
; COMPUTE_PGM_RSRC2:TRAP_HANDLER: 0
; COMPUTE_PGM_RSRC2:TGID_X_EN: 1
; COMPUTE_PGM_RSRC2:TGID_Y_EN: 0
; COMPUTE_PGM_RSRC2:TGID_Z_EN: 0
; COMPUTE_PGM_RSRC2:TIDIG_COMP_CNT: 0
; COMPUTE_PGM_RSRC3_GFX90A:ACCUM_OFFSET: 8
; COMPUTE_PGM_RSRC3_GFX90A:TG_SPLIT: 0
	.section	.text._ZN5aiter24act_and_mul_quant_kernelItDB8_TnPFfRKT_EXadL_ZNS_11silu_kernelItEEfS4_EELi128ELi8ELb0EEEvPT0_PS3_Pfiifb,"axG",@progbits,_ZN5aiter24act_and_mul_quant_kernelItDB8_TnPFfRKT_EXadL_ZNS_11silu_kernelItEEfS4_EELi128ELi8ELb0EEEvPT0_PS3_Pfiifb,comdat
	.protected	_ZN5aiter24act_and_mul_quant_kernelItDB8_TnPFfRKT_EXadL_ZNS_11silu_kernelItEEfS4_EELi128ELi8ELb0EEEvPT0_PS3_Pfiifb ; -- Begin function _ZN5aiter24act_and_mul_quant_kernelItDB8_TnPFfRKT_EXadL_ZNS_11silu_kernelItEEfS4_EELi128ELi8ELb0EEEvPT0_PS3_Pfiifb
	.globl	_ZN5aiter24act_and_mul_quant_kernelItDB8_TnPFfRKT_EXadL_ZNS_11silu_kernelItEEfS4_EELi128ELi8ELb0EEEvPT0_PS3_Pfiifb
	.p2align	8
	.type	_ZN5aiter24act_and_mul_quant_kernelItDB8_TnPFfRKT_EXadL_ZNS_11silu_kernelItEEfS4_EELi128ELi8ELb0EEEvPT0_PS3_Pfiifb,@function
_ZN5aiter24act_and_mul_quant_kernelItDB8_TnPFfRKT_EXadL_ZNS_11silu_kernelItEEfS4_EELi128ELi8ELb0EEEvPT0_PS3_Pfiifb: ; @_ZN5aiter24act_and_mul_quant_kernelItDB8_TnPFfRKT_EXadL_ZNS_11silu_kernelItEEfS4_EELi128ELi8ELb0EEEvPT0_PS3_Pfiifb
; %bb.0:
	s_load_dwordx2 s[8:9], s[0:1], 0x18
	v_lshlrev_b32_e32 v16, 3, v0
	s_waitcnt lgkmcnt(0)
	v_cmp_gt_i32_e32 vcc, s8, v16
	s_and_saveexec_b64 s[4:5], vcc
	s_cbranch_execz .LBB532_36
; %bb.1:
	s_load_dwordx4 s[4:7], s[0:1], 0x0
	s_load_dwordx2 s[12:13], s[0:1], 0x10
	s_ashr_i32 s11, s8, 31
	s_mul_hi_u32 s3, s2, s8
	s_mul_i32 s14, s2, s11
	s_add_i32 s15, s3, s14
	s_mul_i32 s14, s2, s8
	s_lshl_b64 s[14:15], s[14:15], 2
	s_mov_b32 s10, s8
	s_waitcnt lgkmcnt(0)
	s_add_u32 s16, s6, s14
	s_addc_u32 s3, s7, s15
	s_lshl_b64 s[6:7], s[10:11], 1
	s_add_u32 s20, s16, s6
	s_addc_u32 s6, s3, s7
	s_lshl_b32 s7, s8, 1
	s_add_i32 s7, s7, 2
	s_and_b32 s22, s7, -4
	s_mov_b32 s23, 0x20000
	s_and_b32 s21, s6, 0xffff
	s_and_b32 s17, s3, 0xffff
	s_mov_b32 s18, s22
	v_lshlrev_b32_e32 v1, 4, v0
	s_mov_b32 s19, s23
	buffer_load_dwordx4 v[2:5], v1, s[20:23], 0 offen sc0 nt
	buffer_load_dwordx4 v[6:9], v1, s[16:19], 0 offen sc0 nt
	s_mov_b32 s14, 0xbfb8aa3b
	s_mov_b32 s6, 0x42ce8ed0
	;; [unrolled: 1-line block ×3, first 2 shown]
	v_mov_b32_e32 v1, 0x7f800000
	s_mov_b32 s3, 0
	s_waitcnt vmcnt(1)
	v_and_b32_e32 v11, 0xffff0000, v2
	s_waitcnt vmcnt(0)
	v_lshlrev_b32_e32 v12, 16, v6
	v_and_b32_e32 v13, 0xffff0000, v6
	v_mul_f32_e32 v6, 0xbfb8aa3b, v12
	v_lshlrev_b32_e32 v10, 16, v2
	v_and_b32_e32 v19, 0xffff0000, v3
	v_lshlrev_b32_e32 v18, 16, v3
	v_and_b32_e32 v3, 0xffff0000, v7
	v_lshlrev_b32_e32 v2, 16, v7
	v_mul_f32_e32 v7, 0xbfb8aa3b, v13
	v_fma_f32 v21, v12, s14, -v6
	v_rndne_f32_e32 v22, v6
	v_mul_f32_e32 v15, 0xbfb8aa3b, v2
	v_fma_f32 v23, v13, s14, -v7
	v_rndne_f32_e32 v24, v7
	v_fmac_f32_e32 v21, 0xb2a5705f, v12
	v_sub_f32_e32 v6, v6, v22
	v_mul_f32_e32 v17, 0xbfb8aa3b, v3
	v_fma_f32 v25, v2, s14, -v15
	v_rndne_f32_e32 v26, v15
	v_fmac_f32_e32 v23, 0xb2a5705f, v13
	v_sub_f32_e32 v7, v7, v24
	v_add_f32_e32 v6, v6, v21
	v_fma_f32 v27, v3, s14, -v17
	v_rndne_f32_e32 v28, v17
	v_cvt_i32_f32_e32 v22, v22
	v_fmac_f32_e32 v25, 0xb2a5705f, v2
	v_sub_f32_e32 v15, v15, v26
	v_add_f32_e32 v7, v7, v23
	v_exp_f32_e32 v6, v6
	v_cvt_i32_f32_e32 v24, v24
	v_fmac_f32_e32 v27, 0xb2a5705f, v3
	v_sub_f32_e32 v17, v17, v28
	v_add_f32_e32 v15, v15, v25
	v_exp_f32_e32 v7, v7
	v_cvt_i32_f32_e32 v26, v26
	v_add_f32_e32 v17, v17, v27
	v_exp_f32_e32 v15, v15
	v_cvt_i32_f32_e32 v28, v28
	v_exp_f32_e32 v17, v17
	v_ldexp_f32 v6, v6, v22
	v_cmp_nlt_f32_e32 vcc, s6, v12
	v_ldexp_f32 v7, v7, v24
	v_ldexp_f32 v15, v15, v26
	v_cndmask_b32_e32 v6, 0, v6, vcc
	v_cmp_nlt_f32_e32 vcc, s6, v13
	v_ldexp_f32 v17, v17, v28
	v_lshlrev_b32_e32 v14, 16, v8
	v_cndmask_b32_e32 v7, 0, v7, vcc
	v_cmp_nlt_f32_e32 vcc, s6, v2
	v_mul_f32_e32 v20, 0xbfb8aa3b, v14
	v_fma_f32 v29, v14, s14, -v20
	v_cndmask_b32_e32 v15, 0, v15, vcc
	v_cmp_nlt_f32_e32 vcc, s6, v3
	v_rndne_f32_e32 v30, v20
	v_fmac_f32_e32 v29, 0xb2a5705f, v14
	v_cndmask_b32_e32 v17, 0, v17, vcc
	v_cmp_ngt_f32_e32 vcc, s7, v12
	v_sub_f32_e32 v31, v20, v30
	v_cvt_i32_f32_e32 v30, v30
	v_cndmask_b32_e32 v6, v1, v6, vcc
	v_cmp_ngt_f32_e32 vcc, s7, v13
	v_add_f32_e32 v6, 1.0, v6
	v_rcp_f32_e32 v6, v6
	v_cndmask_b32_e32 v7, v1, v7, vcc
	v_add_f32_e32 v7, 1.0, v7
	v_cmp_ngt_f32_e32 vcc, s7, v2
	v_rcp_f32_e32 v7, v7
	s_nop 0
	v_cndmask_b32_e32 v15, v1, v15, vcc
	v_cmp_ngt_f32_e32 vcc, s7, v3
	v_add_f32_e32 v15, 1.0, v15
	v_rcp_f32_e32 v20, v15
	v_cndmask_b32_e32 v17, v1, v17, vcc
	v_add_f32_e32 v17, 1.0, v17
	v_add_f32_e32 v15, v31, v29
	v_rcp_f32_e32 v21, v17
	v_exp_f32_e32 v17, v15
	v_pk_mul_f32 v[6:7], v[6:7], v[12:13]
	v_and_b32_e32 v15, 0xffff0000, v8
	;;#ASMSTART
	v_pk_mul_f32 v[6:7], v[6:7], v[10:11]
	;;#ASMEND
	v_mul_f32_e32 v10, 0xbfb8aa3b, v15
	v_fma_f32 v12, v15, s14, -v10
	v_rndne_f32_e32 v13, v10
	v_fmac_f32_e32 v12, 0xb2a5705f, v15
	v_sub_f32_e32 v10, v10, v13
	v_add_f32_e32 v10, v10, v12
	v_ldexp_f32 v8, v17, v30
	v_cmp_nlt_f32_e32 vcc, s6, v14
	v_exp_f32_e32 v10, v10
	v_cvt_i32_f32_e32 v13, v13
	v_cndmask_b32_e32 v8, 0, v8, vcc
	v_cmp_ngt_f32_e32 vcc, s7, v14
	v_pk_mul_f32 v[2:3], v[20:21], v[2:3]
	v_and_b32_e32 v11, 0xffff0000, v4
	v_cndmask_b32_e32 v8, v1, v8, vcc
	v_add_f32_e32 v8, 1.0, v8
	v_rcp_f32_e32 v12, v8
	v_ldexp_f32 v8, v10, v13
	v_cmp_nlt_f32_e32 vcc, s6, v15
	;;#ASMSTART
	v_pk_mul_f32 v[2:3], v[2:3], v[18:19]
	;;#ASMEND
	v_lshlrev_b32_e32 v18, 16, v9
	v_and_b32_e32 v19, 0xffff0000, v9
	v_cndmask_b32_e32 v8, 0, v8, vcc
	v_cmp_ngt_f32_e32 vcc, s7, v15
	s_nop 1
	v_cndmask_b32_e32 v8, v1, v8, vcc
	v_add_f32_e32 v8, 1.0, v8
	v_rcp_f32_e32 v13, v8
	v_mul_f32_e32 v8, 0xbfb8aa3b, v18
	v_fma_f32 v10, v18, s14, -v8
	v_rndne_f32_e32 v17, v8
	v_fmac_f32_e32 v10, 0xb2a5705f, v18
	v_sub_f32_e32 v8, v8, v17
	v_add_f32_e32 v8, v8, v10
	v_exp_f32_e32 v8, v8
	v_cvt_i32_f32_e32 v17, v17
	v_lshlrev_b32_e32 v10, 16, v4
	v_pk_mul_f32 v[12:13], v[12:13], v[14:15]
	v_cmp_nlt_f32_e32 vcc, s6, v18
	v_ldexp_f32 v4, v8, v17
	v_mul_f32_e32 v8, 0xbfb8aa3b, v19
	v_fma_f32 v9, v19, s14, -v8
	v_rndne_f32_e32 v14, v8
	v_fmac_f32_e32 v9, 0xb2a5705f, v19
	v_sub_f32_e32 v8, v8, v14
	v_add_f32_e32 v8, v8, v9
	v_exp_f32_e32 v8, v8
	v_cvt_i32_f32_e32 v9, v14
	v_cndmask_b32_e32 v4, 0, v4, vcc
	v_cmp_ngt_f32_e32 vcc, s7, v18
	s_nop 1
	v_cndmask_b32_e32 v4, v1, v4, vcc
	v_add_f32_e32 v4, 1.0, v4
	v_rcp_f32_e32 v14, v4
	v_ldexp_f32 v4, v8, v9
	v_cmp_nlt_f32_e32 vcc, s6, v19
	s_ashr_i32 s6, s9, 31
	;;#ASMSTART
	v_pk_mul_f32 v[8:9], v[12:13], v[10:11]
	;;#ASMEND
	v_and_b32_e32 v11, 0xffff0000, v5
	v_cndmask_b32_e32 v4, 0, v4, vcc
	v_cmp_ngt_f32_e32 vcc, s7, v19
	v_lshlrev_b32_e32 v10, 16, v5
	s_lshr_b32 s6, s6, 29
	v_cndmask_b32_e32 v1, v1, v4, vcc
	v_add_f32_e32 v1, 1.0, v1
	v_rcp_f32_e32 v15, v1
	v_and_b32_e32 v1, 0x7fffffff, v6
	s_add_i32 s6, s9, s6
	s_ashr_i32 s14, s6, 3
	v_pk_mul_f32 v[4:5], v[14:15], v[18:19]
	s_cmp_lt_i32 s14, 16
	;;#ASMSTART
	v_pk_mul_f32 v[4:5], v[4:5], v[10:11]
	;;#ASMEND
	v_and_b32_e32 v10, 0x7fffffff, v7
	v_mov_b32_e32 v11, 0x2edbe6ff
	;;#ASMSTART
	v_max3_f32 v1, v11, v1, v10

	;;#ASMEND
	v_and_b32_e32 v10, 0x7fffffff, v2
	v_and_b32_e32 v11, 0x7fffffff, v3
	;;#ASMSTART
	v_max3_f32 v1, v1, v10, v11

	;;#ASMEND
	v_and_b32_e32 v10, 0x7fffffff, v8
	v_and_b32_e32 v11, 0x7fffffff, v9
	;;#ASMSTART
	v_max3_f32 v1, v1, v10, v11

	;;#ASMEND
	v_and_b32_e32 v10, 0x7fffffff, v4
	v_and_b32_e32 v11, 0x7fffffff, v5
	;;#ASMSTART
	v_max3_f32 v1, v1, v10, v11

	;;#ASMEND
	s_cbranch_scc1 .LBB532_7
; %bb.2:
	s_cmp_lt_i32 s14, 32
	s_cbranch_scc1 .LBB532_8
; %bb.3:
	s_cmp_lt_i32 s14, 64
	s_cbranch_scc1 .LBB532_9
; %bb.4:
	s_cmp_eq_u32 s14, 64
	v_mov_b32_e32 v10, v1
	s_cbranch_scc0 .LBB532_6
; %bb.5:
	s_nop 0
	v_mov_b32_dpp v10, v1 quad_perm:[1,0,3,2] row_mask:0xf bank_mask:0xf
	v_cmp_gt_f32_e32 vcc, v1, v10
	v_bfrev_b32_e32 v12, 0.5
	s_nop 0
	v_cndmask_b32_e32 v10, v10, v1, vcc
	s_nop 1
	v_mov_b32_dpp v11, v10 quad_perm:[2,3,0,1] row_mask:0xf bank_mask:0xf
	v_cmp_gt_f32_e32 vcc, v10, v11
	s_nop 1
	v_cndmask_b32_e32 v10, v11, v10, vcc
	s_nop 1
	v_mov_b32_dpp v11, v10 row_ror:4 row_mask:0xf bank_mask:0xf
	v_cmp_gt_f32_e32 vcc, v10, v11
	s_nop 1
	v_cndmask_b32_e32 v10, v11, v10, vcc
	s_nop 1
	v_mov_b32_dpp v11, v10 row_ror:8 row_mask:0xf bank_mask:0xf
	v_cmp_gt_f32_e32 vcc, v10, v11
	s_nop 1
	v_cndmask_b32_e32 v10, v11, v10, vcc
	s_nop 1
	v_mov_b32_dpp v11, v10 row_bcast:15 row_mask:0xf bank_mask:0xf
	v_cmp_gt_f32_e32 vcc, v10, v11
	s_nop 1
	v_cndmask_b32_e32 v10, v11, v10, vcc
	s_nop 1
	v_mov_b32_dpp v11, v10 row_bcast:31 row_mask:0xf bank_mask:0xf
	v_cmp_gt_f32_e32 vcc, v10, v11
	s_nop 1
	v_cndmask_b32_e32 v10, v11, v10, vcc
	v_mbcnt_lo_u32_b32 v11, -1, 0
	v_mbcnt_hi_u32_b32 v11, -1, v11
	v_lshl_or_b32 v11, v11, 2, v12
	ds_bpermute_b32 v10, v11, v10
.LBB532_6:
	s_cbranch_execz .LBB532_10
	s_branch .LBB532_12
.LBB532_7:
                                        ; implicit-def: $vgpr10
	s_branch .LBB532_16
.LBB532_8:
                                        ; implicit-def: $vgpr10
	s_branch .LBB532_13
.LBB532_9:
                                        ; implicit-def: $vgpr10
.LBB532_10:
	s_cmp_eq_u32 s14, 32
	s_waitcnt lgkmcnt(0)
	v_mov_b32_e32 v10, v1
	s_cbranch_scc0 .LBB532_12
; %bb.11:
	s_nop 0
	v_mov_b32_dpp v10, v1 quad_perm:[1,0,3,2] row_mask:0xf bank_mask:0xf
	v_cmp_gt_f32_e32 vcc, v1, v10
	v_mov_b32_e32 v12, 0x7c
	s_nop 0
	v_cndmask_b32_e32 v10, v10, v1, vcc
	s_nop 1
	v_mov_b32_dpp v11, v10 quad_perm:[2,3,0,1] row_mask:0xf bank_mask:0xf
	v_cmp_gt_f32_e32 vcc, v10, v11
	s_nop 1
	v_cndmask_b32_e32 v10, v11, v10, vcc
	s_nop 1
	v_mov_b32_dpp v11, v10 row_half_mirror row_mask:0xf bank_mask:0xf
	v_cmp_gt_f32_e32 vcc, v10, v11
	s_nop 1
	v_cndmask_b32_e32 v10, v11, v10, vcc
	s_nop 1
	v_mov_b32_dpp v11, v10 row_mirror row_mask:0xf bank_mask:0xf
	v_cmp_gt_f32_e32 vcc, v10, v11
	s_nop 1
	v_cndmask_b32_e32 v10, v11, v10, vcc
	s_nop 1
	v_mov_b32_dpp v11, v10 row_bcast:15 row_mask:0xa bank_mask:0xf
	v_cmp_gt_f32_e32 vcc, v10, v11
	s_nop 1
	v_cndmask_b32_e32 v10, v11, v10, vcc
	v_mbcnt_lo_u32_b32 v11, -1, 0
	v_mbcnt_hi_u32_b32 v11, -1, v11
	v_lshl_or_b32 v11, v11, 2, v12
	ds_bpermute_b32 v10, v11, v10
.LBB532_12:
	s_cbranch_execnz .LBB532_15
.LBB532_13:
	s_cmp_eq_u32 s14, 16
	s_waitcnt lgkmcnt(0)
	v_mov_b32_e32 v10, v1
	s_cbranch_scc0 .LBB532_15
; %bb.14:
	s_nop 0
	v_mov_b32_dpp v10, v1 quad_perm:[1,0,3,2] row_mask:0xf bank_mask:0xf
	v_cmp_gt_f32_e32 vcc, v1, v10
	s_nop 1
	v_cndmask_b32_e32 v10, v10, v1, vcc
	s_nop 1
	v_mov_b32_dpp v11, v10 quad_perm:[2,3,0,1] row_mask:0xf bank_mask:0xf
	v_cmp_gt_f32_e32 vcc, v10, v11
	s_nop 1
	v_cndmask_b32_e32 v10, v11, v10, vcc
	s_nop 1
	v_mov_b32_dpp v11, v10 row_half_mirror row_mask:0xf bank_mask:0xf
	v_cmp_gt_f32_e32 vcc, v10, v11
	s_nop 1
	v_cndmask_b32_e32 v10, v11, v10, vcc
	s_nop 1
	v_mov_b32_dpp v11, v10 row_mirror row_mask:0xf bank_mask:0xf
	v_cmp_gt_f32_e32 vcc, v10, v11
	s_nop 1
	v_cndmask_b32_e32 v10, v11, v10, vcc
.LBB532_15:
	s_cbranch_execnz .LBB532_29
.LBB532_16:
	s_cmp_lt_i32 s14, 4
	s_cbranch_scc1 .LBB532_20
; %bb.17:
	s_cmp_lt_i32 s14, 8
	s_cbranch_scc1 .LBB532_21
; %bb.18:
	s_cmp_eq_u32 s14, 8
	s_waitcnt lgkmcnt(0)
	v_mov_b32_e32 v10, v1
	s_cbranch_scc0 .LBB532_22
; %bb.19:
	s_nop 0
	v_mov_b32_dpp v10, v1 quad_perm:[1,0,3,2] row_mask:0xf bank_mask:0xf
	v_cmp_gt_f32_e32 vcc, v1, v10
	s_nop 1
	v_cndmask_b32_e32 v10, v10, v1, vcc
	s_nop 1
	v_mov_b32_dpp v11, v10 quad_perm:[2,3,0,1] row_mask:0xf bank_mask:0xf
	v_cmp_gt_f32_e32 vcc, v10, v11
	s_nop 1
	v_cndmask_b32_e32 v10, v11, v10, vcc
	s_nop 1
	v_mov_b32_dpp v11, v10 row_half_mirror row_mask:0xf bank_mask:0xf
	v_cmp_gt_f32_e32 vcc, v10, v11
	s_nop 1
	v_cndmask_b32_e32 v10, v11, v10, vcc
	s_cbranch_execz .LBB532_23
	s_branch .LBB532_25
.LBB532_20:
                                        ; implicit-def: $vgpr10
	s_branch .LBB532_26
.LBB532_21:
                                        ; implicit-def: $vgpr10
	s_branch .LBB532_23
.LBB532_22:
	s_cbranch_execnz .LBB532_25
.LBB532_23:
	s_cmp_eq_u32 s14, 4
	s_waitcnt lgkmcnt(0)
	v_mov_b32_e32 v10, v1
	s_cbranch_scc0 .LBB532_25
; %bb.24:
	s_nop 0
	v_mov_b32_dpp v10, v1 quad_perm:[1,0,3,2] row_mask:0xf bank_mask:0xf
	v_cmp_gt_f32_e32 vcc, v1, v10
	s_nop 1
	v_cndmask_b32_e32 v10, v10, v1, vcc
	s_nop 1
	v_mov_b32_dpp v11, v10 quad_perm:[2,3,0,1] row_mask:0xf bank_mask:0xf
	v_cmp_gt_f32_e32 vcc, v10, v11
	s_nop 1
	v_cndmask_b32_e32 v10, v11, v10, vcc
.LBB532_25:
	s_cbranch_execnz .LBB532_29
.LBB532_26:
	s_cmp_lg_u32 s14, 2
	s_cbranch_scc1 .LBB532_28
; %bb.27:
	s_waitcnt lgkmcnt(0)
	v_mov_b32_dpp v10, v1 quad_perm:[1,0,3,2] row_mask:0xf bank_mask:0xf
	v_cmp_gt_f32_e32 vcc, v1, v10
	s_nop 1
	v_cndmask_b32_e32 v1, v10, v1, vcc
.LBB532_28:
	s_waitcnt lgkmcnt(0)
	v_mov_b32_e32 v10, v1
.LBB532_29:
	s_abs_i32 s6, s14
	v_cvt_f32_u32_e32 v1, s6
	s_sub_i32 s15, 0, s6
	s_waitcnt lgkmcnt(0)
	v_mul_f32_e32 v12, 0x3b888889, v10
	s_ashr_i32 s7, s14, 31
	v_rcp_iflag_f32_e32 v1, v1
	s_nop 0
	v_mul_f32_e32 v1, 0x4f7ffffe, v1
	v_cvt_u32_f32_e32 v1, v1
	v_mul_lo_u32 v10, s15, v1
	v_mul_hi_u32 v10, v1, v10
	v_add_u32_e32 v1, v1, v10
	v_mul_hi_u32 v1, v0, v1
	v_mul_lo_u32 v10, v1, s6
	v_sub_u32_e32 v10, v0, v10
	v_add_u32_e32 v11, 1, v1
	v_cmp_le_u32_e32 vcc, s6, v10
	s_nop 1
	v_cndmask_b32_e32 v1, v1, v11, vcc
	v_subrev_u32_e32 v11, s6, v10
	v_cndmask_b32_e32 v10, v10, v11, vcc
	v_add_u32_e32 v11, 1, v1
	v_cmp_le_u32_e32 vcc, s6, v10
	s_nop 1
	v_cndmask_b32_e32 v1, v1, v11, vcc
	v_xor_b32_e32 v1, s7, v1
	v_subrev_u32_e32 v10, s7, v1
	v_mul_lo_u32 v1, v10, s14
	v_sub_u32_e32 v0, v0, v1
	v_cmp_eq_u32_e32 vcc, 0, v0
	s_and_saveexec_b64 s[6:7], vcc
	s_cbranch_execz .LBB532_35
; %bb.30:
	s_load_dword s14, s[0:1], 0x24
	s_waitcnt lgkmcnt(0)
	s_bitcmp0_b32 s14, 0
	s_cbranch_scc0 .LBB532_32
; %bb.31:
	s_abs_i32 s14, s9
	v_cvt_f32_u32_e32 v0, s14
	s_sub_i32 s16, 0, s14
	s_abs_i32 s15, s10
	s_xor_b32 s9, s10, s9
	v_rcp_iflag_f32_e32 v0, v0
	s_ashr_i32 s9, s9, 31
	v_ashrrev_i32_e32 v11, 31, v10
	v_mov_b32_e32 v1, s2
	v_mul_f32_e32 v0, 0x4f7ffffe, v0
	v_cvt_u32_f32_e32 v0, v0
	s_nop 0
	v_readfirstlane_b32 s17, v0
	s_mul_i32 s16, s16, s17
	s_mul_hi_u32 s16, s17, s16
	s_add_i32 s17, s17, s16
	s_mul_hi_u32 s16, s15, s17
	s_mul_i32 s17, s16, s14
	s_sub_i32 s15, s15, s17
	s_add_i32 s18, s16, 1
	s_sub_i32 s17, s15, s14
	s_cmp_ge_u32 s15, s14
	s_cselect_b32 s16, s18, s16
	s_cselect_b32 s15, s17, s15
	s_add_i32 s17, s16, 1
	s_cmp_ge_u32 s15, s14
	s_cselect_b32 s14, s17, s16
	s_xor_b32 s14, s14, s9
	s_sub_i32 s9, s14, s9
	s_ashr_i32 s14, s9, 31
	s_mul_i32 s16, s14, s2
	v_mad_u64_u32 v[0:1], s[14:15], s9, v1, v[10:11]
	v_add_u32_e32 v1, s16, v1
	s_cbranch_execz .LBB532_33
	s_branch .LBB532_34
.LBB532_32:
                                        ; implicit-def: $vgpr0_vgpr1
.LBB532_33:
	s_load_dword s0, s[0:1], 0x28
	v_mov_b32_e32 v1, 0
	s_waitcnt lgkmcnt(0)
	v_mul_lo_u32 v0, s0, v10
	v_lshl_add_u64 v[0:1], v[0:1], 0, s[2:3]
.LBB532_34:
	v_lshl_add_u64 v[0:1], v[0:1], 2, s[12:13]
	global_store_dword v[0:1], v12, off
.LBB532_35:
	s_or_b64 exec, exec, s[6:7]
	s_add_i32 s0, s8, 3
	s_ashr_i32 s1, s0, 31
	s_lshr_b32 s1, s1, 30
	s_add_i32 s0, s0, s1
	s_and_b32 s6, s0, -4
	s_mul_i32 s0, s11, s2
	s_mul_hi_u32 s1, s10, s2
	s_add_i32 s1, s1, s0
	s_mul_i32 s0, s10, s2
	s_add_u32 s4, s4, s0
	;;#ASMSTART
	v_rcp_f32 v0, v12
	;;#ASMEND
	s_addc_u32 s0, s5, s1
	v_mov_b32_e32 v1, v0
	;;#ASMSTART
	v_pk_mul_f32 v[6:7], v[6:7], v[0:1]
	;;#ASMEND
	v_mov_b32_e32 v10, 0xc3700000
	v_mov_b32_e32 v11, 0x43700000
	;;#ASMSTART
	v_med3_f32 v6, v6, v10, v11
v_med3_f32 v7, v7, v10, v11
v_cvt_pk_fp8_f32 v12, v6, v7
	;;#ASMEND
	;;#ASMSTART
	v_pk_mul_f32 v[2:3], v[2:3], v[0:1]
	;;#ASMEND
	s_and_b32 s5, s0, 0xffff
	;;#ASMSTART
	v_med3_f32 v2, v2, v10, v11
v_med3_f32 v3, v3, v10, v11
v_cvt_pk_fp8_f32 v6, v2, v3
	;;#ASMEND
	s_mov_b32 s0, 0x5040100
	v_perm_b32 v3, v6, v12, s0
	s_movk_i32 s0, 0xff
	v_and_b32_e32 v2, 0xffffff00, v6
	v_and_b32_sdwa v6, v3, s0 dst_sel:DWORD dst_unused:UNUSED_PAD src0_sel:WORD_1 src1_sel:DWORD
	s_mov_b32 s1, 0xffff
	v_or_b32_sdwa v2, v6, v2 dst_sel:WORD_1 dst_unused:UNUSED_PAD src0_sel:DWORD src1_sel:DWORD
	;;#ASMSTART
	v_pk_mul_f32 v[6:7], v[8:9], v[0:1]
	;;#ASMEND
	s_mov_b32 s7, 0x20000
	v_and_or_b32 v2, v3, s1, v2
	v_mov_b32_e32 v3, v7
	;;#ASMSTART
	v_med3_f32 v6, v6, v10, v11
v_med3_f32 v3, v3, v10, v11
v_cvt_pk_fp8_f32 v7, v6, v3
	;;#ASMEND
	;;#ASMSTART
	v_pk_mul_f32 v[0:1], v[4:5], v[0:1]
	;;#ASMEND
	s_nop 0
	;;#ASMSTART
	v_med3_f32 v0, v0, v10, v11
v_med3_f32 v1, v1, v10, v11
v_cvt_pk_fp8_f32 v3, v0, v1
	;;#ASMEND
	s_nop 0
	v_lshlrev_b32_e32 v0, 16, v3
	v_and_or_b32 v3, v7, s1, v0
	buffer_store_dwordx2 v[2:3], v16, s[4:7], 0 offen
	;;#ASMSTART
	s_nop 0
	;;#ASMEND
.LBB532_36:
	s_endpgm
	.section	.rodata,"a",@progbits
	.p2align	6, 0x0
	.amdhsa_kernel _ZN5aiter24act_and_mul_quant_kernelItDB8_TnPFfRKT_EXadL_ZNS_11silu_kernelItEEfS4_EELi128ELi8ELb0EEEvPT0_PS3_Pfiifb
		.amdhsa_group_segment_fixed_size 0
		.amdhsa_private_segment_fixed_size 0
		.amdhsa_kernarg_size 296
		.amdhsa_user_sgpr_count 2
		.amdhsa_user_sgpr_dispatch_ptr 0
		.amdhsa_user_sgpr_queue_ptr 0
		.amdhsa_user_sgpr_kernarg_segment_ptr 1
		.amdhsa_user_sgpr_dispatch_id 0
		.amdhsa_user_sgpr_kernarg_preload_length 0
		.amdhsa_user_sgpr_kernarg_preload_offset 0
		.amdhsa_user_sgpr_private_segment_size 0
		.amdhsa_uses_dynamic_stack 0
		.amdhsa_enable_private_segment 0
		.amdhsa_system_sgpr_workgroup_id_x 1
		.amdhsa_system_sgpr_workgroup_id_y 0
		.amdhsa_system_sgpr_workgroup_id_z 0
		.amdhsa_system_sgpr_workgroup_info 0
		.amdhsa_system_vgpr_workitem_id 0
		.amdhsa_next_free_vgpr 32
		.amdhsa_next_free_sgpr 24
		.amdhsa_accum_offset 32
		.amdhsa_reserve_vcc 1
		.amdhsa_float_round_mode_32 0
		.amdhsa_float_round_mode_16_64 0
		.amdhsa_float_denorm_mode_32 3
		.amdhsa_float_denorm_mode_16_64 3
		.amdhsa_dx10_clamp 1
		.amdhsa_ieee_mode 1
		.amdhsa_fp16_overflow 0
		.amdhsa_tg_split 0
		.amdhsa_exception_fp_ieee_invalid_op 0
		.amdhsa_exception_fp_denorm_src 0
		.amdhsa_exception_fp_ieee_div_zero 0
		.amdhsa_exception_fp_ieee_overflow 0
		.amdhsa_exception_fp_ieee_underflow 0
		.amdhsa_exception_fp_ieee_inexact 0
		.amdhsa_exception_int_div_zero 0
	.end_amdhsa_kernel
	.section	.text._ZN5aiter24act_and_mul_quant_kernelItDB8_TnPFfRKT_EXadL_ZNS_11silu_kernelItEEfS4_EELi128ELi8ELb0EEEvPT0_PS3_Pfiifb,"axG",@progbits,_ZN5aiter24act_and_mul_quant_kernelItDB8_TnPFfRKT_EXadL_ZNS_11silu_kernelItEEfS4_EELi128ELi8ELb0EEEvPT0_PS3_Pfiifb,comdat
.Lfunc_end532:
	.size	_ZN5aiter24act_and_mul_quant_kernelItDB8_TnPFfRKT_EXadL_ZNS_11silu_kernelItEEfS4_EELi128ELi8ELb0EEEvPT0_PS3_Pfiifb, .Lfunc_end532-_ZN5aiter24act_and_mul_quant_kernelItDB8_TnPFfRKT_EXadL_ZNS_11silu_kernelItEEfS4_EELi128ELi8ELb0EEEvPT0_PS3_Pfiifb
                                        ; -- End function
	.section	.AMDGPU.csdata,"",@progbits
; Kernel info:
; codeLenInByte = 2564
; NumSgprs: 30
; NumVgprs: 32
; NumAgprs: 0
; TotalNumVgprs: 32
; ScratchSize: 0
; MemoryBound: 0
; FloatMode: 240
; IeeeMode: 1
; LDSByteSize: 0 bytes/workgroup (compile time only)
; SGPRBlocks: 3
; VGPRBlocks: 3
; NumSGPRsForWavesPerEU: 30
; NumVGPRsForWavesPerEU: 32
; AccumOffset: 32
; Occupancy: 8
; WaveLimiterHint : 0
; COMPUTE_PGM_RSRC2:SCRATCH_EN: 0
; COMPUTE_PGM_RSRC2:USER_SGPR: 2
; COMPUTE_PGM_RSRC2:TRAP_HANDLER: 0
; COMPUTE_PGM_RSRC2:TGID_X_EN: 1
; COMPUTE_PGM_RSRC2:TGID_Y_EN: 0
; COMPUTE_PGM_RSRC2:TGID_Z_EN: 0
; COMPUTE_PGM_RSRC2:TIDIG_COMP_CNT: 0
; COMPUTE_PGM_RSRC3_GFX90A:ACCUM_OFFSET: 7
; COMPUTE_PGM_RSRC3_GFX90A:TG_SPLIT: 0
	.section	.text._ZN5aiter24act_and_mul_quant_kernelIDF16_DB8_TnPFfRKT_EXadL_ZNS_11silu_kernelIDF16_EEfS4_EELi256ELi8ELb0EEEvPT0_PS3_Pfiifb,"axG",@progbits,_ZN5aiter24act_and_mul_quant_kernelIDF16_DB8_TnPFfRKT_EXadL_ZNS_11silu_kernelIDF16_EEfS4_EELi256ELi8ELb0EEEvPT0_PS3_Pfiifb,comdat
	.protected	_ZN5aiter24act_and_mul_quant_kernelIDF16_DB8_TnPFfRKT_EXadL_ZNS_11silu_kernelIDF16_EEfS4_EELi256ELi8ELb0EEEvPT0_PS3_Pfiifb ; -- Begin function _ZN5aiter24act_and_mul_quant_kernelIDF16_DB8_TnPFfRKT_EXadL_ZNS_11silu_kernelIDF16_EEfS4_EELi256ELi8ELb0EEEvPT0_PS3_Pfiifb
	.globl	_ZN5aiter24act_and_mul_quant_kernelIDF16_DB8_TnPFfRKT_EXadL_ZNS_11silu_kernelIDF16_EEfS4_EELi256ELi8ELb0EEEvPT0_PS3_Pfiifb
	.p2align	8
	.type	_ZN5aiter24act_and_mul_quant_kernelIDF16_DB8_TnPFfRKT_EXadL_ZNS_11silu_kernelIDF16_EEfS4_EELi256ELi8ELb0EEEvPT0_PS3_Pfiifb,@function
_ZN5aiter24act_and_mul_quant_kernelIDF16_DB8_TnPFfRKT_EXadL_ZNS_11silu_kernelIDF16_EEfS4_EELi256ELi8ELb0EEEvPT0_PS3_Pfiifb: ; @_ZN5aiter24act_and_mul_quant_kernelIDF16_DB8_TnPFfRKT_EXadL_ZNS_11silu_kernelIDF16_EEfS4_EELi256ELi8ELb0EEEvPT0_PS3_Pfiifb
; %bb.0:
	s_load_dwordx2 s[8:9], s[0:1], 0x18
	v_lshlrev_b32_e32 v18, 3, v0
	s_waitcnt lgkmcnt(0)
	v_cmp_gt_i32_e32 vcc, s8, v18
	s_and_saveexec_b64 s[4:5], vcc
	s_cbranch_execz .LBB533_36
; %bb.1:
	s_load_dwordx4 s[4:7], s[0:1], 0x0
	s_load_dwordx2 s[12:13], s[0:1], 0x10
	s_ashr_i32 s11, s8, 31
	s_mul_hi_u32 s3, s2, s8
	s_mul_i32 s14, s2, s11
	s_add_i32 s15, s3, s14
	s_mul_i32 s14, s2, s8
	s_lshl_b64 s[14:15], s[14:15], 2
	s_mov_b32 s10, s8
	s_waitcnt lgkmcnt(0)
	s_add_u32 s16, s6, s14
	s_addc_u32 s3, s7, s15
	s_lshl_b64 s[6:7], s[10:11], 1
	s_add_u32 s20, s16, s6
	s_addc_u32 s6, s3, s7
	s_lshl_b32 s7, s8, 1
	s_add_i32 s7, s7, 2
	s_and_b32 s22, s7, -4
	s_mov_b32 s23, 0x20000
	s_and_b32 s21, s6, 0xffff
	s_and_b32 s17, s3, 0xffff
	s_mov_b32 s18, s22
	v_lshlrev_b32_e32 v1, 4, v0
	s_mov_b32 s19, s23
	buffer_load_dwordx4 v[2:5], v1, s[20:23], 0 offen sc0 nt
	buffer_load_dwordx4 v[6:9], v1, s[16:19], 0 offen sc0 nt
	s_mov_b32 s7, 0xbfb8aa3b
	s_mov_b32 s15, 0xb2a5705f
	;; [unrolled: 1-line block ×4, first 2 shown]
	v_mov_b32_e32 v1, 0x7f800000
	s_mov_b32 s3, 0
	s_waitcnt vmcnt(1)
	v_cvt_f32_f16_e32 v10, v4
	s_waitcnt vmcnt(0)
	v_cvt_f32_f16_e32 v16, v6
	v_cvt_f32_f16_sdwa v17, v6 dst_sel:DWORD dst_unused:UNUSED_PAD src0_sel:WORD_1
	v_cvt_f32_f16_e32 v20, v7
	v_cvt_f32_f16_sdwa v21, v7 dst_sel:DWORD dst_unused:UNUSED_PAD src0_sel:WORD_1
	v_cvt_f32_f16_sdwa v11, v4 dst_sel:DWORD dst_unused:UNUSED_PAD src0_sel:WORD_1
	v_mul_f32_e32 v4, 0xbfb8aa3b, v16
	v_mul_f32_e32 v13, 0xbfb8aa3b, v17
	v_fma_mix_f32 v24, v6, s7, -v4 op_sel_hi:[1,0,0]
	v_rndne_f32_e32 v25, v4
	v_mul_f32_e32 v19, 0xbfb8aa3b, v20
	v_fma_mix_f32 v26, v6, s7, -v13 op_sel:[1,0,0] op_sel_hi:[1,0,0]
	v_rndne_f32_e32 v27, v13
	v_fma_mix_f32 v24, v6, s15, v24 op_sel_hi:[1,0,0]
	v_sub_f32_e32 v4, v4, v25
	v_mul_f32_e32 v22, 0xbfb8aa3b, v21
	v_fma_mix_f32 v28, v7, s7, -v19 op_sel_hi:[1,0,0]
	v_rndne_f32_e32 v29, v19
	v_fma_mix_f32 v6, v6, s15, v26 op_sel:[1,0,0] op_sel_hi:[1,0,0]
	v_sub_f32_e32 v13, v13, v27
	v_add_f32_e32 v4, v4, v24
	v_fma_mix_f32 v30, v7, s7, -v22 op_sel:[1,0,0] op_sel_hi:[1,0,0]
	v_rndne_f32_e32 v31, v22
	v_cvt_i32_f32_e32 v25, v25
	v_cvt_i32_f32_e32 v26, v27
	v_fma_mix_f32 v27, v7, s15, v28 op_sel_hi:[1,0,0]
	v_sub_f32_e32 v19, v19, v29
	v_add_f32_e32 v6, v13, v6
	v_exp_f32_e32 v4, v4
	v_fma_mix_f32 v7, v7, s15, v30 op_sel:[1,0,0] op_sel_hi:[1,0,0]
	v_sub_f32_e32 v22, v22, v31
	v_add_f32_e32 v13, v19, v27
	v_exp_f32_e32 v6, v6
	v_cvt_i32_f32_e32 v28, v29
	v_add_f32_e32 v7, v22, v7
	v_exp_f32_e32 v13, v13
	v_cvt_i32_f32_e32 v29, v31
	v_exp_f32_e32 v7, v7
	v_ldexp_f32 v4, v4, v25
	v_cmp_nlt_f32_e32 vcc, s6, v16
	v_ldexp_f32 v6, v6, v26
	v_ldexp_f32 v13, v13, v28
	v_cndmask_b32_e32 v4, 0, v4, vcc
	v_cmp_nlt_f32_e32 vcc, s6, v17
	v_cvt_f32_f16_e32 v12, v8
	v_ldexp_f32 v7, v7, v29
	v_cndmask_b32_e32 v6, 0, v6, vcc
	v_cmp_nlt_f32_e32 vcc, s6, v20
	v_mul_f32_e32 v23, 0xbfb8aa3b, v12
	v_rndne_f32_e32 v33, v23
	v_cndmask_b32_e32 v13, 0, v13, vcc
	v_cmp_nlt_f32_e32 vcc, s6, v21
	v_fma_mix_f32 v32, v8, s7, -v23 op_sel_hi:[1,0,0]
	v_sub_f32_e32 v31, v23, v33
	v_cndmask_b32_e32 v7, 0, v7, vcc
	v_cmp_ngt_f32_e32 vcc, s14, v16
	v_cvt_f32_f16_e32 v14, v2
	v_fma_mix_f32 v30, v8, s15, v32 op_sel_hi:[1,0,0]
	v_cndmask_b32_e32 v4, v1, v4, vcc
	v_cmp_ngt_f32_e32 vcc, s14, v17
	v_add_f32_e32 v4, 1.0, v4
	v_cvt_f32_f16_sdwa v15, v2 dst_sel:DWORD dst_unused:UNUSED_PAD src0_sel:WORD_1
	v_cndmask_b32_e32 v6, v1, v6, vcc
	v_cmp_ngt_f32_e32 vcc, s14, v20
	v_add_f32_e32 v19, 1.0, v6
	v_rcp_f32_e32 v6, v4
	v_cndmask_b32_e32 v13, v1, v13, vcc
	v_cmp_ngt_f32_e32 vcc, s14, v21
	v_add_f32_e32 v13, 1.0, v13
	v_rcp_f32_e32 v22, v13
	v_cndmask_b32_e32 v7, v1, v7, vcc
	v_add_f32_e32 v23, 1.0, v7
	v_rcp_f32_e32 v7, v19
	v_cvt_f32_f16_sdwa v13, v8 dst_sel:DWORD dst_unused:UNUSED_PAD src0_sel:WORD_1
	v_rcp_f32_e32 v23, v23
	v_add_f32_e32 v4, v31, v30
	v_pk_mul_f32 v[6:7], v[6:7], v[16:17]
	v_cvt_i32_f32_e32 v32, v33
	;;#ASMSTART
	v_pk_mul_f32 v[6:7], v[6:7], v[14:15]
	;;#ASMEND
	v_mul_f32_e32 v14, 0xbfb8aa3b, v13
	v_exp_f32_e32 v4, v4
	v_fma_mix_f32 v15, v8, s7, -v14 op_sel:[1,0,0] op_sel_hi:[1,0,0]
	v_cvt_f32_f16_e32 v2, v3
	v_fma_mix_f32 v8, v8, s15, v15 op_sel:[1,0,0] op_sel_hi:[1,0,0]
	v_rndne_f32_e32 v15, v14
	v_sub_f32_e32 v14, v14, v15
	v_cvt_f32_f16_sdwa v3, v3 dst_sel:DWORD dst_unused:UNUSED_PAD src0_sel:WORD_1
	v_pk_mul_f32 v[16:17], v[22:23], v[20:21]
	v_add_f32_e32 v8, v14, v8
	;;#ASMSTART
	v_pk_mul_f32 v[2:3], v[16:17], v[2:3]
	;;#ASMEND
	v_ldexp_f32 v4, v4, v32
	v_cmp_nlt_f32_e32 vcc, s6, v12
	v_exp_f32_e32 v8, v8
	v_cvt_i32_f32_e32 v15, v15
	v_cvt_f32_f16_e32 v16, v9
	v_cndmask_b32_e32 v4, 0, v4, vcc
	v_cmp_ngt_f32_e32 vcc, s14, v12
	s_nop 1
	v_cndmask_b32_e32 v4, v1, v4, vcc
	v_add_f32_e32 v4, 1.0, v4
	v_rcp_f32_e32 v14, v4
	v_ldexp_f32 v4, v8, v15
	v_mul_f32_e32 v8, 0xbfb8aa3b, v16
	v_fma_mix_f32 v15, v9, s7, -v8 op_sel_hi:[1,0,0]
	v_rndne_f32_e32 v17, v8
	v_fma_mix_f32 v15, v9, s15, v15 op_sel_hi:[1,0,0]
	v_sub_f32_e32 v8, v8, v17
	v_add_f32_e32 v8, v8, v15
	v_exp_f32_e32 v8, v8
	v_cvt_i32_f32_e32 v19, v17
	v_cvt_f32_f16_sdwa v17, v9 dst_sel:DWORD dst_unused:UNUSED_PAD src0_sel:WORD_1
	v_cmp_nlt_f32_e32 vcc, s6, v13
	v_ldexp_f32 v8, v8, v19
	v_mul_f32_e32 v19, 0xbfb8aa3b, v17
	v_fma_mix_f32 v20, v9, s7, -v19 op_sel:[1,0,0] op_sel_hi:[1,0,0]
	v_cndmask_b32_e32 v4, 0, v4, vcc
	v_fma_mix_f32 v9, v9, s15, v20 op_sel:[1,0,0] op_sel_hi:[1,0,0]
	v_rndne_f32_e32 v20, v19
	v_sub_f32_e32 v19, v19, v20
	v_cmp_ngt_f32_e32 vcc, s14, v13
	v_add_f32_e32 v9, v19, v9
	v_exp_f32_e32 v9, v9
	v_cndmask_b32_e32 v4, v1, v4, vcc
	v_cmp_nlt_f32_e32 vcc, s6, v16
	v_cvt_i32_f32_e32 v19, v20
	v_add_f32_e32 v4, 1.0, v4
	v_cndmask_b32_e32 v8, 0, v8, vcc
	v_cmp_ngt_f32_e32 vcc, s14, v16
	v_rcp_f32_e32 v15, v4
	v_cvt_f32_f16_e32 v4, v5
	v_cndmask_b32_e32 v8, v1, v8, vcc
	v_add_f32_e32 v8, 1.0, v8
	v_rcp_f32_e32 v20, v8
	v_ldexp_f32 v8, v9, v19
	v_cmp_nlt_f32_e32 vcc, s6, v17
	s_ashr_i32 s6, s9, 31
	v_cvt_f32_f16_sdwa v5, v5 dst_sel:DWORD dst_unused:UNUSED_PAD src0_sel:WORD_1
	v_cndmask_b32_e32 v8, 0, v8, vcc
	v_cmp_ngt_f32_e32 vcc, s14, v17
	s_lshr_b32 s6, s6, 29
	s_add_i32 s6, s9, s6
	v_cndmask_b32_e32 v1, v1, v8, vcc
	v_add_f32_e32 v1, 1.0, v1
	v_rcp_f32_e32 v21, v1
	v_pk_mul_f32 v[8:9], v[14:15], v[12:13]
	v_and_b32_e32 v1, 0x7fffffff, v6
	;;#ASMSTART
	v_pk_mul_f32 v[8:9], v[8:9], v[10:11]
	;;#ASMEND
	v_pk_mul_f32 v[10:11], v[20:21], v[16:17]
	s_ashr_i32 s14, s6, 3
	;;#ASMSTART
	v_pk_mul_f32 v[4:5], v[10:11], v[4:5]
	;;#ASMEND
	v_and_b32_e32 v10, 0x7fffffff, v7
	v_mov_b32_e32 v11, 0x2edbe6ff
	;;#ASMSTART
	v_max3_f32 v1, v11, v1, v10

	;;#ASMEND
	v_and_b32_e32 v10, 0x7fffffff, v2
	v_and_b32_e32 v11, 0x7fffffff, v3
	;;#ASMSTART
	v_max3_f32 v1, v1, v10, v11

	;;#ASMEND
	v_and_b32_e32 v10, 0x7fffffff, v8
	v_and_b32_e32 v11, 0x7fffffff, v9
	;;#ASMSTART
	v_max3_f32 v1, v1, v10, v11

	;;#ASMEND
	s_cmp_lt_i32 s14, 16
	v_and_b32_e32 v10, 0x7fffffff, v4
	v_and_b32_e32 v11, 0x7fffffff, v5
	;;#ASMSTART
	v_max3_f32 v1, v1, v10, v11

	;;#ASMEND
	s_cbranch_scc1 .LBB533_7
; %bb.2:
	s_cmp_lt_i32 s14, 32
	s_cbranch_scc1 .LBB533_8
; %bb.3:
	s_cmp_lt_i32 s14, 64
	s_cbranch_scc1 .LBB533_9
; %bb.4:
	s_cmp_eq_u32 s14, 64
	v_mov_b32_e32 v10, v1
	s_cbranch_scc0 .LBB533_6
; %bb.5:
	s_nop 0
	v_mov_b32_dpp v10, v1 quad_perm:[1,0,3,2] row_mask:0xf bank_mask:0xf
	v_cmp_gt_f32_e32 vcc, v1, v10
	v_bfrev_b32_e32 v12, 0.5
	s_nop 0
	v_cndmask_b32_e32 v10, v10, v1, vcc
	s_nop 1
	v_mov_b32_dpp v11, v10 quad_perm:[2,3,0,1] row_mask:0xf bank_mask:0xf
	v_cmp_gt_f32_e32 vcc, v10, v11
	s_nop 1
	v_cndmask_b32_e32 v10, v11, v10, vcc
	s_nop 1
	v_mov_b32_dpp v11, v10 row_ror:4 row_mask:0xf bank_mask:0xf
	v_cmp_gt_f32_e32 vcc, v10, v11
	s_nop 1
	v_cndmask_b32_e32 v10, v11, v10, vcc
	s_nop 1
	v_mov_b32_dpp v11, v10 row_ror:8 row_mask:0xf bank_mask:0xf
	v_cmp_gt_f32_e32 vcc, v10, v11
	s_nop 1
	v_cndmask_b32_e32 v10, v11, v10, vcc
	s_nop 1
	v_mov_b32_dpp v11, v10 row_bcast:15 row_mask:0xf bank_mask:0xf
	v_cmp_gt_f32_e32 vcc, v10, v11
	s_nop 1
	v_cndmask_b32_e32 v10, v11, v10, vcc
	s_nop 1
	v_mov_b32_dpp v11, v10 row_bcast:31 row_mask:0xf bank_mask:0xf
	v_cmp_gt_f32_e32 vcc, v10, v11
	s_nop 1
	v_cndmask_b32_e32 v10, v11, v10, vcc
	v_mbcnt_lo_u32_b32 v11, -1, 0
	v_mbcnt_hi_u32_b32 v11, -1, v11
	v_lshl_or_b32 v11, v11, 2, v12
	ds_bpermute_b32 v10, v11, v10
.LBB533_6:
	s_cbranch_execz .LBB533_10
	s_branch .LBB533_12
.LBB533_7:
                                        ; implicit-def: $vgpr10
	s_branch .LBB533_16
.LBB533_8:
                                        ; implicit-def: $vgpr10
	s_branch .LBB533_13
.LBB533_9:
                                        ; implicit-def: $vgpr10
.LBB533_10:
	s_cmp_eq_u32 s14, 32
	s_waitcnt lgkmcnt(0)
	v_mov_b32_e32 v10, v1
	s_cbranch_scc0 .LBB533_12
; %bb.11:
	s_nop 0
	v_mov_b32_dpp v10, v1 quad_perm:[1,0,3,2] row_mask:0xf bank_mask:0xf
	v_cmp_gt_f32_e32 vcc, v1, v10
	v_mov_b32_e32 v12, 0x7c
	s_nop 0
	v_cndmask_b32_e32 v10, v10, v1, vcc
	s_nop 1
	v_mov_b32_dpp v11, v10 quad_perm:[2,3,0,1] row_mask:0xf bank_mask:0xf
	v_cmp_gt_f32_e32 vcc, v10, v11
	s_nop 1
	v_cndmask_b32_e32 v10, v11, v10, vcc
	s_nop 1
	v_mov_b32_dpp v11, v10 row_half_mirror row_mask:0xf bank_mask:0xf
	v_cmp_gt_f32_e32 vcc, v10, v11
	s_nop 1
	v_cndmask_b32_e32 v10, v11, v10, vcc
	s_nop 1
	v_mov_b32_dpp v11, v10 row_mirror row_mask:0xf bank_mask:0xf
	v_cmp_gt_f32_e32 vcc, v10, v11
	s_nop 1
	v_cndmask_b32_e32 v10, v11, v10, vcc
	s_nop 1
	v_mov_b32_dpp v11, v10 row_bcast:15 row_mask:0xa bank_mask:0xf
	v_cmp_gt_f32_e32 vcc, v10, v11
	s_nop 1
	v_cndmask_b32_e32 v10, v11, v10, vcc
	v_mbcnt_lo_u32_b32 v11, -1, 0
	v_mbcnt_hi_u32_b32 v11, -1, v11
	v_lshl_or_b32 v11, v11, 2, v12
	ds_bpermute_b32 v10, v11, v10
.LBB533_12:
	s_cbranch_execnz .LBB533_15
.LBB533_13:
	s_cmp_eq_u32 s14, 16
	s_waitcnt lgkmcnt(0)
	v_mov_b32_e32 v10, v1
	s_cbranch_scc0 .LBB533_15
; %bb.14:
	s_nop 0
	v_mov_b32_dpp v10, v1 quad_perm:[1,0,3,2] row_mask:0xf bank_mask:0xf
	v_cmp_gt_f32_e32 vcc, v1, v10
	s_nop 1
	v_cndmask_b32_e32 v10, v10, v1, vcc
	s_nop 1
	v_mov_b32_dpp v11, v10 quad_perm:[2,3,0,1] row_mask:0xf bank_mask:0xf
	v_cmp_gt_f32_e32 vcc, v10, v11
	s_nop 1
	v_cndmask_b32_e32 v10, v11, v10, vcc
	s_nop 1
	v_mov_b32_dpp v11, v10 row_half_mirror row_mask:0xf bank_mask:0xf
	v_cmp_gt_f32_e32 vcc, v10, v11
	s_nop 1
	v_cndmask_b32_e32 v10, v11, v10, vcc
	s_nop 1
	v_mov_b32_dpp v11, v10 row_mirror row_mask:0xf bank_mask:0xf
	v_cmp_gt_f32_e32 vcc, v10, v11
	s_nop 1
	v_cndmask_b32_e32 v10, v11, v10, vcc
.LBB533_15:
	s_cbranch_execnz .LBB533_29
.LBB533_16:
	s_cmp_lt_i32 s14, 4
	s_cbranch_scc1 .LBB533_20
; %bb.17:
	s_cmp_lt_i32 s14, 8
	s_cbranch_scc1 .LBB533_21
; %bb.18:
	s_cmp_eq_u32 s14, 8
	s_waitcnt lgkmcnt(0)
	v_mov_b32_e32 v10, v1
	s_cbranch_scc0 .LBB533_22
; %bb.19:
	s_nop 0
	v_mov_b32_dpp v10, v1 quad_perm:[1,0,3,2] row_mask:0xf bank_mask:0xf
	v_cmp_gt_f32_e32 vcc, v1, v10
	s_nop 1
	v_cndmask_b32_e32 v10, v10, v1, vcc
	s_nop 1
	v_mov_b32_dpp v11, v10 quad_perm:[2,3,0,1] row_mask:0xf bank_mask:0xf
	v_cmp_gt_f32_e32 vcc, v10, v11
	s_nop 1
	v_cndmask_b32_e32 v10, v11, v10, vcc
	s_nop 1
	v_mov_b32_dpp v11, v10 row_half_mirror row_mask:0xf bank_mask:0xf
	v_cmp_gt_f32_e32 vcc, v10, v11
	s_nop 1
	v_cndmask_b32_e32 v10, v11, v10, vcc
	s_cbranch_execz .LBB533_23
	s_branch .LBB533_25
.LBB533_20:
                                        ; implicit-def: $vgpr10
	s_branch .LBB533_26
.LBB533_21:
                                        ; implicit-def: $vgpr10
	s_branch .LBB533_23
.LBB533_22:
	s_cbranch_execnz .LBB533_25
.LBB533_23:
	s_cmp_eq_u32 s14, 4
	s_waitcnt lgkmcnt(0)
	v_mov_b32_e32 v10, v1
	s_cbranch_scc0 .LBB533_25
; %bb.24:
	s_nop 0
	v_mov_b32_dpp v10, v1 quad_perm:[1,0,3,2] row_mask:0xf bank_mask:0xf
	v_cmp_gt_f32_e32 vcc, v1, v10
	s_nop 1
	v_cndmask_b32_e32 v10, v10, v1, vcc
	s_nop 1
	v_mov_b32_dpp v11, v10 quad_perm:[2,3,0,1] row_mask:0xf bank_mask:0xf
	v_cmp_gt_f32_e32 vcc, v10, v11
	s_nop 1
	v_cndmask_b32_e32 v10, v11, v10, vcc
.LBB533_25:
	s_cbranch_execnz .LBB533_29
.LBB533_26:
	s_cmp_lg_u32 s14, 2
	s_cbranch_scc1 .LBB533_28
; %bb.27:
	s_waitcnt lgkmcnt(0)
	v_mov_b32_dpp v10, v1 quad_perm:[1,0,3,2] row_mask:0xf bank_mask:0xf
	v_cmp_gt_f32_e32 vcc, v1, v10
	s_nop 1
	v_cndmask_b32_e32 v1, v10, v1, vcc
.LBB533_28:
	s_waitcnt lgkmcnt(0)
	v_mov_b32_e32 v10, v1
.LBB533_29:
	s_abs_i32 s6, s14
	v_cvt_f32_u32_e32 v1, s6
	s_sub_i32 s15, 0, s6
	s_waitcnt lgkmcnt(0)
	v_mul_f32_e32 v12, 0x3b888889, v10
	s_ashr_i32 s7, s14, 31
	v_rcp_iflag_f32_e32 v1, v1
	s_nop 0
	v_mul_f32_e32 v1, 0x4f7ffffe, v1
	v_cvt_u32_f32_e32 v1, v1
	v_mul_lo_u32 v10, s15, v1
	v_mul_hi_u32 v10, v1, v10
	v_add_u32_e32 v1, v1, v10
	v_mul_hi_u32 v1, v0, v1
	v_mul_lo_u32 v10, v1, s6
	v_sub_u32_e32 v10, v0, v10
	v_add_u32_e32 v11, 1, v1
	v_cmp_le_u32_e32 vcc, s6, v10
	s_nop 1
	v_cndmask_b32_e32 v1, v1, v11, vcc
	v_subrev_u32_e32 v11, s6, v10
	v_cndmask_b32_e32 v10, v10, v11, vcc
	v_add_u32_e32 v11, 1, v1
	v_cmp_le_u32_e32 vcc, s6, v10
	s_nop 1
	v_cndmask_b32_e32 v1, v1, v11, vcc
	v_xor_b32_e32 v1, s7, v1
	v_subrev_u32_e32 v10, s7, v1
	v_mul_lo_u32 v1, v10, s14
	v_sub_u32_e32 v0, v0, v1
	v_cmp_eq_u32_e32 vcc, 0, v0
	s_and_saveexec_b64 s[6:7], vcc
	s_cbranch_execz .LBB533_35
; %bb.30:
	s_load_dword s14, s[0:1], 0x24
	s_waitcnt lgkmcnt(0)
	s_bitcmp0_b32 s14, 0
	s_cbranch_scc0 .LBB533_32
; %bb.31:
	s_abs_i32 s14, s9
	v_cvt_f32_u32_e32 v0, s14
	s_sub_i32 s16, 0, s14
	s_abs_i32 s15, s10
	s_xor_b32 s9, s10, s9
	v_rcp_iflag_f32_e32 v0, v0
	s_ashr_i32 s9, s9, 31
	v_ashrrev_i32_e32 v11, 31, v10
	v_mov_b32_e32 v1, s2
	v_mul_f32_e32 v0, 0x4f7ffffe, v0
	v_cvt_u32_f32_e32 v0, v0
	s_nop 0
	v_readfirstlane_b32 s17, v0
	s_mul_i32 s16, s16, s17
	s_mul_hi_u32 s16, s17, s16
	s_add_i32 s17, s17, s16
	s_mul_hi_u32 s16, s15, s17
	s_mul_i32 s17, s16, s14
	s_sub_i32 s15, s15, s17
	s_add_i32 s18, s16, 1
	s_sub_i32 s17, s15, s14
	s_cmp_ge_u32 s15, s14
	s_cselect_b32 s16, s18, s16
	s_cselect_b32 s15, s17, s15
	s_add_i32 s17, s16, 1
	s_cmp_ge_u32 s15, s14
	s_cselect_b32 s14, s17, s16
	s_xor_b32 s14, s14, s9
	s_sub_i32 s9, s14, s9
	s_ashr_i32 s14, s9, 31
	s_mul_i32 s16, s14, s2
	v_mad_u64_u32 v[0:1], s[14:15], s9, v1, v[10:11]
	v_add_u32_e32 v1, s16, v1
	s_cbranch_execz .LBB533_33
	s_branch .LBB533_34
.LBB533_32:
                                        ; implicit-def: $vgpr0_vgpr1
.LBB533_33:
	s_load_dword s0, s[0:1], 0x28
	v_mov_b32_e32 v1, 0
	s_waitcnt lgkmcnt(0)
	v_mul_lo_u32 v0, s0, v10
	v_lshl_add_u64 v[0:1], v[0:1], 0, s[2:3]
.LBB533_34:
	v_lshl_add_u64 v[0:1], v[0:1], 2, s[12:13]
	global_store_dword v[0:1], v12, off
.LBB533_35:
	s_or_b64 exec, exec, s[6:7]
	s_add_i32 s0, s8, 3
	s_ashr_i32 s1, s0, 31
	s_lshr_b32 s1, s1, 30
	s_add_i32 s0, s0, s1
	s_and_b32 s6, s0, -4
	s_mul_i32 s0, s11, s2
	s_mul_hi_u32 s1, s10, s2
	s_add_i32 s1, s1, s0
	s_mul_i32 s0, s10, s2
	s_add_u32 s4, s4, s0
	;;#ASMSTART
	v_rcp_f32 v0, v12
	;;#ASMEND
	s_addc_u32 s0, s5, s1
	v_mov_b32_e32 v1, v0
	;;#ASMSTART
	v_pk_mul_f32 v[6:7], v[6:7], v[0:1]
	;;#ASMEND
	v_mov_b32_e32 v10, 0xc3700000
	v_mov_b32_e32 v11, 0x43700000
	;;#ASMSTART
	v_med3_f32 v6, v6, v10, v11
v_med3_f32 v7, v7, v10, v11
v_cvt_pk_fp8_f32 v12, v6, v7
	;;#ASMEND
	;;#ASMSTART
	v_pk_mul_f32 v[2:3], v[2:3], v[0:1]
	;;#ASMEND
	s_and_b32 s5, s0, 0xffff
	;;#ASMSTART
	v_med3_f32 v2, v2, v10, v11
v_med3_f32 v3, v3, v10, v11
v_cvt_pk_fp8_f32 v6, v2, v3
	;;#ASMEND
	s_mov_b32 s0, 0x5040100
	v_perm_b32 v3, v6, v12, s0
	s_movk_i32 s0, 0xff
	v_and_b32_e32 v2, 0xffffff00, v6
	v_and_b32_sdwa v6, v3, s0 dst_sel:DWORD dst_unused:UNUSED_PAD src0_sel:WORD_1 src1_sel:DWORD
	s_mov_b32 s1, 0xffff
	v_or_b32_sdwa v2, v6, v2 dst_sel:WORD_1 dst_unused:UNUSED_PAD src0_sel:DWORD src1_sel:DWORD
	;;#ASMSTART
	v_pk_mul_f32 v[6:7], v[8:9], v[0:1]
	;;#ASMEND
	s_mov_b32 s7, 0x20000
	v_and_or_b32 v2, v3, s1, v2
	v_mov_b32_e32 v3, v7
	;;#ASMSTART
	v_med3_f32 v6, v6, v10, v11
v_med3_f32 v3, v3, v10, v11
v_cvt_pk_fp8_f32 v7, v6, v3
	;;#ASMEND
	;;#ASMSTART
	v_pk_mul_f32 v[0:1], v[4:5], v[0:1]
	;;#ASMEND
	s_nop 0
	;;#ASMSTART
	v_med3_f32 v0, v0, v10, v11
v_med3_f32 v1, v1, v10, v11
v_cvt_pk_fp8_f32 v3, v0, v1
	;;#ASMEND
	s_nop 0
	v_lshlrev_b32_e32 v0, 16, v3
	v_and_or_b32 v3, v7, s1, v0
	buffer_store_dwordx2 v[2:3], v18, s[4:7], 0 offen
	;;#ASMSTART
	s_nop 0
	;;#ASMEND
.LBB533_36:
	s_endpgm
	.section	.rodata,"a",@progbits
	.p2align	6, 0x0
	.amdhsa_kernel _ZN5aiter24act_and_mul_quant_kernelIDF16_DB8_TnPFfRKT_EXadL_ZNS_11silu_kernelIDF16_EEfS4_EELi256ELi8ELb0EEEvPT0_PS3_Pfiifb
		.amdhsa_group_segment_fixed_size 0
		.amdhsa_private_segment_fixed_size 0
		.amdhsa_kernarg_size 296
		.amdhsa_user_sgpr_count 2
		.amdhsa_user_sgpr_dispatch_ptr 0
		.amdhsa_user_sgpr_queue_ptr 0
		.amdhsa_user_sgpr_kernarg_segment_ptr 1
		.amdhsa_user_sgpr_dispatch_id 0
		.amdhsa_user_sgpr_kernarg_preload_length 0
		.amdhsa_user_sgpr_kernarg_preload_offset 0
		.amdhsa_user_sgpr_private_segment_size 0
		.amdhsa_uses_dynamic_stack 0
		.amdhsa_enable_private_segment 0
		.amdhsa_system_sgpr_workgroup_id_x 1
		.amdhsa_system_sgpr_workgroup_id_y 0
		.amdhsa_system_sgpr_workgroup_id_z 0
		.amdhsa_system_sgpr_workgroup_info 0
		.amdhsa_system_vgpr_workitem_id 0
		.amdhsa_next_free_vgpr 34
		.amdhsa_next_free_sgpr 24
		.amdhsa_accum_offset 36
		.amdhsa_reserve_vcc 1
		.amdhsa_float_round_mode_32 0
		.amdhsa_float_round_mode_16_64 0
		.amdhsa_float_denorm_mode_32 3
		.amdhsa_float_denorm_mode_16_64 3
		.amdhsa_dx10_clamp 1
		.amdhsa_ieee_mode 1
		.amdhsa_fp16_overflow 0
		.amdhsa_tg_split 0
		.amdhsa_exception_fp_ieee_invalid_op 0
		.amdhsa_exception_fp_denorm_src 0
		.amdhsa_exception_fp_ieee_div_zero 0
		.amdhsa_exception_fp_ieee_overflow 0
		.amdhsa_exception_fp_ieee_underflow 0
		.amdhsa_exception_fp_ieee_inexact 0
		.amdhsa_exception_int_div_zero 0
	.end_amdhsa_kernel
	.section	.text._ZN5aiter24act_and_mul_quant_kernelIDF16_DB8_TnPFfRKT_EXadL_ZNS_11silu_kernelIDF16_EEfS4_EELi256ELi8ELb0EEEvPT0_PS3_Pfiifb,"axG",@progbits,_ZN5aiter24act_and_mul_quant_kernelIDF16_DB8_TnPFfRKT_EXadL_ZNS_11silu_kernelIDF16_EEfS4_EELi256ELi8ELb0EEEvPT0_PS3_Pfiifb,comdat
.Lfunc_end533:
	.size	_ZN5aiter24act_and_mul_quant_kernelIDF16_DB8_TnPFfRKT_EXadL_ZNS_11silu_kernelIDF16_EEfS4_EELi256ELi8ELb0EEEvPT0_PS3_Pfiifb, .Lfunc_end533-_ZN5aiter24act_and_mul_quant_kernelIDF16_DB8_TnPFfRKT_EXadL_ZNS_11silu_kernelIDF16_EEfS4_EELi256ELi8ELb0EEEvPT0_PS3_Pfiifb
                                        ; -- End function
	.section	.AMDGPU.csdata,"",@progbits
; Kernel info:
; codeLenInByte = 2564
; NumSgprs: 30
; NumVgprs: 34
; NumAgprs: 0
; TotalNumVgprs: 34
; ScratchSize: 0
; MemoryBound: 0
; FloatMode: 240
; IeeeMode: 1
; LDSByteSize: 0 bytes/workgroup (compile time only)
; SGPRBlocks: 3
; VGPRBlocks: 4
; NumSGPRsForWavesPerEU: 30
; NumVGPRsForWavesPerEU: 34
; AccumOffset: 36
; Occupancy: 8
; WaveLimiterHint : 0
; COMPUTE_PGM_RSRC2:SCRATCH_EN: 0
; COMPUTE_PGM_RSRC2:USER_SGPR: 2
; COMPUTE_PGM_RSRC2:TRAP_HANDLER: 0
; COMPUTE_PGM_RSRC2:TGID_X_EN: 1
; COMPUTE_PGM_RSRC2:TGID_Y_EN: 0
; COMPUTE_PGM_RSRC2:TGID_Z_EN: 0
; COMPUTE_PGM_RSRC2:TIDIG_COMP_CNT: 0
; COMPUTE_PGM_RSRC3_GFX90A:ACCUM_OFFSET: 8
; COMPUTE_PGM_RSRC3_GFX90A:TG_SPLIT: 0
	.section	.text._ZN5aiter24act_and_mul_quant_kernelItDB8_TnPFfRKT_EXadL_ZNS_11silu_kernelItEEfS4_EELi256ELi8ELb0EEEvPT0_PS3_Pfiifb,"axG",@progbits,_ZN5aiter24act_and_mul_quant_kernelItDB8_TnPFfRKT_EXadL_ZNS_11silu_kernelItEEfS4_EELi256ELi8ELb0EEEvPT0_PS3_Pfiifb,comdat
	.protected	_ZN5aiter24act_and_mul_quant_kernelItDB8_TnPFfRKT_EXadL_ZNS_11silu_kernelItEEfS4_EELi256ELi8ELb0EEEvPT0_PS3_Pfiifb ; -- Begin function _ZN5aiter24act_and_mul_quant_kernelItDB8_TnPFfRKT_EXadL_ZNS_11silu_kernelItEEfS4_EELi256ELi8ELb0EEEvPT0_PS3_Pfiifb
	.globl	_ZN5aiter24act_and_mul_quant_kernelItDB8_TnPFfRKT_EXadL_ZNS_11silu_kernelItEEfS4_EELi256ELi8ELb0EEEvPT0_PS3_Pfiifb
	.p2align	8
	.type	_ZN5aiter24act_and_mul_quant_kernelItDB8_TnPFfRKT_EXadL_ZNS_11silu_kernelItEEfS4_EELi256ELi8ELb0EEEvPT0_PS3_Pfiifb,@function
_ZN5aiter24act_and_mul_quant_kernelItDB8_TnPFfRKT_EXadL_ZNS_11silu_kernelItEEfS4_EELi256ELi8ELb0EEEvPT0_PS3_Pfiifb: ; @_ZN5aiter24act_and_mul_quant_kernelItDB8_TnPFfRKT_EXadL_ZNS_11silu_kernelItEEfS4_EELi256ELi8ELb0EEEvPT0_PS3_Pfiifb
; %bb.0:
	s_load_dwordx2 s[8:9], s[0:1], 0x18
	v_lshlrev_b32_e32 v16, 3, v0
	s_waitcnt lgkmcnt(0)
	v_cmp_gt_i32_e32 vcc, s8, v16
	s_and_saveexec_b64 s[4:5], vcc
	s_cbranch_execz .LBB534_36
; %bb.1:
	s_load_dwordx4 s[4:7], s[0:1], 0x0
	s_load_dwordx2 s[12:13], s[0:1], 0x10
	s_ashr_i32 s11, s8, 31
	s_mul_hi_u32 s3, s2, s8
	s_mul_i32 s14, s2, s11
	s_add_i32 s15, s3, s14
	s_mul_i32 s14, s2, s8
	s_lshl_b64 s[14:15], s[14:15], 2
	s_mov_b32 s10, s8
	s_waitcnt lgkmcnt(0)
	s_add_u32 s16, s6, s14
	s_addc_u32 s3, s7, s15
	s_lshl_b64 s[6:7], s[10:11], 1
	s_add_u32 s20, s16, s6
	s_addc_u32 s6, s3, s7
	s_lshl_b32 s7, s8, 1
	s_add_i32 s7, s7, 2
	s_and_b32 s22, s7, -4
	s_mov_b32 s23, 0x20000
	s_and_b32 s21, s6, 0xffff
	s_and_b32 s17, s3, 0xffff
	s_mov_b32 s18, s22
	v_lshlrev_b32_e32 v1, 4, v0
	s_mov_b32 s19, s23
	buffer_load_dwordx4 v[2:5], v1, s[20:23], 0 offen sc0 nt
	buffer_load_dwordx4 v[6:9], v1, s[16:19], 0 offen sc0 nt
	s_mov_b32 s14, 0xbfb8aa3b
	s_mov_b32 s6, 0x42ce8ed0
	;; [unrolled: 1-line block ×3, first 2 shown]
	v_mov_b32_e32 v1, 0x7f800000
	s_mov_b32 s3, 0
	s_waitcnt vmcnt(1)
	v_and_b32_e32 v11, 0xffff0000, v2
	s_waitcnt vmcnt(0)
	v_lshlrev_b32_e32 v12, 16, v6
	v_and_b32_e32 v13, 0xffff0000, v6
	v_mul_f32_e32 v6, 0xbfb8aa3b, v12
	v_lshlrev_b32_e32 v10, 16, v2
	v_and_b32_e32 v19, 0xffff0000, v3
	v_lshlrev_b32_e32 v18, 16, v3
	v_and_b32_e32 v3, 0xffff0000, v7
	v_lshlrev_b32_e32 v2, 16, v7
	v_mul_f32_e32 v7, 0xbfb8aa3b, v13
	v_fma_f32 v21, v12, s14, -v6
	v_rndne_f32_e32 v22, v6
	v_mul_f32_e32 v15, 0xbfb8aa3b, v2
	v_fma_f32 v23, v13, s14, -v7
	v_rndne_f32_e32 v24, v7
	v_fmac_f32_e32 v21, 0xb2a5705f, v12
	v_sub_f32_e32 v6, v6, v22
	v_mul_f32_e32 v17, 0xbfb8aa3b, v3
	v_fma_f32 v25, v2, s14, -v15
	v_rndne_f32_e32 v26, v15
	v_fmac_f32_e32 v23, 0xb2a5705f, v13
	v_sub_f32_e32 v7, v7, v24
	v_add_f32_e32 v6, v6, v21
	v_fma_f32 v27, v3, s14, -v17
	v_rndne_f32_e32 v28, v17
	v_cvt_i32_f32_e32 v22, v22
	v_fmac_f32_e32 v25, 0xb2a5705f, v2
	v_sub_f32_e32 v15, v15, v26
	v_add_f32_e32 v7, v7, v23
	v_exp_f32_e32 v6, v6
	v_cvt_i32_f32_e32 v24, v24
	v_fmac_f32_e32 v27, 0xb2a5705f, v3
	v_sub_f32_e32 v17, v17, v28
	v_add_f32_e32 v15, v15, v25
	v_exp_f32_e32 v7, v7
	v_cvt_i32_f32_e32 v26, v26
	v_add_f32_e32 v17, v17, v27
	v_exp_f32_e32 v15, v15
	v_cvt_i32_f32_e32 v28, v28
	v_exp_f32_e32 v17, v17
	v_ldexp_f32 v6, v6, v22
	v_cmp_nlt_f32_e32 vcc, s6, v12
	v_ldexp_f32 v7, v7, v24
	v_ldexp_f32 v15, v15, v26
	v_cndmask_b32_e32 v6, 0, v6, vcc
	v_cmp_nlt_f32_e32 vcc, s6, v13
	v_ldexp_f32 v17, v17, v28
	v_lshlrev_b32_e32 v14, 16, v8
	v_cndmask_b32_e32 v7, 0, v7, vcc
	v_cmp_nlt_f32_e32 vcc, s6, v2
	v_mul_f32_e32 v20, 0xbfb8aa3b, v14
	v_fma_f32 v29, v14, s14, -v20
	v_cndmask_b32_e32 v15, 0, v15, vcc
	v_cmp_nlt_f32_e32 vcc, s6, v3
	v_rndne_f32_e32 v30, v20
	v_fmac_f32_e32 v29, 0xb2a5705f, v14
	v_cndmask_b32_e32 v17, 0, v17, vcc
	v_cmp_ngt_f32_e32 vcc, s7, v12
	v_sub_f32_e32 v31, v20, v30
	v_cvt_i32_f32_e32 v30, v30
	v_cndmask_b32_e32 v6, v1, v6, vcc
	v_cmp_ngt_f32_e32 vcc, s7, v13
	v_add_f32_e32 v6, 1.0, v6
	v_rcp_f32_e32 v6, v6
	v_cndmask_b32_e32 v7, v1, v7, vcc
	v_add_f32_e32 v7, 1.0, v7
	v_cmp_ngt_f32_e32 vcc, s7, v2
	v_rcp_f32_e32 v7, v7
	s_nop 0
	v_cndmask_b32_e32 v15, v1, v15, vcc
	v_cmp_ngt_f32_e32 vcc, s7, v3
	v_add_f32_e32 v15, 1.0, v15
	v_rcp_f32_e32 v20, v15
	v_cndmask_b32_e32 v17, v1, v17, vcc
	v_add_f32_e32 v17, 1.0, v17
	v_add_f32_e32 v15, v31, v29
	v_rcp_f32_e32 v21, v17
	v_exp_f32_e32 v17, v15
	v_pk_mul_f32 v[6:7], v[6:7], v[12:13]
	v_and_b32_e32 v15, 0xffff0000, v8
	;;#ASMSTART
	v_pk_mul_f32 v[6:7], v[6:7], v[10:11]
	;;#ASMEND
	v_mul_f32_e32 v10, 0xbfb8aa3b, v15
	v_fma_f32 v12, v15, s14, -v10
	v_rndne_f32_e32 v13, v10
	v_fmac_f32_e32 v12, 0xb2a5705f, v15
	v_sub_f32_e32 v10, v10, v13
	v_add_f32_e32 v10, v10, v12
	v_ldexp_f32 v8, v17, v30
	v_cmp_nlt_f32_e32 vcc, s6, v14
	v_exp_f32_e32 v10, v10
	v_cvt_i32_f32_e32 v13, v13
	v_cndmask_b32_e32 v8, 0, v8, vcc
	v_cmp_ngt_f32_e32 vcc, s7, v14
	v_pk_mul_f32 v[2:3], v[20:21], v[2:3]
	v_and_b32_e32 v11, 0xffff0000, v4
	v_cndmask_b32_e32 v8, v1, v8, vcc
	v_add_f32_e32 v8, 1.0, v8
	v_rcp_f32_e32 v12, v8
	v_ldexp_f32 v8, v10, v13
	v_cmp_nlt_f32_e32 vcc, s6, v15
	;;#ASMSTART
	v_pk_mul_f32 v[2:3], v[2:3], v[18:19]
	;;#ASMEND
	v_lshlrev_b32_e32 v18, 16, v9
	v_and_b32_e32 v19, 0xffff0000, v9
	v_cndmask_b32_e32 v8, 0, v8, vcc
	v_cmp_ngt_f32_e32 vcc, s7, v15
	s_nop 1
	v_cndmask_b32_e32 v8, v1, v8, vcc
	v_add_f32_e32 v8, 1.0, v8
	v_rcp_f32_e32 v13, v8
	v_mul_f32_e32 v8, 0xbfb8aa3b, v18
	v_fma_f32 v10, v18, s14, -v8
	v_rndne_f32_e32 v17, v8
	v_fmac_f32_e32 v10, 0xb2a5705f, v18
	v_sub_f32_e32 v8, v8, v17
	v_add_f32_e32 v8, v8, v10
	v_exp_f32_e32 v8, v8
	v_cvt_i32_f32_e32 v17, v17
	v_lshlrev_b32_e32 v10, 16, v4
	v_pk_mul_f32 v[12:13], v[12:13], v[14:15]
	v_cmp_nlt_f32_e32 vcc, s6, v18
	v_ldexp_f32 v4, v8, v17
	v_mul_f32_e32 v8, 0xbfb8aa3b, v19
	v_fma_f32 v9, v19, s14, -v8
	v_rndne_f32_e32 v14, v8
	v_fmac_f32_e32 v9, 0xb2a5705f, v19
	v_sub_f32_e32 v8, v8, v14
	v_add_f32_e32 v8, v8, v9
	v_exp_f32_e32 v8, v8
	v_cvt_i32_f32_e32 v9, v14
	v_cndmask_b32_e32 v4, 0, v4, vcc
	v_cmp_ngt_f32_e32 vcc, s7, v18
	s_nop 1
	v_cndmask_b32_e32 v4, v1, v4, vcc
	v_add_f32_e32 v4, 1.0, v4
	v_rcp_f32_e32 v14, v4
	v_ldexp_f32 v4, v8, v9
	v_cmp_nlt_f32_e32 vcc, s6, v19
	s_ashr_i32 s6, s9, 31
	;;#ASMSTART
	v_pk_mul_f32 v[8:9], v[12:13], v[10:11]
	;;#ASMEND
	v_and_b32_e32 v11, 0xffff0000, v5
	v_cndmask_b32_e32 v4, 0, v4, vcc
	v_cmp_ngt_f32_e32 vcc, s7, v19
	v_lshlrev_b32_e32 v10, 16, v5
	s_lshr_b32 s6, s6, 29
	v_cndmask_b32_e32 v1, v1, v4, vcc
	v_add_f32_e32 v1, 1.0, v1
	v_rcp_f32_e32 v15, v1
	v_and_b32_e32 v1, 0x7fffffff, v6
	s_add_i32 s6, s9, s6
	s_ashr_i32 s14, s6, 3
	v_pk_mul_f32 v[4:5], v[14:15], v[18:19]
	s_cmp_lt_i32 s14, 16
	;;#ASMSTART
	v_pk_mul_f32 v[4:5], v[4:5], v[10:11]
	;;#ASMEND
	v_and_b32_e32 v10, 0x7fffffff, v7
	v_mov_b32_e32 v11, 0x2edbe6ff
	;;#ASMSTART
	v_max3_f32 v1, v11, v1, v10

	;;#ASMEND
	v_and_b32_e32 v10, 0x7fffffff, v2
	v_and_b32_e32 v11, 0x7fffffff, v3
	;;#ASMSTART
	v_max3_f32 v1, v1, v10, v11

	;;#ASMEND
	v_and_b32_e32 v10, 0x7fffffff, v8
	v_and_b32_e32 v11, 0x7fffffff, v9
	;; [unrolled: 6-line block ×3, first 2 shown]
	;;#ASMSTART
	v_max3_f32 v1, v1, v10, v11

	;;#ASMEND
	s_cbranch_scc1 .LBB534_7
; %bb.2:
	s_cmp_lt_i32 s14, 32
	s_cbranch_scc1 .LBB534_8
; %bb.3:
	s_cmp_lt_i32 s14, 64
	s_cbranch_scc1 .LBB534_9
; %bb.4:
	s_cmp_eq_u32 s14, 64
	v_mov_b32_e32 v10, v1
	s_cbranch_scc0 .LBB534_6
; %bb.5:
	s_nop 0
	v_mov_b32_dpp v10, v1 quad_perm:[1,0,3,2] row_mask:0xf bank_mask:0xf
	v_cmp_gt_f32_e32 vcc, v1, v10
	v_bfrev_b32_e32 v12, 0.5
	s_nop 0
	v_cndmask_b32_e32 v10, v10, v1, vcc
	s_nop 1
	v_mov_b32_dpp v11, v10 quad_perm:[2,3,0,1] row_mask:0xf bank_mask:0xf
	v_cmp_gt_f32_e32 vcc, v10, v11
	s_nop 1
	v_cndmask_b32_e32 v10, v11, v10, vcc
	s_nop 1
	v_mov_b32_dpp v11, v10 row_ror:4 row_mask:0xf bank_mask:0xf
	v_cmp_gt_f32_e32 vcc, v10, v11
	s_nop 1
	v_cndmask_b32_e32 v10, v11, v10, vcc
	s_nop 1
	v_mov_b32_dpp v11, v10 row_ror:8 row_mask:0xf bank_mask:0xf
	v_cmp_gt_f32_e32 vcc, v10, v11
	s_nop 1
	v_cndmask_b32_e32 v10, v11, v10, vcc
	s_nop 1
	v_mov_b32_dpp v11, v10 row_bcast:15 row_mask:0xf bank_mask:0xf
	v_cmp_gt_f32_e32 vcc, v10, v11
	s_nop 1
	v_cndmask_b32_e32 v10, v11, v10, vcc
	s_nop 1
	v_mov_b32_dpp v11, v10 row_bcast:31 row_mask:0xf bank_mask:0xf
	v_cmp_gt_f32_e32 vcc, v10, v11
	s_nop 1
	v_cndmask_b32_e32 v10, v11, v10, vcc
	v_mbcnt_lo_u32_b32 v11, -1, 0
	v_mbcnt_hi_u32_b32 v11, -1, v11
	v_lshl_or_b32 v11, v11, 2, v12
	ds_bpermute_b32 v10, v11, v10
.LBB534_6:
	s_cbranch_execz .LBB534_10
	s_branch .LBB534_12
.LBB534_7:
                                        ; implicit-def: $vgpr10
	s_branch .LBB534_16
.LBB534_8:
                                        ; implicit-def: $vgpr10
	s_branch .LBB534_13
.LBB534_9:
                                        ; implicit-def: $vgpr10
.LBB534_10:
	s_cmp_eq_u32 s14, 32
	s_waitcnt lgkmcnt(0)
	v_mov_b32_e32 v10, v1
	s_cbranch_scc0 .LBB534_12
; %bb.11:
	s_nop 0
	v_mov_b32_dpp v10, v1 quad_perm:[1,0,3,2] row_mask:0xf bank_mask:0xf
	v_cmp_gt_f32_e32 vcc, v1, v10
	v_mov_b32_e32 v12, 0x7c
	s_nop 0
	v_cndmask_b32_e32 v10, v10, v1, vcc
	s_nop 1
	v_mov_b32_dpp v11, v10 quad_perm:[2,3,0,1] row_mask:0xf bank_mask:0xf
	v_cmp_gt_f32_e32 vcc, v10, v11
	s_nop 1
	v_cndmask_b32_e32 v10, v11, v10, vcc
	s_nop 1
	v_mov_b32_dpp v11, v10 row_half_mirror row_mask:0xf bank_mask:0xf
	v_cmp_gt_f32_e32 vcc, v10, v11
	s_nop 1
	v_cndmask_b32_e32 v10, v11, v10, vcc
	s_nop 1
	v_mov_b32_dpp v11, v10 row_mirror row_mask:0xf bank_mask:0xf
	v_cmp_gt_f32_e32 vcc, v10, v11
	s_nop 1
	v_cndmask_b32_e32 v10, v11, v10, vcc
	s_nop 1
	v_mov_b32_dpp v11, v10 row_bcast:15 row_mask:0xa bank_mask:0xf
	v_cmp_gt_f32_e32 vcc, v10, v11
	s_nop 1
	v_cndmask_b32_e32 v10, v11, v10, vcc
	v_mbcnt_lo_u32_b32 v11, -1, 0
	v_mbcnt_hi_u32_b32 v11, -1, v11
	v_lshl_or_b32 v11, v11, 2, v12
	ds_bpermute_b32 v10, v11, v10
.LBB534_12:
	s_cbranch_execnz .LBB534_15
.LBB534_13:
	s_cmp_eq_u32 s14, 16
	s_waitcnt lgkmcnt(0)
	v_mov_b32_e32 v10, v1
	s_cbranch_scc0 .LBB534_15
; %bb.14:
	s_nop 0
	v_mov_b32_dpp v10, v1 quad_perm:[1,0,3,2] row_mask:0xf bank_mask:0xf
	v_cmp_gt_f32_e32 vcc, v1, v10
	s_nop 1
	v_cndmask_b32_e32 v10, v10, v1, vcc
	s_nop 1
	v_mov_b32_dpp v11, v10 quad_perm:[2,3,0,1] row_mask:0xf bank_mask:0xf
	v_cmp_gt_f32_e32 vcc, v10, v11
	s_nop 1
	v_cndmask_b32_e32 v10, v11, v10, vcc
	s_nop 1
	v_mov_b32_dpp v11, v10 row_half_mirror row_mask:0xf bank_mask:0xf
	v_cmp_gt_f32_e32 vcc, v10, v11
	s_nop 1
	v_cndmask_b32_e32 v10, v11, v10, vcc
	s_nop 1
	v_mov_b32_dpp v11, v10 row_mirror row_mask:0xf bank_mask:0xf
	v_cmp_gt_f32_e32 vcc, v10, v11
	s_nop 1
	v_cndmask_b32_e32 v10, v11, v10, vcc
.LBB534_15:
	s_cbranch_execnz .LBB534_29
.LBB534_16:
	s_cmp_lt_i32 s14, 4
	s_cbranch_scc1 .LBB534_20
; %bb.17:
	s_cmp_lt_i32 s14, 8
	s_cbranch_scc1 .LBB534_21
; %bb.18:
	s_cmp_eq_u32 s14, 8
	s_waitcnt lgkmcnt(0)
	v_mov_b32_e32 v10, v1
	s_cbranch_scc0 .LBB534_22
; %bb.19:
	s_nop 0
	v_mov_b32_dpp v10, v1 quad_perm:[1,0,3,2] row_mask:0xf bank_mask:0xf
	v_cmp_gt_f32_e32 vcc, v1, v10
	s_nop 1
	v_cndmask_b32_e32 v10, v10, v1, vcc
	s_nop 1
	v_mov_b32_dpp v11, v10 quad_perm:[2,3,0,1] row_mask:0xf bank_mask:0xf
	v_cmp_gt_f32_e32 vcc, v10, v11
	s_nop 1
	v_cndmask_b32_e32 v10, v11, v10, vcc
	s_nop 1
	v_mov_b32_dpp v11, v10 row_half_mirror row_mask:0xf bank_mask:0xf
	v_cmp_gt_f32_e32 vcc, v10, v11
	s_nop 1
	v_cndmask_b32_e32 v10, v11, v10, vcc
	s_cbranch_execz .LBB534_23
	s_branch .LBB534_25
.LBB534_20:
                                        ; implicit-def: $vgpr10
	s_branch .LBB534_26
.LBB534_21:
                                        ; implicit-def: $vgpr10
	s_branch .LBB534_23
.LBB534_22:
	s_cbranch_execnz .LBB534_25
.LBB534_23:
	s_cmp_eq_u32 s14, 4
	s_waitcnt lgkmcnt(0)
	v_mov_b32_e32 v10, v1
	s_cbranch_scc0 .LBB534_25
; %bb.24:
	s_nop 0
	v_mov_b32_dpp v10, v1 quad_perm:[1,0,3,2] row_mask:0xf bank_mask:0xf
	v_cmp_gt_f32_e32 vcc, v1, v10
	s_nop 1
	v_cndmask_b32_e32 v10, v10, v1, vcc
	s_nop 1
	v_mov_b32_dpp v11, v10 quad_perm:[2,3,0,1] row_mask:0xf bank_mask:0xf
	v_cmp_gt_f32_e32 vcc, v10, v11
	s_nop 1
	v_cndmask_b32_e32 v10, v11, v10, vcc
.LBB534_25:
	s_cbranch_execnz .LBB534_29
.LBB534_26:
	s_cmp_lg_u32 s14, 2
	s_cbranch_scc1 .LBB534_28
; %bb.27:
	s_waitcnt lgkmcnt(0)
	v_mov_b32_dpp v10, v1 quad_perm:[1,0,3,2] row_mask:0xf bank_mask:0xf
	v_cmp_gt_f32_e32 vcc, v1, v10
	s_nop 1
	v_cndmask_b32_e32 v1, v10, v1, vcc
.LBB534_28:
	s_waitcnt lgkmcnt(0)
	v_mov_b32_e32 v10, v1
.LBB534_29:
	s_abs_i32 s6, s14
	v_cvt_f32_u32_e32 v1, s6
	s_sub_i32 s15, 0, s6
	s_waitcnt lgkmcnt(0)
	v_mul_f32_e32 v12, 0x3b888889, v10
	s_ashr_i32 s7, s14, 31
	v_rcp_iflag_f32_e32 v1, v1
	s_nop 0
	v_mul_f32_e32 v1, 0x4f7ffffe, v1
	v_cvt_u32_f32_e32 v1, v1
	v_mul_lo_u32 v10, s15, v1
	v_mul_hi_u32 v10, v1, v10
	v_add_u32_e32 v1, v1, v10
	v_mul_hi_u32 v1, v0, v1
	v_mul_lo_u32 v10, v1, s6
	v_sub_u32_e32 v10, v0, v10
	v_add_u32_e32 v11, 1, v1
	v_cmp_le_u32_e32 vcc, s6, v10
	s_nop 1
	v_cndmask_b32_e32 v1, v1, v11, vcc
	v_subrev_u32_e32 v11, s6, v10
	v_cndmask_b32_e32 v10, v10, v11, vcc
	v_add_u32_e32 v11, 1, v1
	v_cmp_le_u32_e32 vcc, s6, v10
	s_nop 1
	v_cndmask_b32_e32 v1, v1, v11, vcc
	v_xor_b32_e32 v1, s7, v1
	v_subrev_u32_e32 v10, s7, v1
	v_mul_lo_u32 v1, v10, s14
	v_sub_u32_e32 v0, v0, v1
	v_cmp_eq_u32_e32 vcc, 0, v0
	s_and_saveexec_b64 s[6:7], vcc
	s_cbranch_execz .LBB534_35
; %bb.30:
	s_load_dword s14, s[0:1], 0x24
	s_waitcnt lgkmcnt(0)
	s_bitcmp0_b32 s14, 0
	s_cbranch_scc0 .LBB534_32
; %bb.31:
	s_abs_i32 s14, s9
	v_cvt_f32_u32_e32 v0, s14
	s_sub_i32 s16, 0, s14
	s_abs_i32 s15, s10
	s_xor_b32 s9, s10, s9
	v_rcp_iflag_f32_e32 v0, v0
	s_ashr_i32 s9, s9, 31
	v_ashrrev_i32_e32 v11, 31, v10
	v_mov_b32_e32 v1, s2
	v_mul_f32_e32 v0, 0x4f7ffffe, v0
	v_cvt_u32_f32_e32 v0, v0
	s_nop 0
	v_readfirstlane_b32 s17, v0
	s_mul_i32 s16, s16, s17
	s_mul_hi_u32 s16, s17, s16
	s_add_i32 s17, s17, s16
	s_mul_hi_u32 s16, s15, s17
	s_mul_i32 s17, s16, s14
	s_sub_i32 s15, s15, s17
	s_add_i32 s18, s16, 1
	s_sub_i32 s17, s15, s14
	s_cmp_ge_u32 s15, s14
	s_cselect_b32 s16, s18, s16
	s_cselect_b32 s15, s17, s15
	s_add_i32 s17, s16, 1
	s_cmp_ge_u32 s15, s14
	s_cselect_b32 s14, s17, s16
	s_xor_b32 s14, s14, s9
	s_sub_i32 s9, s14, s9
	s_ashr_i32 s14, s9, 31
	s_mul_i32 s16, s14, s2
	v_mad_u64_u32 v[0:1], s[14:15], s9, v1, v[10:11]
	v_add_u32_e32 v1, s16, v1
	s_cbranch_execz .LBB534_33
	s_branch .LBB534_34
.LBB534_32:
                                        ; implicit-def: $vgpr0_vgpr1
.LBB534_33:
	s_load_dword s0, s[0:1], 0x28
	v_mov_b32_e32 v1, 0
	s_waitcnt lgkmcnt(0)
	v_mul_lo_u32 v0, s0, v10
	v_lshl_add_u64 v[0:1], v[0:1], 0, s[2:3]
.LBB534_34:
	v_lshl_add_u64 v[0:1], v[0:1], 2, s[12:13]
	global_store_dword v[0:1], v12, off
.LBB534_35:
	s_or_b64 exec, exec, s[6:7]
	s_add_i32 s0, s8, 3
	s_ashr_i32 s1, s0, 31
	s_lshr_b32 s1, s1, 30
	s_add_i32 s0, s0, s1
	s_and_b32 s6, s0, -4
	s_mul_i32 s0, s11, s2
	s_mul_hi_u32 s1, s10, s2
	s_add_i32 s1, s1, s0
	s_mul_i32 s0, s10, s2
	s_add_u32 s4, s4, s0
	;;#ASMSTART
	v_rcp_f32 v0, v12
	;;#ASMEND
	s_addc_u32 s0, s5, s1
	v_mov_b32_e32 v1, v0
	;;#ASMSTART
	v_pk_mul_f32 v[6:7], v[6:7], v[0:1]
	;;#ASMEND
	v_mov_b32_e32 v10, 0xc3700000
	v_mov_b32_e32 v11, 0x43700000
	;;#ASMSTART
	v_med3_f32 v6, v6, v10, v11
v_med3_f32 v7, v7, v10, v11
v_cvt_pk_fp8_f32 v12, v6, v7
	;;#ASMEND
	;;#ASMSTART
	v_pk_mul_f32 v[2:3], v[2:3], v[0:1]
	;;#ASMEND
	s_and_b32 s5, s0, 0xffff
	;;#ASMSTART
	v_med3_f32 v2, v2, v10, v11
v_med3_f32 v3, v3, v10, v11
v_cvt_pk_fp8_f32 v6, v2, v3
	;;#ASMEND
	s_mov_b32 s0, 0x5040100
	v_perm_b32 v3, v6, v12, s0
	s_movk_i32 s0, 0xff
	v_and_b32_e32 v2, 0xffffff00, v6
	v_and_b32_sdwa v6, v3, s0 dst_sel:DWORD dst_unused:UNUSED_PAD src0_sel:WORD_1 src1_sel:DWORD
	s_mov_b32 s1, 0xffff
	v_or_b32_sdwa v2, v6, v2 dst_sel:WORD_1 dst_unused:UNUSED_PAD src0_sel:DWORD src1_sel:DWORD
	;;#ASMSTART
	v_pk_mul_f32 v[6:7], v[8:9], v[0:1]
	;;#ASMEND
	s_mov_b32 s7, 0x20000
	v_and_or_b32 v2, v3, s1, v2
	v_mov_b32_e32 v3, v7
	;;#ASMSTART
	v_med3_f32 v6, v6, v10, v11
v_med3_f32 v3, v3, v10, v11
v_cvt_pk_fp8_f32 v7, v6, v3
	;;#ASMEND
	;;#ASMSTART
	v_pk_mul_f32 v[0:1], v[4:5], v[0:1]
	;;#ASMEND
	s_nop 0
	;;#ASMSTART
	v_med3_f32 v0, v0, v10, v11
v_med3_f32 v1, v1, v10, v11
v_cvt_pk_fp8_f32 v3, v0, v1
	;;#ASMEND
	s_nop 0
	v_lshlrev_b32_e32 v0, 16, v3
	v_and_or_b32 v3, v7, s1, v0
	buffer_store_dwordx2 v[2:3], v16, s[4:7], 0 offen
	;;#ASMSTART
	s_nop 0
	;;#ASMEND
.LBB534_36:
	s_endpgm
	.section	.rodata,"a",@progbits
	.p2align	6, 0x0
	.amdhsa_kernel _ZN5aiter24act_and_mul_quant_kernelItDB8_TnPFfRKT_EXadL_ZNS_11silu_kernelItEEfS4_EELi256ELi8ELb0EEEvPT0_PS3_Pfiifb
		.amdhsa_group_segment_fixed_size 0
		.amdhsa_private_segment_fixed_size 0
		.amdhsa_kernarg_size 296
		.amdhsa_user_sgpr_count 2
		.amdhsa_user_sgpr_dispatch_ptr 0
		.amdhsa_user_sgpr_queue_ptr 0
		.amdhsa_user_sgpr_kernarg_segment_ptr 1
		.amdhsa_user_sgpr_dispatch_id 0
		.amdhsa_user_sgpr_kernarg_preload_length 0
		.amdhsa_user_sgpr_kernarg_preload_offset 0
		.amdhsa_user_sgpr_private_segment_size 0
		.amdhsa_uses_dynamic_stack 0
		.amdhsa_enable_private_segment 0
		.amdhsa_system_sgpr_workgroup_id_x 1
		.amdhsa_system_sgpr_workgroup_id_y 0
		.amdhsa_system_sgpr_workgroup_id_z 0
		.amdhsa_system_sgpr_workgroup_info 0
		.amdhsa_system_vgpr_workitem_id 0
		.amdhsa_next_free_vgpr 32
		.amdhsa_next_free_sgpr 24
		.amdhsa_accum_offset 32
		.amdhsa_reserve_vcc 1
		.amdhsa_float_round_mode_32 0
		.amdhsa_float_round_mode_16_64 0
		.amdhsa_float_denorm_mode_32 3
		.amdhsa_float_denorm_mode_16_64 3
		.amdhsa_dx10_clamp 1
		.amdhsa_ieee_mode 1
		.amdhsa_fp16_overflow 0
		.amdhsa_tg_split 0
		.amdhsa_exception_fp_ieee_invalid_op 0
		.amdhsa_exception_fp_denorm_src 0
		.amdhsa_exception_fp_ieee_div_zero 0
		.amdhsa_exception_fp_ieee_overflow 0
		.amdhsa_exception_fp_ieee_underflow 0
		.amdhsa_exception_fp_ieee_inexact 0
		.amdhsa_exception_int_div_zero 0
	.end_amdhsa_kernel
	.section	.text._ZN5aiter24act_and_mul_quant_kernelItDB8_TnPFfRKT_EXadL_ZNS_11silu_kernelItEEfS4_EELi256ELi8ELb0EEEvPT0_PS3_Pfiifb,"axG",@progbits,_ZN5aiter24act_and_mul_quant_kernelItDB8_TnPFfRKT_EXadL_ZNS_11silu_kernelItEEfS4_EELi256ELi8ELb0EEEvPT0_PS3_Pfiifb,comdat
.Lfunc_end534:
	.size	_ZN5aiter24act_and_mul_quant_kernelItDB8_TnPFfRKT_EXadL_ZNS_11silu_kernelItEEfS4_EELi256ELi8ELb0EEEvPT0_PS3_Pfiifb, .Lfunc_end534-_ZN5aiter24act_and_mul_quant_kernelItDB8_TnPFfRKT_EXadL_ZNS_11silu_kernelItEEfS4_EELi256ELi8ELb0EEEvPT0_PS3_Pfiifb
                                        ; -- End function
	.section	.AMDGPU.csdata,"",@progbits
; Kernel info:
; codeLenInByte = 2564
; NumSgprs: 30
; NumVgprs: 32
; NumAgprs: 0
; TotalNumVgprs: 32
; ScratchSize: 0
; MemoryBound: 0
; FloatMode: 240
; IeeeMode: 1
; LDSByteSize: 0 bytes/workgroup (compile time only)
; SGPRBlocks: 3
; VGPRBlocks: 3
; NumSGPRsForWavesPerEU: 30
; NumVGPRsForWavesPerEU: 32
; AccumOffset: 32
; Occupancy: 8
; WaveLimiterHint : 0
; COMPUTE_PGM_RSRC2:SCRATCH_EN: 0
; COMPUTE_PGM_RSRC2:USER_SGPR: 2
; COMPUTE_PGM_RSRC2:TRAP_HANDLER: 0
; COMPUTE_PGM_RSRC2:TGID_X_EN: 1
; COMPUTE_PGM_RSRC2:TGID_Y_EN: 0
; COMPUTE_PGM_RSRC2:TGID_Z_EN: 0
; COMPUTE_PGM_RSRC2:TIDIG_COMP_CNT: 0
; COMPUTE_PGM_RSRC3_GFX90A:ACCUM_OFFSET: 7
; COMPUTE_PGM_RSRC3_GFX90A:TG_SPLIT: 0
	.section	.text._ZN5aiter24act_and_mul_quant_kernelIDF16_DB8_TnPFfRKT_EXadL_ZNS_11silu_kernelIDF16_EEfS4_EELi256ELi16ELb0EEEvPT0_PS3_Pfiifb,"axG",@progbits,_ZN5aiter24act_and_mul_quant_kernelIDF16_DB8_TnPFfRKT_EXadL_ZNS_11silu_kernelIDF16_EEfS4_EELi256ELi16ELb0EEEvPT0_PS3_Pfiifb,comdat
	.protected	_ZN5aiter24act_and_mul_quant_kernelIDF16_DB8_TnPFfRKT_EXadL_ZNS_11silu_kernelIDF16_EEfS4_EELi256ELi16ELb0EEEvPT0_PS3_Pfiifb ; -- Begin function _ZN5aiter24act_and_mul_quant_kernelIDF16_DB8_TnPFfRKT_EXadL_ZNS_11silu_kernelIDF16_EEfS4_EELi256ELi16ELb0EEEvPT0_PS3_Pfiifb
	.globl	_ZN5aiter24act_and_mul_quant_kernelIDF16_DB8_TnPFfRKT_EXadL_ZNS_11silu_kernelIDF16_EEfS4_EELi256ELi16ELb0EEEvPT0_PS3_Pfiifb
	.p2align	8
	.type	_ZN5aiter24act_and_mul_quant_kernelIDF16_DB8_TnPFfRKT_EXadL_ZNS_11silu_kernelIDF16_EEfS4_EELi256ELi16ELb0EEEvPT0_PS3_Pfiifb,@function
_ZN5aiter24act_and_mul_quant_kernelIDF16_DB8_TnPFfRKT_EXadL_ZNS_11silu_kernelIDF16_EEfS4_EELi256ELi16ELb0EEEvPT0_PS3_Pfiifb: ; @_ZN5aiter24act_and_mul_quant_kernelIDF16_DB8_TnPFfRKT_EXadL_ZNS_11silu_kernelIDF16_EEfS4_EELi256ELi16ELb0EEEvPT0_PS3_Pfiifb
; %bb.0:
	s_load_dwordx2 s[16:17], s[0:1], 0x18
	v_lshlrev_b32_e32 v22, 4, v0
	s_waitcnt lgkmcnt(0)
	v_cmp_gt_i32_e32 vcc, s16, v22
	s_and_saveexec_b64 s[4:5], vcc
	s_cbranch_execz .LBB535_36
; %bb.1:
	s_load_dwordx4 s[4:7], s[0:1], 0x0
	s_load_dwordx2 s[20:21], s[0:1], 0x10
	s_ashr_i32 s19, s16, 31
	s_mul_hi_u32 s3, s2, s16
	s_mul_i32 s8, s2, s19
	s_add_i32 s9, s3, s8
	s_mul_i32 s8, s2, s16
	s_lshl_b64 s[8:9], s[8:9], 2
	s_mov_b32 s18, s16
	s_waitcnt lgkmcnt(0)
	s_add_u32 s8, s6, s8
	s_addc_u32 s3, s7, s9
	s_lshl_b64 s[6:7], s[18:19], 1
	s_add_u32 s12, s8, s6
	s_addc_u32 s6, s3, s7
	s_lshl_b32 s7, s16, 1
	s_add_i32 s7, s7, 2
	s_and_b32 s14, s7, -4
	s_mov_b32 s15, 0x20000
	s_and_b32 s13, s6, 0xffff
	v_lshlrev_b32_e32 v18, 5, v0
	s_and_b32 s9, s3, 0xffff
	s_mov_b32 s10, s14
	s_mov_b32 s11, s15
	buffer_load_dwordx4 v[10:13], v18, s[12:15], 0 offen sc0 nt
	buffer_load_dwordx4 v[14:17], v18, s[8:11], 0 offen sc0 nt
	;; [unrolled: 1-line block ×4, first 2 shown]
	s_mov_b32 s7, 0xbfb8aa3b
	s_mov_b32 s23, 0xb2a5705f
	;; [unrolled: 1-line block ×4, first 2 shown]
	v_mov_b32_e32 v1, 0x7f800000
	s_mov_b32 s3, 0
	s_waitcnt vmcnt(3)
	v_cvt_f32_f16_e32 v18, v10
	s_waitcnt vmcnt(2)
	v_cvt_f32_f16_e32 v24, v14
	v_cvt_f32_f16_sdwa v25, v14 dst_sel:DWORD dst_unused:UNUSED_PAD src0_sel:WORD_1
	v_cvt_f32_f16_e32 v26, v15
	v_cvt_f32_f16_sdwa v27, v15 dst_sel:DWORD dst_unused:UNUSED_PAD src0_sel:WORD_1
	v_mul_f32_e32 v21, 0xbfb8aa3b, v24
	v_mul_f32_e32 v23, 0xbfb8aa3b, v25
	v_fma_mix_f32 v31, v14, s7, -v21 op_sel_hi:[1,0,0]
	v_rndne_f32_e32 v32, v21
	v_mul_f32_e32 v28, 0xbfb8aa3b, v26
	v_fma_mix_f32 v33, v14, s7, -v23 op_sel:[1,0,0] op_sel_hi:[1,0,0]
	v_rndne_f32_e32 v34, v23
	v_fma_mix_f32 v31, v14, s23, v31 op_sel_hi:[1,0,0]
	v_sub_f32_e32 v21, v21, v32
	v_mul_f32_e32 v29, 0xbfb8aa3b, v27
	v_fma_mix_f32 v35, v15, s7, -v28 op_sel_hi:[1,0,0]
	v_rndne_f32_e32 v36, v28
	v_fma_mix_f32 v14, v14, s23, v33 op_sel:[1,0,0] op_sel_hi:[1,0,0]
	v_sub_f32_e32 v23, v23, v34
	v_add_f32_e32 v21, v21, v31
	v_fma_mix_f32 v37, v15, s7, -v29 op_sel:[1,0,0] op_sel_hi:[1,0,0]
	v_rndne_f32_e32 v38, v29
	v_cvt_i32_f32_e32 v32, v32
	v_cvt_i32_f32_e32 v33, v34
	v_fma_mix_f32 v34, v15, s23, v35 op_sel_hi:[1,0,0]
	v_sub_f32_e32 v28, v28, v36
	v_add_f32_e32 v14, v23, v14
	v_exp_f32_e32 v21, v21
	v_fma_mix_f32 v15, v15, s23, v37 op_sel:[1,0,0] op_sel_hi:[1,0,0]
	v_sub_f32_e32 v29, v29, v38
	v_add_f32_e32 v23, v28, v34
	v_exp_f32_e32 v14, v14
	v_cvt_i32_f32_e32 v35, v36
	v_add_f32_e32 v15, v29, v15
	v_exp_f32_e32 v23, v23
	v_cvt_i32_f32_e32 v36, v38
	v_exp_f32_e32 v15, v15
	v_ldexp_f32 v21, v21, v32
	v_cmp_nlt_f32_e32 vcc, s6, v24
	v_ldexp_f32 v14, v14, v33
	v_cvt_f32_f16_e32 v20, v16
	v_cndmask_b32_e32 v21, 0, v21, vcc
	v_cmp_nlt_f32_e32 vcc, s6, v25
	v_ldexp_f32 v23, v23, v35
	v_ldexp_f32 v15, v15, v36
	v_cndmask_b32_e32 v14, 0, v14, vcc
	v_cmp_nlt_f32_e32 vcc, s6, v26
	v_mul_f32_e32 v30, 0xbfb8aa3b, v20
	v_fma_mix_f32 v39, v16, s7, -v30 op_sel_hi:[1,0,0]
	v_cndmask_b32_e32 v23, 0, v23, vcc
	v_cmp_nlt_f32_e32 vcc, s6, v27
	v_rndne_f32_e32 v40, v30
	v_fma_mix_f32 v37, v16, s23, v39 op_sel_hi:[1,0,0]
	v_cndmask_b32_e32 v15, 0, v15, vcc
	v_cmp_ngt_f32_e32 vcc, s22, v24
	v_sub_f32_e32 v30, v30, v40
	v_cvt_i32_f32_e32 v38, v40
	v_cndmask_b32_e32 v21, v1, v21, vcc
	v_cmp_ngt_f32_e32 vcc, s22, v25
	v_add_f32_e32 v21, 1.0, v21
	v_cvt_f32_f16_sdwa v19, v10 dst_sel:DWORD dst_unused:UNUSED_PAD src0_sel:WORD_1
	v_cndmask_b32_e32 v14, v1, v14, vcc
	v_cmp_ngt_f32_e32 vcc, s22, v26
	v_add_f32_e32 v28, 1.0, v14
	v_rcp_f32_e32 v14, v21
	v_cndmask_b32_e32 v23, v1, v23, vcc
	v_cmp_ngt_f32_e32 vcc, s22, v27
	v_add_f32_e32 v23, 1.0, v23
	v_add_f32_e32 v21, v30, v37
	v_cndmask_b32_e32 v15, v1, v15, vcc
	v_add_f32_e32 v29, 1.0, v15
	v_rcp_f32_e32 v15, v28
	v_rcp_f32_e32 v28, v23
	;; [unrolled: 1-line block ×3, first 2 shown]
	v_exp_f32_e32 v23, v21
	v_cvt_f32_f16_sdwa v21, v16 dst_sel:DWORD dst_unused:UNUSED_PAD src0_sel:WORD_1
	v_pk_mul_f32 v[14:15], v[14:15], v[24:25]
	v_cvt_f32_f16_e32 v10, v11
	v_cvt_f32_f16_sdwa v11, v11 dst_sel:DWORD dst_unused:UNUSED_PAD src0_sel:WORD_1
	v_pk_mul_f32 v[24:25], v[28:29], v[26:27]
	;;#ASMSTART
	v_pk_mul_f32 v[14:15], v[14:15], v[18:19]
	;;#ASMEND
	v_cvt_f32_f16_e32 v18, v12
	v_cvt_f32_f16_sdwa v19, v12 dst_sel:DWORD dst_unused:UNUSED_PAD src0_sel:WORD_1
	v_ldexp_f32 v12, v23, v38
	v_mul_f32_e32 v23, 0xbfb8aa3b, v21
	;;#ASMSTART
	v_pk_mul_f32 v[10:11], v[24:25], v[10:11]
	;;#ASMEND
	v_fma_mix_f32 v24, v16, s7, -v23 op_sel:[1,0,0] op_sel_hi:[1,0,0]
	v_cmp_nlt_f32_e32 vcc, s6, v20
	v_fma_mix_f32 v16, v16, s23, v24 op_sel:[1,0,0] op_sel_hi:[1,0,0]
	v_rndne_f32_e32 v24, v23
	v_sub_f32_e32 v23, v23, v24
	v_add_f32_e32 v16, v23, v16
	v_exp_f32_e32 v16, v16
	v_cvt_i32_f32_e32 v23, v24
	v_cndmask_b32_e32 v12, 0, v12, vcc
	v_cmp_ngt_f32_e32 vcc, s22, v20
	v_cvt_f32_f16_e32 v26, v17
	v_cvt_f32_f16_sdwa v27, v17 dst_sel:DWORD dst_unused:UNUSED_PAD src0_sel:WORD_1
	v_cndmask_b32_e32 v12, v1, v12, vcc
	v_add_f32_e32 v12, 1.0, v12
	v_rcp_f32_e32 v24, v12
	v_ldexp_f32 v12, v16, v23
	v_cmp_nlt_f32_e32 vcc, s6, v21
	s_waitcnt vmcnt(0)
	v_cvt_f32_f16_e32 v28, v6
	v_cvt_f32_f16_sdwa v29, v6 dst_sel:DWORD dst_unused:UNUSED_PAD src0_sel:WORD_1
	v_cndmask_b32_e32 v12, 0, v12, vcc
	v_cmp_ngt_f32_e32 vcc, s22, v21
	s_nop 1
	v_cndmask_b32_e32 v12, v1, v12, vcc
	v_add_f32_e32 v12, 1.0, v12
	v_rcp_f32_e32 v25, v12
	v_mul_f32_e32 v12, 0xbfb8aa3b, v26
	v_fma_mix_f32 v16, v17, s7, -v12 op_sel_hi:[1,0,0]
	v_rndne_f32_e32 v23, v12
	v_fma_mix_f32 v16, v17, s23, v16 op_sel_hi:[1,0,0]
	v_sub_f32_e32 v12, v12, v23
	v_add_f32_e32 v12, v12, v16
	v_exp_f32_e32 v16, v12
	v_cvt_i32_f32_e32 v23, v23
	v_pk_mul_f32 v[20:21], v[24:25], v[20:21]
	v_cmp_nlt_f32_e32 vcc, s6, v26
	v_cvt_f32_f16_e32 v12, v13
	v_ldexp_f32 v16, v16, v23
	v_mul_f32_e32 v23, 0xbfb8aa3b, v27
	v_fma_mix_f32 v24, v17, s7, -v23 op_sel:[1,0,0] op_sel_hi:[1,0,0]
	v_cndmask_b32_e32 v16, 0, v16, vcc
	v_fma_mix_f32 v17, v17, s23, v24 op_sel:[1,0,0] op_sel_hi:[1,0,0]
	v_rndne_f32_e32 v24, v23
	v_sub_f32_e32 v23, v23, v24
	v_add_f32_e32 v17, v23, v17
	v_exp_f32_e32 v17, v17
	v_cvt_i32_f32_e32 v23, v24
	v_cmp_ngt_f32_e32 vcc, s22, v26
	v_cvt_f32_f16_sdwa v13, v13 dst_sel:DWORD dst_unused:UNUSED_PAD src0_sel:WORD_1
	s_nop 0
	v_cndmask_b32_e32 v16, v1, v16, vcc
	v_add_f32_e32 v16, 1.0, v16
	v_rcp_f32_e32 v24, v16
	v_ldexp_f32 v16, v17, v23
	v_cmp_nlt_f32_e32 vcc, s6, v27
	s_nop 1
	v_cndmask_b32_e32 v16, 0, v16, vcc
	v_cmp_ngt_f32_e32 vcc, s22, v27
	s_nop 1
	v_cndmask_b32_e32 v16, v1, v16, vcc
	v_add_f32_e32 v16, 1.0, v16
	v_rcp_f32_e32 v25, v16
	;;#ASMSTART
	v_pk_mul_f32 v[16:17], v[20:21], v[18:19]
	;;#ASMEND
	v_cmp_nlt_f32_e32 vcc, s6, v28
	v_pk_mul_f32 v[18:19], v[24:25], v[26:27]
	s_nop 0
	;;#ASMSTART
	v_pk_mul_f32 v[12:13], v[18:19], v[12:13]
	;;#ASMEND
	v_mul_f32_e32 v18, 0xbfb8aa3b, v28
	v_fma_mix_f32 v19, v6, s7, -v18 op_sel_hi:[1,0,0]
	v_rndne_f32_e32 v20, v18
	v_fma_mix_f32 v19, v6, s23, v19 op_sel_hi:[1,0,0]
	v_sub_f32_e32 v18, v18, v20
	v_add_f32_e32 v18, v18, v19
	v_exp_f32_e32 v21, v18
	v_cvt_i32_f32_e32 v20, v20
	v_cvt_f32_f16_e32 v18, v2
	v_cvt_f32_f16_sdwa v19, v2 dst_sel:DWORD dst_unused:UNUSED_PAD src0_sel:WORD_1
	v_cvt_f32_f16_e32 v24, v7
	v_ldexp_f32 v2, v21, v20
	v_mul_f32_e32 v20, 0xbfb8aa3b, v29
	v_fma_mix_f32 v21, v6, s7, -v20 op_sel:[1,0,0] op_sel_hi:[1,0,0]
	v_cndmask_b32_e32 v2, 0, v2, vcc
	v_fma_mix_f32 v6, v6, s23, v21 op_sel:[1,0,0] op_sel_hi:[1,0,0]
	v_rndne_f32_e32 v21, v20
	v_sub_f32_e32 v20, v20, v21
	v_add_f32_e32 v6, v20, v6
	v_exp_f32_e32 v6, v6
	v_cvt_i32_f32_e32 v21, v21
	v_cmp_ngt_f32_e32 vcc, s22, v28
	v_cvt_f32_f16_sdwa v25, v7 dst_sel:DWORD dst_unused:UNUSED_PAD src0_sel:WORD_1
	s_nop 0
	v_cndmask_b32_e32 v2, v1, v2, vcc
	v_add_f32_e32 v2, 1.0, v2
	v_rcp_f32_e32 v20, v2
	v_ldexp_f32 v2, v6, v21
	v_cmp_nlt_f32_e32 vcc, s6, v29
	s_nop 1
	v_cndmask_b32_e32 v2, 0, v2, vcc
	v_cmp_ngt_f32_e32 vcc, s22, v29
	s_nop 1
	v_cndmask_b32_e32 v2, v1, v2, vcc
	v_add_f32_e32 v2, 1.0, v2
	v_rcp_f32_e32 v21, v2
	v_mul_f32_e32 v2, 0xbfb8aa3b, v24
	v_fma_mix_f32 v6, v7, s7, -v2 op_sel_hi:[1,0,0]
	v_rndne_f32_e32 v23, v2
	v_fma_mix_f32 v6, v7, s23, v6 op_sel_hi:[1,0,0]
	v_sub_f32_e32 v2, v2, v23
	v_add_f32_e32 v2, v2, v6
	v_exp_f32_e32 v6, v2
	v_cvt_i32_f32_e32 v23, v23
	v_cmp_nlt_f32_e32 vcc, s6, v24
	v_pk_mul_f32 v[20:21], v[20:21], v[28:29]
	v_cvt_f32_f16_e32 v28, v8
	v_ldexp_f32 v6, v6, v23
	v_mul_f32_e32 v23, 0xbfb8aa3b, v25
	v_fma_mix_f32 v26, v7, s7, -v23 op_sel:[1,0,0] op_sel_hi:[1,0,0]
	v_cndmask_b32_e32 v6, 0, v6, vcc
	v_fma_mix_f32 v7, v7, s23, v26 op_sel:[1,0,0] op_sel_hi:[1,0,0]
	v_rndne_f32_e32 v26, v23
	v_sub_f32_e32 v23, v23, v26
	v_add_f32_e32 v7, v23, v7
	v_exp_f32_e32 v7, v7
	v_cvt_i32_f32_e32 v23, v26
	v_cmp_ngt_f32_e32 vcc, s22, v24
	v_cvt_f32_f16_e32 v2, v3
	v_cvt_f32_f16_sdwa v3, v3 dst_sel:DWORD dst_unused:UNUSED_PAD src0_sel:WORD_1
	v_cndmask_b32_e32 v6, v1, v6, vcc
	v_add_f32_e32 v6, 1.0, v6
	v_rcp_f32_e32 v26, v6
	v_ldexp_f32 v6, v7, v23
	v_cmp_nlt_f32_e32 vcc, s6, v25
	v_cvt_f32_f16_sdwa v29, v8 dst_sel:DWORD dst_unused:UNUSED_PAD src0_sel:WORD_1
	s_nop 0
	v_cndmask_b32_e32 v6, 0, v6, vcc
	v_cmp_ngt_f32_e32 vcc, s22, v25
	s_nop 1
	v_cndmask_b32_e32 v6, v1, v6, vcc
	v_add_f32_e32 v6, 1.0, v6
	v_rcp_f32_e32 v27, v6
	;;#ASMSTART
	v_pk_mul_f32 v[6:7], v[20:21], v[18:19]
	;;#ASMEND
	v_cmp_nlt_f32_e32 vcc, s6, v28
	v_pk_mul_f32 v[18:19], v[26:27], v[24:25]
	s_nop 0
	;;#ASMSTART
	v_pk_mul_f32 v[2:3], v[18:19], v[2:3]
	;;#ASMEND
	v_mul_f32_e32 v18, 0xbfb8aa3b, v28
	v_fma_mix_f32 v19, v8, s7, -v18 op_sel_hi:[1,0,0]
	v_rndne_f32_e32 v20, v18
	v_fma_mix_f32 v19, v8, s23, v19 op_sel_hi:[1,0,0]
	v_sub_f32_e32 v18, v18, v20
	v_add_f32_e32 v18, v18, v19
	v_exp_f32_e32 v21, v18
	v_cvt_i32_f32_e32 v20, v20
	v_cvt_f32_f16_e32 v18, v4
	v_cvt_f32_f16_sdwa v19, v4 dst_sel:DWORD dst_unused:UNUSED_PAD src0_sel:WORD_1
	v_cvt_f32_f16_e32 v24, v9
	v_ldexp_f32 v4, v21, v20
	v_mul_f32_e32 v20, 0xbfb8aa3b, v29
	v_fma_mix_f32 v21, v8, s7, -v20 op_sel:[1,0,0] op_sel_hi:[1,0,0]
	v_cndmask_b32_e32 v4, 0, v4, vcc
	v_fma_mix_f32 v8, v8, s23, v21 op_sel:[1,0,0] op_sel_hi:[1,0,0]
	v_rndne_f32_e32 v21, v20
	v_sub_f32_e32 v20, v20, v21
	v_add_f32_e32 v8, v20, v8
	v_exp_f32_e32 v8, v8
	v_cvt_i32_f32_e32 v21, v21
	v_cmp_ngt_f32_e32 vcc, s22, v28
	v_cvt_f32_f16_sdwa v25, v9 dst_sel:DWORD dst_unused:UNUSED_PAD src0_sel:WORD_1
	s_nop 0
	v_cndmask_b32_e32 v4, v1, v4, vcc
	v_add_f32_e32 v4, 1.0, v4
	v_rcp_f32_e32 v20, v4
	v_ldexp_f32 v4, v8, v21
	v_mul_f32_e32 v8, 0xbfb8aa3b, v24
	v_fma_mix_f32 v21, v9, s7, -v8 op_sel_hi:[1,0,0]
	v_rndne_f32_e32 v23, v8
	v_fma_mix_f32 v21, v9, s23, v21 op_sel_hi:[1,0,0]
	v_sub_f32_e32 v8, v8, v23
	v_add_f32_e32 v8, v8, v21
	v_exp_f32_e32 v8, v8
	v_cvt_i32_f32_e32 v23, v23
	v_cmp_nlt_f32_e32 vcc, s6, v29
	v_ldexp_f32 v8, v8, v23
	v_mul_f32_e32 v23, 0xbfb8aa3b, v25
	v_fma_mix_f32 v26, v9, s7, -v23 op_sel:[1,0,0] op_sel_hi:[1,0,0]
	v_cndmask_b32_e32 v4, 0, v4, vcc
	v_fma_mix_f32 v9, v9, s23, v26 op_sel:[1,0,0] op_sel_hi:[1,0,0]
	v_rndne_f32_e32 v26, v23
	v_sub_f32_e32 v23, v23, v26
	v_cmp_ngt_f32_e32 vcc, s22, v29
	v_add_f32_e32 v9, v23, v9
	v_exp_f32_e32 v9, v9
	v_cndmask_b32_e32 v4, v1, v4, vcc
	v_cmp_nlt_f32_e32 vcc, s6, v24
	v_cvt_i32_f32_e32 v23, v26
	v_add_f32_e32 v4, 1.0, v4
	v_cndmask_b32_e32 v8, 0, v8, vcc
	v_cmp_ngt_f32_e32 vcc, s22, v24
	v_rcp_f32_e32 v21, v4
	v_cvt_f32_f16_e32 v4, v5
	v_cndmask_b32_e32 v8, v1, v8, vcc
	v_add_f32_e32 v8, 1.0, v8
	v_rcp_f32_e32 v26, v8
	v_ldexp_f32 v8, v9, v23
	v_cmp_nlt_f32_e32 vcc, s6, v25
	v_cvt_f32_f16_sdwa v5, v5 dst_sel:DWORD dst_unused:UNUSED_PAD src0_sel:WORD_1
	s_ashr_i32 s6, s17, 31
	v_cndmask_b32_e32 v8, 0, v8, vcc
	v_cmp_ngt_f32_e32 vcc, s22, v25
	s_lshr_b32 s6, s6, 28
	s_add_i32 s6, s17, s6
	v_cndmask_b32_e32 v1, v1, v8, vcc
	v_add_f32_e32 v1, 1.0, v1
	v_rcp_f32_e32 v27, v1
	v_pk_mul_f32 v[8:9], v[20:21], v[28:29]
	v_and_b32_e32 v1, 0x7fffffff, v14
	;;#ASMSTART
	v_pk_mul_f32 v[8:9], v[8:9], v[18:19]
	;;#ASMEND
	v_pk_mul_f32 v[18:19], v[26:27], v[24:25]
	s_ashr_i32 s8, s6, 4
	;;#ASMSTART
	v_pk_mul_f32 v[4:5], v[18:19], v[4:5]
	;;#ASMEND
	v_and_b32_e32 v18, 0x7fffffff, v15
	v_mov_b32_e32 v19, 0x2edbe6ff
	;;#ASMSTART
	v_max3_f32 v1, v19, v1, v18

	;;#ASMEND
	v_and_b32_e32 v18, 0x7fffffff, v10
	v_and_b32_e32 v19, 0x7fffffff, v11
	;;#ASMSTART
	v_max3_f32 v1, v1, v18, v19

	;;#ASMEND
	v_and_b32_e32 v18, 0x7fffffff, v16
	v_and_b32_e32 v19, 0x7fffffff, v17
	;; [unrolled: 6-line block ×6, first 2 shown]
	;;#ASMSTART
	v_max3_f32 v1, v1, v18, v19

	;;#ASMEND
	s_cmp_lt_i32 s8, 16
	v_and_b32_e32 v18, 0x7fffffff, v4
	v_and_b32_e32 v19, 0x7fffffff, v5
	;;#ASMSTART
	v_max3_f32 v1, v1, v18, v19

	;;#ASMEND
	s_cbranch_scc1 .LBB535_7
; %bb.2:
	s_cmp_lt_i32 s8, 32
	s_cbranch_scc1 .LBB535_8
; %bb.3:
	s_cmp_lt_i32 s8, 64
	s_cbranch_scc1 .LBB535_9
; %bb.4:
	s_cmp_eq_u32 s8, 64
	v_mov_b32_e32 v18, v1
	s_cbranch_scc0 .LBB535_6
; %bb.5:
	s_nop 0
	v_mov_b32_dpp v18, v1 quad_perm:[1,0,3,2] row_mask:0xf bank_mask:0xf
	v_cmp_gt_f32_e32 vcc, v1, v18
	v_bfrev_b32_e32 v20, 0.5
	s_nop 0
	v_cndmask_b32_e32 v18, v18, v1, vcc
	s_nop 1
	v_mov_b32_dpp v19, v18 quad_perm:[2,3,0,1] row_mask:0xf bank_mask:0xf
	v_cmp_gt_f32_e32 vcc, v18, v19
	s_nop 1
	v_cndmask_b32_e32 v18, v19, v18, vcc
	s_nop 1
	v_mov_b32_dpp v19, v18 row_ror:4 row_mask:0xf bank_mask:0xf
	v_cmp_gt_f32_e32 vcc, v18, v19
	s_nop 1
	v_cndmask_b32_e32 v18, v19, v18, vcc
	s_nop 1
	v_mov_b32_dpp v19, v18 row_ror:8 row_mask:0xf bank_mask:0xf
	v_cmp_gt_f32_e32 vcc, v18, v19
	s_nop 1
	v_cndmask_b32_e32 v18, v19, v18, vcc
	s_nop 1
	v_mov_b32_dpp v19, v18 row_bcast:15 row_mask:0xf bank_mask:0xf
	v_cmp_gt_f32_e32 vcc, v18, v19
	s_nop 1
	v_cndmask_b32_e32 v18, v19, v18, vcc
	s_nop 1
	v_mov_b32_dpp v19, v18 row_bcast:31 row_mask:0xf bank_mask:0xf
	v_cmp_gt_f32_e32 vcc, v18, v19
	s_nop 1
	v_cndmask_b32_e32 v18, v19, v18, vcc
	v_mbcnt_lo_u32_b32 v19, -1, 0
	v_mbcnt_hi_u32_b32 v19, -1, v19
	v_lshl_or_b32 v19, v19, 2, v20
	ds_bpermute_b32 v18, v19, v18
.LBB535_6:
	s_cbranch_execz .LBB535_10
	s_branch .LBB535_12
.LBB535_7:
                                        ; implicit-def: $vgpr18
	s_branch .LBB535_16
.LBB535_8:
                                        ; implicit-def: $vgpr18
	s_branch .LBB535_13
.LBB535_9:
                                        ; implicit-def: $vgpr18
.LBB535_10:
	s_cmp_eq_u32 s8, 32
	s_waitcnt lgkmcnt(0)
	v_mov_b32_e32 v18, v1
	s_cbranch_scc0 .LBB535_12
; %bb.11:
	s_nop 0
	v_mov_b32_dpp v18, v1 quad_perm:[1,0,3,2] row_mask:0xf bank_mask:0xf
	v_cmp_gt_f32_e32 vcc, v1, v18
	v_mov_b32_e32 v20, 0x7c
	s_nop 0
	v_cndmask_b32_e32 v18, v18, v1, vcc
	s_nop 1
	v_mov_b32_dpp v19, v18 quad_perm:[2,3,0,1] row_mask:0xf bank_mask:0xf
	v_cmp_gt_f32_e32 vcc, v18, v19
	s_nop 1
	v_cndmask_b32_e32 v18, v19, v18, vcc
	s_nop 1
	v_mov_b32_dpp v19, v18 row_half_mirror row_mask:0xf bank_mask:0xf
	v_cmp_gt_f32_e32 vcc, v18, v19
	s_nop 1
	v_cndmask_b32_e32 v18, v19, v18, vcc
	s_nop 1
	v_mov_b32_dpp v19, v18 row_mirror row_mask:0xf bank_mask:0xf
	v_cmp_gt_f32_e32 vcc, v18, v19
	s_nop 1
	v_cndmask_b32_e32 v18, v19, v18, vcc
	s_nop 1
	v_mov_b32_dpp v19, v18 row_bcast:15 row_mask:0xa bank_mask:0xf
	v_cmp_gt_f32_e32 vcc, v18, v19
	s_nop 1
	v_cndmask_b32_e32 v18, v19, v18, vcc
	v_mbcnt_lo_u32_b32 v19, -1, 0
	v_mbcnt_hi_u32_b32 v19, -1, v19
	v_lshl_or_b32 v19, v19, 2, v20
	ds_bpermute_b32 v18, v19, v18
.LBB535_12:
	s_cbranch_execnz .LBB535_15
.LBB535_13:
	s_cmp_eq_u32 s8, 16
	s_waitcnt lgkmcnt(0)
	v_mov_b32_e32 v18, v1
	s_cbranch_scc0 .LBB535_15
; %bb.14:
	s_nop 0
	v_mov_b32_dpp v18, v1 quad_perm:[1,0,3,2] row_mask:0xf bank_mask:0xf
	v_cmp_gt_f32_e32 vcc, v1, v18
	s_nop 1
	v_cndmask_b32_e32 v18, v18, v1, vcc
	s_nop 1
	v_mov_b32_dpp v19, v18 quad_perm:[2,3,0,1] row_mask:0xf bank_mask:0xf
	v_cmp_gt_f32_e32 vcc, v18, v19
	s_nop 1
	v_cndmask_b32_e32 v18, v19, v18, vcc
	s_nop 1
	v_mov_b32_dpp v19, v18 row_half_mirror row_mask:0xf bank_mask:0xf
	v_cmp_gt_f32_e32 vcc, v18, v19
	s_nop 1
	v_cndmask_b32_e32 v18, v19, v18, vcc
	s_nop 1
	v_mov_b32_dpp v19, v18 row_mirror row_mask:0xf bank_mask:0xf
	v_cmp_gt_f32_e32 vcc, v18, v19
	s_nop 1
	v_cndmask_b32_e32 v18, v19, v18, vcc
.LBB535_15:
	s_cbranch_execnz .LBB535_29
.LBB535_16:
	s_cmp_lt_i32 s8, 4
	s_cbranch_scc1 .LBB535_20
; %bb.17:
	s_cmp_lt_i32 s8, 8
	s_cbranch_scc1 .LBB535_21
; %bb.18:
	s_cmp_eq_u32 s8, 8
	s_waitcnt lgkmcnt(0)
	v_mov_b32_e32 v18, v1
	s_cbranch_scc0 .LBB535_22
; %bb.19:
	s_nop 0
	v_mov_b32_dpp v18, v1 quad_perm:[1,0,3,2] row_mask:0xf bank_mask:0xf
	v_cmp_gt_f32_e32 vcc, v1, v18
	s_nop 1
	v_cndmask_b32_e32 v18, v18, v1, vcc
	s_nop 1
	v_mov_b32_dpp v19, v18 quad_perm:[2,3,0,1] row_mask:0xf bank_mask:0xf
	v_cmp_gt_f32_e32 vcc, v18, v19
	s_nop 1
	v_cndmask_b32_e32 v18, v19, v18, vcc
	s_nop 1
	v_mov_b32_dpp v19, v18 row_half_mirror row_mask:0xf bank_mask:0xf
	v_cmp_gt_f32_e32 vcc, v18, v19
	s_nop 1
	v_cndmask_b32_e32 v18, v19, v18, vcc
	s_cbranch_execz .LBB535_23
	s_branch .LBB535_25
.LBB535_20:
                                        ; implicit-def: $vgpr18
	s_branch .LBB535_26
.LBB535_21:
                                        ; implicit-def: $vgpr18
	s_branch .LBB535_23
.LBB535_22:
	s_cbranch_execnz .LBB535_25
.LBB535_23:
	s_cmp_eq_u32 s8, 4
	s_waitcnt lgkmcnt(0)
	v_mov_b32_e32 v18, v1
	s_cbranch_scc0 .LBB535_25
; %bb.24:
	s_nop 0
	v_mov_b32_dpp v18, v1 quad_perm:[1,0,3,2] row_mask:0xf bank_mask:0xf
	v_cmp_gt_f32_e32 vcc, v1, v18
	s_nop 1
	v_cndmask_b32_e32 v18, v18, v1, vcc
	s_nop 1
	v_mov_b32_dpp v19, v18 quad_perm:[2,3,0,1] row_mask:0xf bank_mask:0xf
	v_cmp_gt_f32_e32 vcc, v18, v19
	s_nop 1
	v_cndmask_b32_e32 v18, v19, v18, vcc
.LBB535_25:
	s_cbranch_execnz .LBB535_29
.LBB535_26:
	s_cmp_lg_u32 s8, 2
	s_cbranch_scc1 .LBB535_28
; %bb.27:
	s_waitcnt lgkmcnt(0)
	v_mov_b32_dpp v18, v1 quad_perm:[1,0,3,2] row_mask:0xf bank_mask:0xf
	v_cmp_gt_f32_e32 vcc, v1, v18
	s_nop 1
	v_cndmask_b32_e32 v1, v18, v1, vcc
.LBB535_28:
	s_waitcnt lgkmcnt(0)
	v_mov_b32_e32 v18, v1
.LBB535_29:
	s_abs_i32 s6, s8
	v_cvt_f32_u32_e32 v1, s6
	s_sub_i32 s9, 0, s6
	s_waitcnt lgkmcnt(0)
	v_mul_f32_e32 v20, 0x3b888889, v18
	s_ashr_i32 s7, s8, 31
	v_rcp_iflag_f32_e32 v1, v1
	s_nop 0
	v_mul_f32_e32 v1, 0x4f7ffffe, v1
	v_cvt_u32_f32_e32 v1, v1
	v_mul_lo_u32 v18, s9, v1
	v_mul_hi_u32 v18, v1, v18
	v_add_u32_e32 v1, v1, v18
	v_mul_hi_u32 v1, v0, v1
	v_mul_lo_u32 v18, v1, s6
	v_sub_u32_e32 v18, v0, v18
	v_add_u32_e32 v19, 1, v1
	v_cmp_le_u32_e32 vcc, s6, v18
	s_nop 1
	v_cndmask_b32_e32 v1, v1, v19, vcc
	v_subrev_u32_e32 v19, s6, v18
	v_cndmask_b32_e32 v18, v18, v19, vcc
	v_add_u32_e32 v19, 1, v1
	v_cmp_le_u32_e32 vcc, s6, v18
	s_nop 1
	v_cndmask_b32_e32 v1, v1, v19, vcc
	v_xor_b32_e32 v1, s7, v1
	v_subrev_u32_e32 v18, s7, v1
	v_mul_lo_u32 v1, v18, s8
	v_sub_u32_e32 v0, v0, v1
	v_cmp_eq_u32_e32 vcc, 0, v0
	s_and_saveexec_b64 s[6:7], vcc
	s_cbranch_execz .LBB535_35
; %bb.30:
	s_load_dword s8, s[0:1], 0x24
	s_waitcnt lgkmcnt(0)
	s_bitcmp0_b32 s8, 0
	s_cbranch_scc0 .LBB535_32
; %bb.31:
	s_abs_i32 s8, s17
	v_cvt_f32_u32_e32 v0, s8
	s_sub_i32 s11, 0, s8
	s_abs_i32 s10, s18
	s_xor_b32 s9, s18, s17
	v_rcp_iflag_f32_e32 v0, v0
	s_ashr_i32 s9, s9, 31
	v_ashrrev_i32_e32 v19, 31, v18
	v_mov_b32_e32 v1, s2
	v_mul_f32_e32 v0, 0x4f7ffffe, v0
	v_cvt_u32_f32_e32 v0, v0
	s_nop 0
	v_readfirstlane_b32 s12, v0
	s_mul_i32 s11, s11, s12
	s_mul_hi_u32 s11, s12, s11
	s_add_i32 s12, s12, s11
	s_mul_hi_u32 s11, s10, s12
	s_mul_i32 s12, s11, s8
	s_sub_i32 s10, s10, s12
	s_add_i32 s13, s11, 1
	s_sub_i32 s12, s10, s8
	s_cmp_ge_u32 s10, s8
	s_cselect_b32 s11, s13, s11
	s_cselect_b32 s10, s12, s10
	s_add_i32 s12, s11, 1
	s_cmp_ge_u32 s10, s8
	s_cselect_b32 s8, s12, s11
	s_xor_b32 s8, s8, s9
	s_sub_i32 s8, s8, s9
	s_ashr_i32 s9, s8, 31
	s_mul_i32 s10, s9, s2
	v_mad_u64_u32 v[0:1], s[8:9], s8, v1, v[18:19]
	v_add_u32_e32 v1, s10, v1
	s_cbranch_execz .LBB535_33
	s_branch .LBB535_34
.LBB535_32:
                                        ; implicit-def: $vgpr0_vgpr1
.LBB535_33:
	s_load_dword s0, s[0:1], 0x28
	v_mov_b32_e32 v1, 0
	s_waitcnt lgkmcnt(0)
	v_mul_lo_u32 v0, s0, v18
	v_lshl_add_u64 v[0:1], v[0:1], 0, s[2:3]
.LBB535_34:
	v_lshl_add_u64 v[0:1], v[0:1], 2, s[20:21]
	global_store_dword v[0:1], v20, off
.LBB535_35:
	s_or_b64 exec, exec, s[6:7]
	s_add_i32 s0, s16, 3
	s_ashr_i32 s1, s0, 31
	s_lshr_b32 s1, s1, 30
	s_add_i32 s0, s0, s1
	s_and_b32 s6, s0, -4
	s_mul_i32 s0, s19, s2
	s_mul_hi_u32 s1, s18, s2
	s_add_i32 s1, s1, s0
	s_mul_i32 s0, s18, s2
	;;#ASMSTART
	v_rcp_f32 v18, v20
	;;#ASMEND
	s_add_u32 s4, s4, s0
	v_mov_b32_e32 v19, v18
	;;#ASMSTART
	v_pk_mul_f32 v[0:1], v[14:15], v[18:19]
	;;#ASMEND
	v_mov_b32_e32 v14, 0xc3700000
	v_mov_b32_e32 v15, 0x43700000
	;;#ASMSTART
	v_med3_f32 v0, v0, v14, v15
v_med3_f32 v1, v1, v14, v15
v_cvt_pk_fp8_f32 v20, v0, v1
	;;#ASMEND
	s_addc_u32 s0, s5, s1
	;;#ASMSTART
	v_pk_mul_f32 v[0:1], v[10:11], v[18:19]
	;;#ASMEND
	s_and_b32 s5, s0, 0xffff
	;;#ASMSTART
	v_med3_f32 v0, v0, v14, v15
v_med3_f32 v1, v1, v14, v15
v_cvt_pk_fp8_f32 v10, v0, v1
	;;#ASMEND
	s_mov_b32 s0, 0x5040100
	v_perm_b32 v0, v10, v20, s0
	s_mov_b32 s0, 0x1060504
	v_perm_b32 v0, v0, v10, s0
	;;#ASMSTART
	v_pk_mul_f32 v[10:11], v[16:17], v[18:19]
	;;#ASMEND
	s_mov_b32 s0, 0x1000504
	v_mov_b32_e32 v1, v11
	;;#ASMSTART
	v_med3_f32 v10, v10, v14, v15
v_med3_f32 v1, v1, v14, v15
v_cvt_pk_fp8_f32 v16, v10, v1
	;;#ASMEND
	s_mov_b32 s7, 0x20000
	;;#ASMSTART
	v_pk_mul_f32 v[10:11], v[12:13], v[18:19]
	;;#ASMEND
	s_nop 0
	v_mov_b32_e32 v1, v11
	;;#ASMSTART
	v_med3_f32 v10, v10, v14, v15
v_med3_f32 v1, v1, v14, v15
v_cvt_pk_fp8_f32 v11, v10, v1
	;;#ASMEND
	;;#ASMSTART
	v_pk_mul_f32 v[6:7], v[6:7], v[18:19]
	;;#ASMEND
	s_nop 0
	;;#ASMSTART
	v_med3_f32 v6, v6, v14, v15
v_med3_f32 v7, v7, v14, v15
v_cvt_pk_fp8_f32 v10, v6, v7
	;;#ASMEND
	;;#ASMSTART
	v_pk_mul_f32 v[2:3], v[2:3], v[18:19]
	;;#ASMEND
	v_perm_b32 v1, v16, v11, s0
	;;#ASMSTART
	v_med3_f32 v2, v2, v14, v15
v_med3_f32 v3, v3, v14, v15
v_cvt_pk_fp8_f32 v6, v2, v3
	;;#ASMEND
	s_nop 0
	v_perm_b32 v2, v10, v6, s0
	;;#ASMSTART
	v_pk_mul_f32 v[6:7], v[8:9], v[18:19]
	;;#ASMEND
	s_nop 0
	v_mov_b32_e32 v3, v7
	;;#ASMSTART
	v_med3_f32 v6, v6, v14, v15
v_med3_f32 v3, v3, v14, v15
v_cvt_pk_fp8_f32 v7, v6, v3
	;;#ASMEND
	;;#ASMSTART
	v_pk_mul_f32 v[4:5], v[4:5], v[18:19]
	;;#ASMEND
	s_nop 0
	v_mov_b32_e32 v3, v5
	;;#ASMSTART
	v_med3_f32 v4, v4, v14, v15
v_med3_f32 v3, v3, v14, v15
v_cvt_pk_fp8_f32 v5, v4, v3
	;;#ASMEND
	s_nop 0
	v_perm_b32 v3, v7, v5, s0
	buffer_store_dwordx4 v[0:3], v22, s[4:7], 0 offen
	;;#ASMSTART
	s_nop 0
	;;#ASMEND
.LBB535_36:
	s_endpgm
	.section	.rodata,"a",@progbits
	.p2align	6, 0x0
	.amdhsa_kernel _ZN5aiter24act_and_mul_quant_kernelIDF16_DB8_TnPFfRKT_EXadL_ZNS_11silu_kernelIDF16_EEfS4_EELi256ELi16ELb0EEEvPT0_PS3_Pfiifb
		.amdhsa_group_segment_fixed_size 0
		.amdhsa_private_segment_fixed_size 0
		.amdhsa_kernarg_size 296
		.amdhsa_user_sgpr_count 2
		.amdhsa_user_sgpr_dispatch_ptr 0
		.amdhsa_user_sgpr_queue_ptr 0
		.amdhsa_user_sgpr_kernarg_segment_ptr 1
		.amdhsa_user_sgpr_dispatch_id 0
		.amdhsa_user_sgpr_kernarg_preload_length 0
		.amdhsa_user_sgpr_kernarg_preload_offset 0
		.amdhsa_user_sgpr_private_segment_size 0
		.amdhsa_uses_dynamic_stack 0
		.amdhsa_enable_private_segment 0
		.amdhsa_system_sgpr_workgroup_id_x 1
		.amdhsa_system_sgpr_workgroup_id_y 0
		.amdhsa_system_sgpr_workgroup_id_z 0
		.amdhsa_system_sgpr_workgroup_info 0
		.amdhsa_system_vgpr_workitem_id 0
		.amdhsa_next_free_vgpr 41
		.amdhsa_next_free_sgpr 24
		.amdhsa_accum_offset 44
		.amdhsa_reserve_vcc 1
		.amdhsa_float_round_mode_32 0
		.amdhsa_float_round_mode_16_64 0
		.amdhsa_float_denorm_mode_32 3
		.amdhsa_float_denorm_mode_16_64 3
		.amdhsa_dx10_clamp 1
		.amdhsa_ieee_mode 1
		.amdhsa_fp16_overflow 0
		.amdhsa_tg_split 0
		.amdhsa_exception_fp_ieee_invalid_op 0
		.amdhsa_exception_fp_denorm_src 0
		.amdhsa_exception_fp_ieee_div_zero 0
		.amdhsa_exception_fp_ieee_overflow 0
		.amdhsa_exception_fp_ieee_underflow 0
		.amdhsa_exception_fp_ieee_inexact 0
		.amdhsa_exception_int_div_zero 0
	.end_amdhsa_kernel
	.section	.text._ZN5aiter24act_and_mul_quant_kernelIDF16_DB8_TnPFfRKT_EXadL_ZNS_11silu_kernelIDF16_EEfS4_EELi256ELi16ELb0EEEvPT0_PS3_Pfiifb,"axG",@progbits,_ZN5aiter24act_and_mul_quant_kernelIDF16_DB8_TnPFfRKT_EXadL_ZNS_11silu_kernelIDF16_EEfS4_EELi256ELi16ELb0EEEvPT0_PS3_Pfiifb,comdat
.Lfunc_end535:
	.size	_ZN5aiter24act_and_mul_quant_kernelIDF16_DB8_TnPFfRKT_EXadL_ZNS_11silu_kernelIDF16_EEfS4_EELi256ELi16ELb0EEEvPT0_PS3_Pfiifb, .Lfunc_end535-_ZN5aiter24act_and_mul_quant_kernelIDF16_DB8_TnPFfRKT_EXadL_ZNS_11silu_kernelIDF16_EEfS4_EELi256ELi16ELb0EEEvPT0_PS3_Pfiifb
                                        ; -- End function
	.section	.AMDGPU.csdata,"",@progbits
; Kernel info:
; codeLenInByte = 3640
; NumSgprs: 30
; NumVgprs: 41
; NumAgprs: 0
; TotalNumVgprs: 41
; ScratchSize: 0
; MemoryBound: 0
; FloatMode: 240
; IeeeMode: 1
; LDSByteSize: 0 bytes/workgroup (compile time only)
; SGPRBlocks: 3
; VGPRBlocks: 5
; NumSGPRsForWavesPerEU: 30
; NumVGPRsForWavesPerEU: 41
; AccumOffset: 44
; Occupancy: 8
; WaveLimiterHint : 0
; COMPUTE_PGM_RSRC2:SCRATCH_EN: 0
; COMPUTE_PGM_RSRC2:USER_SGPR: 2
; COMPUTE_PGM_RSRC2:TRAP_HANDLER: 0
; COMPUTE_PGM_RSRC2:TGID_X_EN: 1
; COMPUTE_PGM_RSRC2:TGID_Y_EN: 0
; COMPUTE_PGM_RSRC2:TGID_Z_EN: 0
; COMPUTE_PGM_RSRC2:TIDIG_COMP_CNT: 0
; COMPUTE_PGM_RSRC3_GFX90A:ACCUM_OFFSET: 10
; COMPUTE_PGM_RSRC3_GFX90A:TG_SPLIT: 0
	.section	.text._ZN5aiter24act_and_mul_quant_kernelItDB8_TnPFfRKT_EXadL_ZNS_11silu_kernelItEEfS4_EELi256ELi16ELb0EEEvPT0_PS3_Pfiifb,"axG",@progbits,_ZN5aiter24act_and_mul_quant_kernelItDB8_TnPFfRKT_EXadL_ZNS_11silu_kernelItEEfS4_EELi256ELi16ELb0EEEvPT0_PS3_Pfiifb,comdat
	.protected	_ZN5aiter24act_and_mul_quant_kernelItDB8_TnPFfRKT_EXadL_ZNS_11silu_kernelItEEfS4_EELi256ELi16ELb0EEEvPT0_PS3_Pfiifb ; -- Begin function _ZN5aiter24act_and_mul_quant_kernelItDB8_TnPFfRKT_EXadL_ZNS_11silu_kernelItEEfS4_EELi256ELi16ELb0EEEvPT0_PS3_Pfiifb
	.globl	_ZN5aiter24act_and_mul_quant_kernelItDB8_TnPFfRKT_EXadL_ZNS_11silu_kernelItEEfS4_EELi256ELi16ELb0EEEvPT0_PS3_Pfiifb
	.p2align	8
	.type	_ZN5aiter24act_and_mul_quant_kernelItDB8_TnPFfRKT_EXadL_ZNS_11silu_kernelItEEfS4_EELi256ELi16ELb0EEEvPT0_PS3_Pfiifb,@function
_ZN5aiter24act_and_mul_quant_kernelItDB8_TnPFfRKT_EXadL_ZNS_11silu_kernelItEEfS4_EELi256ELi16ELb0EEEvPT0_PS3_Pfiifb: ; @_ZN5aiter24act_and_mul_quant_kernelItDB8_TnPFfRKT_EXadL_ZNS_11silu_kernelItEEfS4_EELi256ELi16ELb0EEEvPT0_PS3_Pfiifb
; %bb.0:
	s_load_dwordx2 s[16:17], s[0:1], 0x18
	v_lshlrev_b32_e32 v22, 4, v0
	s_waitcnt lgkmcnt(0)
	v_cmp_gt_i32_e32 vcc, s16, v22
	s_and_saveexec_b64 s[4:5], vcc
	s_cbranch_execz .LBB536_36
; %bb.1:
	s_load_dwordx4 s[4:7], s[0:1], 0x0
	s_load_dwordx2 s[20:21], s[0:1], 0x10
	s_ashr_i32 s19, s16, 31
	s_mul_hi_u32 s3, s2, s16
	s_mul_i32 s8, s2, s19
	s_add_i32 s9, s3, s8
	s_mul_i32 s8, s2, s16
	s_lshl_b64 s[8:9], s[8:9], 2
	s_mov_b32 s18, s16
	s_waitcnt lgkmcnt(0)
	s_add_u32 s8, s6, s8
	s_addc_u32 s3, s7, s9
	s_lshl_b64 s[6:7], s[18:19], 1
	s_add_u32 s12, s8, s6
	s_addc_u32 s6, s3, s7
	s_lshl_b32 s7, s16, 1
	s_add_i32 s7, s7, 2
	s_and_b32 s14, s7, -4
	s_mov_b32 s15, 0x20000
	s_and_b32 s13, s6, 0xffff
	v_lshlrev_b32_e32 v18, 5, v0
	s_and_b32 s9, s3, 0xffff
	s_mov_b32 s10, s14
	s_mov_b32 s11, s15
	buffer_load_dwordx4 v[10:13], v18, s[12:15], 0 offen sc0 nt
	buffer_load_dwordx4 v[14:17], v18, s[8:11], 0 offen sc0 nt
	;; [unrolled: 1-line block ×4, first 2 shown]
	s_mov_b32 s22, 0xbfb8aa3b
	s_mov_b32 s6, 0x42ce8ed0
	;; [unrolled: 1-line block ×3, first 2 shown]
	v_mov_b32_e32 v1, 0x7f800000
	s_mov_b32 s3, 0
	s_waitcnt vmcnt(3)
	v_and_b32_e32 v19, 0xffff0000, v10
	v_lshlrev_b32_e32 v18, 16, v10
	s_waitcnt vmcnt(2)
	v_lshlrev_b32_e32 v10, 16, v14
	v_and_b32_e32 v25, 0xffff0000, v11
	v_lshlrev_b32_e32 v24, 16, v11
	v_and_b32_e32 v11, 0xffff0000, v14
	v_mul_f32_e32 v14, 0xbfb8aa3b, v10
	v_and_b32_e32 v27, 0xffff0000, v15
	v_lshlrev_b32_e32 v26, 16, v15
	v_mul_f32_e32 v15, 0xbfb8aa3b, v11
	v_fma_f32 v29, v10, s22, -v14
	v_rndne_f32_e32 v30, v14
	v_mul_f32_e32 v21, 0xbfb8aa3b, v26
	v_fma_f32 v31, v11, s22, -v15
	v_rndne_f32_e32 v32, v15
	v_fmac_f32_e32 v29, 0xb2a5705f, v10
	v_sub_f32_e32 v14, v14, v30
	v_mul_f32_e32 v23, 0xbfb8aa3b, v27
	v_fma_f32 v33, v26, s22, -v21
	v_rndne_f32_e32 v34, v21
	v_fmac_f32_e32 v31, 0xb2a5705f, v11
	v_sub_f32_e32 v15, v15, v32
	v_add_f32_e32 v14, v14, v29
	v_fma_f32 v35, v27, s22, -v23
	v_rndne_f32_e32 v36, v23
	v_cvt_i32_f32_e32 v30, v30
	v_fmac_f32_e32 v33, 0xb2a5705f, v26
	v_sub_f32_e32 v21, v21, v34
	v_add_f32_e32 v15, v15, v31
	v_exp_f32_e32 v14, v14
	v_cvt_i32_f32_e32 v32, v32
	v_fmac_f32_e32 v35, 0xb2a5705f, v27
	v_sub_f32_e32 v23, v23, v36
	v_add_f32_e32 v21, v21, v33
	v_exp_f32_e32 v15, v15
	v_cvt_i32_f32_e32 v34, v34
	v_add_f32_e32 v23, v23, v35
	v_exp_f32_e32 v21, v21
	v_cvt_i32_f32_e32 v36, v36
	v_exp_f32_e32 v23, v23
	v_ldexp_f32 v14, v14, v30
	v_cmp_nlt_f32_e32 vcc, s6, v10
	v_ldexp_f32 v15, v15, v32
	v_ldexp_f32 v21, v21, v34
	v_cndmask_b32_e32 v14, 0, v14, vcc
	v_cmp_nlt_f32_e32 vcc, s6, v11
	v_ldexp_f32 v23, v23, v36
	v_lshlrev_b32_e32 v20, 16, v16
	v_cndmask_b32_e32 v15, 0, v15, vcc
	v_cmp_nlt_f32_e32 vcc, s6, v26
	v_mul_f32_e32 v28, 0xbfb8aa3b, v20
	v_fma_f32 v37, v20, s22, -v28
	v_cndmask_b32_e32 v21, 0, v21, vcc
	v_cmp_nlt_f32_e32 vcc, s6, v27
	v_rndne_f32_e32 v38, v28
	v_fmac_f32_e32 v37, 0xb2a5705f, v20
	v_cndmask_b32_e32 v23, 0, v23, vcc
	v_cmp_ngt_f32_e32 vcc, s7, v10
	v_sub_f32_e32 v39, v28, v38
	s_nop 0
	v_cndmask_b32_e32 v14, v1, v14, vcc
	v_cmp_ngt_f32_e32 vcc, s7, v11
	v_add_f32_e32 v14, 1.0, v14
	v_rcp_f32_e32 v14, v14
	v_cndmask_b32_e32 v15, v1, v15, vcc
	v_add_f32_e32 v15, 1.0, v15
	v_cmp_ngt_f32_e32 vcc, s7, v26
	v_rcp_f32_e32 v15, v15
	s_nop 0
	v_cndmask_b32_e32 v21, v1, v21, vcc
	v_cmp_ngt_f32_e32 vcc, s7, v27
	v_add_f32_e32 v21, 1.0, v21
	v_rcp_f32_e32 v28, v21
	v_cndmask_b32_e32 v23, v1, v23, vcc
	v_add_f32_e32 v23, 1.0, v23
	v_add_f32_e32 v21, v39, v37
	v_rcp_f32_e32 v29, v23
	v_exp_f32_e32 v23, v21
	v_pk_mul_f32 v[10:11], v[14:15], v[10:11]
	v_and_b32_e32 v21, 0xffff0000, v16
	;;#ASMSTART
	v_pk_mul_f32 v[14:15], v[10:11], v[18:19]
	;;#ASMEND
	v_cvt_i32_f32_e32 v18, v38
	v_pk_mul_f32 v[26:27], v[28:29], v[26:27]
	v_cmp_nlt_f32_e32 vcc, s6, v20
	;;#ASMSTART
	v_pk_mul_f32 v[10:11], v[26:27], v[24:25]
	;;#ASMEND
	v_ldexp_f32 v16, v23, v18
	v_mul_f32_e32 v18, 0xbfb8aa3b, v21
	v_fma_f32 v23, v21, s22, -v18
	v_rndne_f32_e32 v24, v18
	v_fmac_f32_e32 v23, 0xb2a5705f, v21
	v_sub_f32_e32 v18, v18, v24
	v_add_f32_e32 v18, v18, v23
	v_exp_f32_e32 v18, v18
	v_cvt_i32_f32_e32 v23, v24
	v_cndmask_b32_e32 v16, 0, v16, vcc
	v_cmp_ngt_f32_e32 vcc, s7, v20
	v_lshlrev_b32_e32 v26, 16, v17
	v_and_b32_e32 v27, 0xffff0000, v17
	v_cndmask_b32_e32 v16, v1, v16, vcc
	v_add_f32_e32 v16, 1.0, v16
	v_rcp_f32_e32 v24, v16
	v_ldexp_f32 v16, v18, v23
	v_cmp_nlt_f32_e32 vcc, s6, v21
	v_and_b32_e32 v19, 0xffff0000, v12
	s_nop 0
	v_cndmask_b32_e32 v16, 0, v16, vcc
	v_cmp_ngt_f32_e32 vcc, s7, v21
	s_nop 1
	v_cndmask_b32_e32 v16, v1, v16, vcc
	v_add_f32_e32 v16, 1.0, v16
	v_rcp_f32_e32 v25, v16
	v_mul_f32_e32 v16, 0xbfb8aa3b, v26
	v_fma_f32 v18, v26, s22, -v16
	v_rndne_f32_e32 v23, v16
	v_fmac_f32_e32 v18, 0xb2a5705f, v26
	v_sub_f32_e32 v16, v16, v23
	v_add_f32_e32 v16, v16, v18
	v_exp_f32_e32 v16, v16
	v_cvt_i32_f32_e32 v23, v23
	v_lshlrev_b32_e32 v18, 16, v12
	v_cmp_nlt_f32_e32 vcc, s6, v26
	v_pk_mul_f32 v[20:21], v[24:25], v[20:21]
	v_ldexp_f32 v12, v16, v23
	v_mul_f32_e32 v16, 0xbfb8aa3b, v27
	v_fma_f32 v17, v27, s22, -v16
	v_rndne_f32_e32 v23, v16
	v_fmac_f32_e32 v17, 0xb2a5705f, v27
	v_sub_f32_e32 v16, v16, v23
	v_add_f32_e32 v16, v16, v17
	v_exp_f32_e32 v16, v16
	v_cvt_i32_f32_e32 v17, v23
	v_cndmask_b32_e32 v12, 0, v12, vcc
	v_cmp_ngt_f32_e32 vcc, s7, v26
	s_nop 1
	v_cndmask_b32_e32 v12, v1, v12, vcc
	v_add_f32_e32 v12, 1.0, v12
	v_rcp_f32_e32 v24, v12
	v_ldexp_f32 v12, v16, v17
	v_cmp_nlt_f32_e32 vcc, s6, v27
	;;#ASMSTART
	v_pk_mul_f32 v[16:17], v[20:21], v[18:19]
	;;#ASMEND
	s_waitcnt vmcnt(0)
	v_lshlrev_b32_e32 v20, 16, v6
	v_mul_f32_e32 v21, 0xbfb8aa3b, v20
	v_cndmask_b32_e32 v12, 0, v12, vcc
	v_cmp_ngt_f32_e32 vcc, s7, v27
	v_and_b32_e32 v19, 0xffff0000, v13
	v_lshlrev_b32_e32 v18, 16, v13
	v_cndmask_b32_e32 v12, v1, v12, vcc
	v_add_f32_e32 v12, 1.0, v12
	v_rcp_f32_e32 v25, v12
	v_fma_f32 v23, v20, s22, -v21
	v_fmac_f32_e32 v23, 0xb2a5705f, v20
	v_cmp_nlt_f32_e32 vcc, s6, v20
	v_pk_mul_f32 v[12:13], v[24:25], v[26:27]
	v_rndne_f32_e32 v24, v21
	v_sub_f32_e32 v21, v21, v24
	v_add_f32_e32 v21, v21, v23
	v_exp_f32_e32 v23, v21
	v_cvt_i32_f32_e32 v24, v24
	v_and_b32_e32 v21, 0xffff0000, v6
	;;#ASMSTART
	v_pk_mul_f32 v[12:13], v[12:13], v[18:19]
	;;#ASMEND
	v_mul_f32_e32 v18, 0xbfb8aa3b, v21
	v_ldexp_f32 v6, v23, v24
	v_fma_f32 v23, v21, s22, -v18
	v_rndne_f32_e32 v24, v18
	v_fmac_f32_e32 v23, 0xb2a5705f, v21
	v_sub_f32_e32 v18, v18, v24
	v_add_f32_e32 v18, v18, v23
	v_exp_f32_e32 v18, v18
	v_cvt_i32_f32_e32 v23, v24
	v_cndmask_b32_e32 v6, 0, v6, vcc
	v_cmp_ngt_f32_e32 vcc, s7, v20
	v_lshlrev_b32_e32 v26, 16, v7
	v_and_b32_e32 v27, 0xffff0000, v7
	v_cndmask_b32_e32 v6, v1, v6, vcc
	v_add_f32_e32 v6, 1.0, v6
	v_rcp_f32_e32 v24, v6
	v_ldexp_f32 v6, v18, v23
	v_cmp_nlt_f32_e32 vcc, s6, v21
	v_and_b32_e32 v19, 0xffff0000, v2
	s_nop 0
	v_cndmask_b32_e32 v6, 0, v6, vcc
	v_cmp_ngt_f32_e32 vcc, s7, v21
	s_nop 1
	v_cndmask_b32_e32 v6, v1, v6, vcc
	v_add_f32_e32 v6, 1.0, v6
	v_rcp_f32_e32 v25, v6
	v_mul_f32_e32 v6, 0xbfb8aa3b, v26
	v_fma_f32 v18, v26, s22, -v6
	v_rndne_f32_e32 v23, v6
	v_fmac_f32_e32 v18, 0xb2a5705f, v26
	v_sub_f32_e32 v6, v6, v23
	v_add_f32_e32 v6, v6, v18
	v_exp_f32_e32 v6, v6
	v_cvt_i32_f32_e32 v23, v23
	v_lshlrev_b32_e32 v18, 16, v2
	v_cmp_nlt_f32_e32 vcc, s6, v26
	v_pk_mul_f32 v[20:21], v[24:25], v[20:21]
	v_ldexp_f32 v2, v6, v23
	v_mul_f32_e32 v6, 0xbfb8aa3b, v27
	v_fma_f32 v7, v27, s22, -v6
	v_rndne_f32_e32 v23, v6
	v_fmac_f32_e32 v7, 0xb2a5705f, v27
	v_sub_f32_e32 v6, v6, v23
	v_add_f32_e32 v6, v6, v7
	v_exp_f32_e32 v6, v6
	v_cvt_i32_f32_e32 v7, v23
	v_cndmask_b32_e32 v2, 0, v2, vcc
	v_cmp_ngt_f32_e32 vcc, s7, v26
	s_nop 1
	v_cndmask_b32_e32 v2, v1, v2, vcc
	v_add_f32_e32 v2, 1.0, v2
	v_rcp_f32_e32 v24, v2
	v_ldexp_f32 v2, v6, v7
	v_cmp_nlt_f32_e32 vcc, s6, v27
	;;#ASMSTART
	v_pk_mul_f32 v[6:7], v[20:21], v[18:19]
	;;#ASMEND
	v_lshlrev_b32_e32 v20, 16, v8
	v_mul_f32_e32 v21, 0xbfb8aa3b, v20
	v_cndmask_b32_e32 v2, 0, v2, vcc
	v_cmp_ngt_f32_e32 vcc, s7, v27
	v_and_b32_e32 v19, 0xffff0000, v3
	v_lshlrev_b32_e32 v18, 16, v3
	v_cndmask_b32_e32 v2, v1, v2, vcc
	v_add_f32_e32 v2, 1.0, v2
	v_rcp_f32_e32 v25, v2
	v_fma_f32 v23, v20, s22, -v21
	v_fmac_f32_e32 v23, 0xb2a5705f, v20
	v_cmp_nlt_f32_e32 vcc, s6, v20
	v_pk_mul_f32 v[2:3], v[24:25], v[26:27]
	v_rndne_f32_e32 v24, v21
	v_sub_f32_e32 v21, v21, v24
	v_add_f32_e32 v21, v21, v23
	v_exp_f32_e32 v23, v21
	v_cvt_i32_f32_e32 v24, v24
	v_and_b32_e32 v21, 0xffff0000, v8
	;;#ASMSTART
	v_pk_mul_f32 v[2:3], v[2:3], v[18:19]
	;;#ASMEND
	v_mul_f32_e32 v18, 0xbfb8aa3b, v21
	v_ldexp_f32 v8, v23, v24
	v_fma_f32 v23, v21, s22, -v18
	v_rndne_f32_e32 v24, v18
	v_fmac_f32_e32 v23, 0xb2a5705f, v21
	v_sub_f32_e32 v18, v18, v24
	v_add_f32_e32 v18, v18, v23
	v_exp_f32_e32 v18, v18
	v_cvt_i32_f32_e32 v23, v24
	v_cndmask_b32_e32 v8, 0, v8, vcc
	v_cmp_ngt_f32_e32 vcc, s7, v20
	v_lshlrev_b32_e32 v26, 16, v9
	v_and_b32_e32 v27, 0xffff0000, v9
	v_cndmask_b32_e32 v8, v1, v8, vcc
	v_add_f32_e32 v8, 1.0, v8
	v_rcp_f32_e32 v24, v8
	v_ldexp_f32 v8, v18, v23
	v_cmp_nlt_f32_e32 vcc, s6, v21
	v_and_b32_e32 v19, 0xffff0000, v4
	s_nop 0
	v_cndmask_b32_e32 v8, 0, v8, vcc
	v_cmp_ngt_f32_e32 vcc, s7, v21
	s_nop 1
	v_cndmask_b32_e32 v8, v1, v8, vcc
	v_add_f32_e32 v8, 1.0, v8
	v_rcp_f32_e32 v25, v8
	v_mul_f32_e32 v8, 0xbfb8aa3b, v26
	v_fma_f32 v18, v26, s22, -v8
	v_rndne_f32_e32 v23, v8
	v_fmac_f32_e32 v18, 0xb2a5705f, v26
	v_sub_f32_e32 v8, v8, v23
	v_add_f32_e32 v8, v8, v18
	v_exp_f32_e32 v8, v8
	v_cvt_i32_f32_e32 v23, v23
	v_lshlrev_b32_e32 v18, 16, v4
	v_cmp_nlt_f32_e32 vcc, s6, v26
	v_pk_mul_f32 v[20:21], v[24:25], v[20:21]
	v_ldexp_f32 v4, v8, v23
	v_mul_f32_e32 v8, 0xbfb8aa3b, v27
	v_fma_f32 v9, v27, s22, -v8
	v_rndne_f32_e32 v23, v8
	v_fmac_f32_e32 v9, 0xb2a5705f, v27
	v_sub_f32_e32 v8, v8, v23
	v_add_f32_e32 v8, v8, v9
	v_exp_f32_e32 v8, v8
	v_cvt_i32_f32_e32 v9, v23
	v_cndmask_b32_e32 v4, 0, v4, vcc
	v_cmp_ngt_f32_e32 vcc, s7, v26
	s_nop 1
	v_cndmask_b32_e32 v4, v1, v4, vcc
	v_add_f32_e32 v4, 1.0, v4
	v_rcp_f32_e32 v24, v4
	v_ldexp_f32 v4, v8, v9
	v_cmp_nlt_f32_e32 vcc, s6, v27
	;;#ASMSTART
	v_pk_mul_f32 v[8:9], v[20:21], v[18:19]
	;;#ASMEND
	v_and_b32_e32 v19, 0xffff0000, v5
	v_lshlrev_b32_e32 v18, 16, v5
	v_cndmask_b32_e32 v4, 0, v4, vcc
	v_cmp_ngt_f32_e32 vcc, s7, v27
	s_ashr_i32 s6, s17, 31
	s_lshr_b32 s6, s6, 28
	v_cndmask_b32_e32 v1, v1, v4, vcc
	v_add_f32_e32 v1, 1.0, v1
	v_rcp_f32_e32 v25, v1
	v_and_b32_e32 v1, 0x7fffffff, v14
	s_add_i32 s6, s17, s6
	s_ashr_i32 s8, s6, 4
	v_pk_mul_f32 v[4:5], v[24:25], v[26:27]
	s_cmp_lt_i32 s8, 16
	;;#ASMSTART
	v_pk_mul_f32 v[4:5], v[4:5], v[18:19]
	;;#ASMEND
	v_and_b32_e32 v18, 0x7fffffff, v15
	v_mov_b32_e32 v19, 0x2edbe6ff
	;;#ASMSTART
	v_max3_f32 v1, v19, v1, v18

	;;#ASMEND
	v_and_b32_e32 v18, 0x7fffffff, v10
	v_and_b32_e32 v19, 0x7fffffff, v11
	;;#ASMSTART
	v_max3_f32 v1, v1, v18, v19

	;;#ASMEND
	v_and_b32_e32 v18, 0x7fffffff, v16
	v_and_b32_e32 v19, 0x7fffffff, v17
	;;#ASMSTART
	v_max3_f32 v1, v1, v18, v19

	;;#ASMEND
	v_and_b32_e32 v18, 0x7fffffff, v12
	v_and_b32_e32 v19, 0x7fffffff, v13
	;;#ASMSTART
	v_max3_f32 v1, v1, v18, v19

	;;#ASMEND
	v_and_b32_e32 v18, 0x7fffffff, v6
	v_and_b32_e32 v19, 0x7fffffff, v7
	;;#ASMSTART
	v_max3_f32 v1, v1, v18, v19

	;;#ASMEND
	v_and_b32_e32 v18, 0x7fffffff, v2
	v_and_b32_e32 v19, 0x7fffffff, v3
	;;#ASMSTART
	v_max3_f32 v1, v1, v18, v19

	;;#ASMEND
	v_and_b32_e32 v18, 0x7fffffff, v8
	v_and_b32_e32 v19, 0x7fffffff, v9
	;;#ASMSTART
	v_max3_f32 v1, v1, v18, v19

	;;#ASMEND
	v_and_b32_e32 v18, 0x7fffffff, v4
	v_and_b32_e32 v19, 0x7fffffff, v5
	;;#ASMSTART
	v_max3_f32 v1, v1, v18, v19

	;;#ASMEND
	s_cbranch_scc1 .LBB536_7
; %bb.2:
	s_cmp_lt_i32 s8, 32
	s_cbranch_scc1 .LBB536_8
; %bb.3:
	s_cmp_lt_i32 s8, 64
	s_cbranch_scc1 .LBB536_9
; %bb.4:
	s_cmp_eq_u32 s8, 64
	v_mov_b32_e32 v18, v1
	s_cbranch_scc0 .LBB536_6
; %bb.5:
	s_nop 0
	v_mov_b32_dpp v18, v1 quad_perm:[1,0,3,2] row_mask:0xf bank_mask:0xf
	v_cmp_gt_f32_e32 vcc, v1, v18
	v_bfrev_b32_e32 v20, 0.5
	s_nop 0
	v_cndmask_b32_e32 v18, v18, v1, vcc
	s_nop 1
	v_mov_b32_dpp v19, v18 quad_perm:[2,3,0,1] row_mask:0xf bank_mask:0xf
	v_cmp_gt_f32_e32 vcc, v18, v19
	s_nop 1
	v_cndmask_b32_e32 v18, v19, v18, vcc
	s_nop 1
	v_mov_b32_dpp v19, v18 row_ror:4 row_mask:0xf bank_mask:0xf
	v_cmp_gt_f32_e32 vcc, v18, v19
	s_nop 1
	v_cndmask_b32_e32 v18, v19, v18, vcc
	s_nop 1
	v_mov_b32_dpp v19, v18 row_ror:8 row_mask:0xf bank_mask:0xf
	v_cmp_gt_f32_e32 vcc, v18, v19
	s_nop 1
	v_cndmask_b32_e32 v18, v19, v18, vcc
	s_nop 1
	v_mov_b32_dpp v19, v18 row_bcast:15 row_mask:0xf bank_mask:0xf
	v_cmp_gt_f32_e32 vcc, v18, v19
	s_nop 1
	v_cndmask_b32_e32 v18, v19, v18, vcc
	s_nop 1
	v_mov_b32_dpp v19, v18 row_bcast:31 row_mask:0xf bank_mask:0xf
	v_cmp_gt_f32_e32 vcc, v18, v19
	s_nop 1
	v_cndmask_b32_e32 v18, v19, v18, vcc
	v_mbcnt_lo_u32_b32 v19, -1, 0
	v_mbcnt_hi_u32_b32 v19, -1, v19
	v_lshl_or_b32 v19, v19, 2, v20
	ds_bpermute_b32 v18, v19, v18
.LBB536_6:
	s_cbranch_execz .LBB536_10
	s_branch .LBB536_12
.LBB536_7:
                                        ; implicit-def: $vgpr18
	s_branch .LBB536_16
.LBB536_8:
                                        ; implicit-def: $vgpr18
	s_branch .LBB536_13
.LBB536_9:
                                        ; implicit-def: $vgpr18
.LBB536_10:
	s_cmp_eq_u32 s8, 32
	s_waitcnt lgkmcnt(0)
	v_mov_b32_e32 v18, v1
	s_cbranch_scc0 .LBB536_12
; %bb.11:
	s_nop 0
	v_mov_b32_dpp v18, v1 quad_perm:[1,0,3,2] row_mask:0xf bank_mask:0xf
	v_cmp_gt_f32_e32 vcc, v1, v18
	v_mov_b32_e32 v20, 0x7c
	s_nop 0
	v_cndmask_b32_e32 v18, v18, v1, vcc
	s_nop 1
	v_mov_b32_dpp v19, v18 quad_perm:[2,3,0,1] row_mask:0xf bank_mask:0xf
	v_cmp_gt_f32_e32 vcc, v18, v19
	s_nop 1
	v_cndmask_b32_e32 v18, v19, v18, vcc
	s_nop 1
	v_mov_b32_dpp v19, v18 row_half_mirror row_mask:0xf bank_mask:0xf
	v_cmp_gt_f32_e32 vcc, v18, v19
	s_nop 1
	v_cndmask_b32_e32 v18, v19, v18, vcc
	s_nop 1
	v_mov_b32_dpp v19, v18 row_mirror row_mask:0xf bank_mask:0xf
	v_cmp_gt_f32_e32 vcc, v18, v19
	s_nop 1
	v_cndmask_b32_e32 v18, v19, v18, vcc
	s_nop 1
	v_mov_b32_dpp v19, v18 row_bcast:15 row_mask:0xa bank_mask:0xf
	v_cmp_gt_f32_e32 vcc, v18, v19
	s_nop 1
	v_cndmask_b32_e32 v18, v19, v18, vcc
	v_mbcnt_lo_u32_b32 v19, -1, 0
	v_mbcnt_hi_u32_b32 v19, -1, v19
	v_lshl_or_b32 v19, v19, 2, v20
	ds_bpermute_b32 v18, v19, v18
.LBB536_12:
	s_cbranch_execnz .LBB536_15
.LBB536_13:
	s_cmp_eq_u32 s8, 16
	s_waitcnt lgkmcnt(0)
	v_mov_b32_e32 v18, v1
	s_cbranch_scc0 .LBB536_15
; %bb.14:
	s_nop 0
	v_mov_b32_dpp v18, v1 quad_perm:[1,0,3,2] row_mask:0xf bank_mask:0xf
	v_cmp_gt_f32_e32 vcc, v1, v18
	s_nop 1
	v_cndmask_b32_e32 v18, v18, v1, vcc
	s_nop 1
	v_mov_b32_dpp v19, v18 quad_perm:[2,3,0,1] row_mask:0xf bank_mask:0xf
	v_cmp_gt_f32_e32 vcc, v18, v19
	s_nop 1
	v_cndmask_b32_e32 v18, v19, v18, vcc
	s_nop 1
	v_mov_b32_dpp v19, v18 row_half_mirror row_mask:0xf bank_mask:0xf
	v_cmp_gt_f32_e32 vcc, v18, v19
	s_nop 1
	v_cndmask_b32_e32 v18, v19, v18, vcc
	s_nop 1
	v_mov_b32_dpp v19, v18 row_mirror row_mask:0xf bank_mask:0xf
	v_cmp_gt_f32_e32 vcc, v18, v19
	s_nop 1
	v_cndmask_b32_e32 v18, v19, v18, vcc
.LBB536_15:
	s_cbranch_execnz .LBB536_29
.LBB536_16:
	s_cmp_lt_i32 s8, 4
	s_cbranch_scc1 .LBB536_20
; %bb.17:
	s_cmp_lt_i32 s8, 8
	s_cbranch_scc1 .LBB536_21
; %bb.18:
	s_cmp_eq_u32 s8, 8
	s_waitcnt lgkmcnt(0)
	v_mov_b32_e32 v18, v1
	s_cbranch_scc0 .LBB536_22
; %bb.19:
	s_nop 0
	v_mov_b32_dpp v18, v1 quad_perm:[1,0,3,2] row_mask:0xf bank_mask:0xf
	v_cmp_gt_f32_e32 vcc, v1, v18
	s_nop 1
	v_cndmask_b32_e32 v18, v18, v1, vcc
	s_nop 1
	v_mov_b32_dpp v19, v18 quad_perm:[2,3,0,1] row_mask:0xf bank_mask:0xf
	v_cmp_gt_f32_e32 vcc, v18, v19
	s_nop 1
	v_cndmask_b32_e32 v18, v19, v18, vcc
	s_nop 1
	v_mov_b32_dpp v19, v18 row_half_mirror row_mask:0xf bank_mask:0xf
	v_cmp_gt_f32_e32 vcc, v18, v19
	s_nop 1
	v_cndmask_b32_e32 v18, v19, v18, vcc
	s_cbranch_execz .LBB536_23
	s_branch .LBB536_25
.LBB536_20:
                                        ; implicit-def: $vgpr18
	s_branch .LBB536_26
.LBB536_21:
                                        ; implicit-def: $vgpr18
	s_branch .LBB536_23
.LBB536_22:
	s_cbranch_execnz .LBB536_25
.LBB536_23:
	s_cmp_eq_u32 s8, 4
	s_waitcnt lgkmcnt(0)
	v_mov_b32_e32 v18, v1
	s_cbranch_scc0 .LBB536_25
; %bb.24:
	s_nop 0
	v_mov_b32_dpp v18, v1 quad_perm:[1,0,3,2] row_mask:0xf bank_mask:0xf
	v_cmp_gt_f32_e32 vcc, v1, v18
	s_nop 1
	v_cndmask_b32_e32 v18, v18, v1, vcc
	s_nop 1
	v_mov_b32_dpp v19, v18 quad_perm:[2,3,0,1] row_mask:0xf bank_mask:0xf
	v_cmp_gt_f32_e32 vcc, v18, v19
	s_nop 1
	v_cndmask_b32_e32 v18, v19, v18, vcc
.LBB536_25:
	s_cbranch_execnz .LBB536_29
.LBB536_26:
	s_cmp_lg_u32 s8, 2
	s_cbranch_scc1 .LBB536_28
; %bb.27:
	s_waitcnt lgkmcnt(0)
	v_mov_b32_dpp v18, v1 quad_perm:[1,0,3,2] row_mask:0xf bank_mask:0xf
	v_cmp_gt_f32_e32 vcc, v1, v18
	s_nop 1
	v_cndmask_b32_e32 v1, v18, v1, vcc
.LBB536_28:
	s_waitcnt lgkmcnt(0)
	v_mov_b32_e32 v18, v1
.LBB536_29:
	s_abs_i32 s6, s8
	v_cvt_f32_u32_e32 v1, s6
	s_sub_i32 s9, 0, s6
	s_waitcnt lgkmcnt(0)
	v_mul_f32_e32 v20, 0x3b888889, v18
	s_ashr_i32 s7, s8, 31
	v_rcp_iflag_f32_e32 v1, v1
	s_nop 0
	v_mul_f32_e32 v1, 0x4f7ffffe, v1
	v_cvt_u32_f32_e32 v1, v1
	v_mul_lo_u32 v18, s9, v1
	v_mul_hi_u32 v18, v1, v18
	v_add_u32_e32 v1, v1, v18
	v_mul_hi_u32 v1, v0, v1
	v_mul_lo_u32 v18, v1, s6
	v_sub_u32_e32 v18, v0, v18
	v_add_u32_e32 v19, 1, v1
	v_cmp_le_u32_e32 vcc, s6, v18
	s_nop 1
	v_cndmask_b32_e32 v1, v1, v19, vcc
	v_subrev_u32_e32 v19, s6, v18
	v_cndmask_b32_e32 v18, v18, v19, vcc
	v_add_u32_e32 v19, 1, v1
	v_cmp_le_u32_e32 vcc, s6, v18
	s_nop 1
	v_cndmask_b32_e32 v1, v1, v19, vcc
	v_xor_b32_e32 v1, s7, v1
	v_subrev_u32_e32 v18, s7, v1
	v_mul_lo_u32 v1, v18, s8
	v_sub_u32_e32 v0, v0, v1
	v_cmp_eq_u32_e32 vcc, 0, v0
	s_and_saveexec_b64 s[6:7], vcc
	s_cbranch_execz .LBB536_35
; %bb.30:
	s_load_dword s8, s[0:1], 0x24
	s_waitcnt lgkmcnt(0)
	s_bitcmp0_b32 s8, 0
	s_cbranch_scc0 .LBB536_32
; %bb.31:
	s_abs_i32 s8, s17
	v_cvt_f32_u32_e32 v0, s8
	s_sub_i32 s11, 0, s8
	s_abs_i32 s10, s18
	s_xor_b32 s9, s18, s17
	v_rcp_iflag_f32_e32 v0, v0
	s_ashr_i32 s9, s9, 31
	v_ashrrev_i32_e32 v19, 31, v18
	v_mov_b32_e32 v1, s2
	v_mul_f32_e32 v0, 0x4f7ffffe, v0
	v_cvt_u32_f32_e32 v0, v0
	s_nop 0
	v_readfirstlane_b32 s12, v0
	s_mul_i32 s11, s11, s12
	s_mul_hi_u32 s11, s12, s11
	s_add_i32 s12, s12, s11
	s_mul_hi_u32 s11, s10, s12
	s_mul_i32 s12, s11, s8
	s_sub_i32 s10, s10, s12
	s_add_i32 s13, s11, 1
	s_sub_i32 s12, s10, s8
	s_cmp_ge_u32 s10, s8
	s_cselect_b32 s11, s13, s11
	s_cselect_b32 s10, s12, s10
	s_add_i32 s12, s11, 1
	s_cmp_ge_u32 s10, s8
	s_cselect_b32 s8, s12, s11
	s_xor_b32 s8, s8, s9
	s_sub_i32 s8, s8, s9
	s_ashr_i32 s9, s8, 31
	s_mul_i32 s10, s9, s2
	v_mad_u64_u32 v[0:1], s[8:9], s8, v1, v[18:19]
	v_add_u32_e32 v1, s10, v1
	s_cbranch_execz .LBB536_33
	s_branch .LBB536_34
.LBB536_32:
                                        ; implicit-def: $vgpr0_vgpr1
.LBB536_33:
	s_load_dword s0, s[0:1], 0x28
	v_mov_b32_e32 v1, 0
	s_waitcnt lgkmcnt(0)
	v_mul_lo_u32 v0, s0, v18
	v_lshl_add_u64 v[0:1], v[0:1], 0, s[2:3]
.LBB536_34:
	v_lshl_add_u64 v[0:1], v[0:1], 2, s[20:21]
	global_store_dword v[0:1], v20, off
.LBB536_35:
	s_or_b64 exec, exec, s[6:7]
	s_add_i32 s0, s16, 3
	s_ashr_i32 s1, s0, 31
	s_lshr_b32 s1, s1, 30
	s_add_i32 s0, s0, s1
	s_and_b32 s6, s0, -4
	s_mul_i32 s0, s19, s2
	s_mul_hi_u32 s1, s18, s2
	s_add_i32 s1, s1, s0
	s_mul_i32 s0, s18, s2
	;;#ASMSTART
	v_rcp_f32 v18, v20
	;;#ASMEND
	s_add_u32 s4, s4, s0
	v_mov_b32_e32 v19, v18
	;;#ASMSTART
	v_pk_mul_f32 v[0:1], v[14:15], v[18:19]
	;;#ASMEND
	v_mov_b32_e32 v14, 0xc3700000
	v_mov_b32_e32 v15, 0x43700000
	;;#ASMSTART
	v_med3_f32 v0, v0, v14, v15
v_med3_f32 v1, v1, v14, v15
v_cvt_pk_fp8_f32 v20, v0, v1
	;;#ASMEND
	s_addc_u32 s0, s5, s1
	;;#ASMSTART
	v_pk_mul_f32 v[0:1], v[10:11], v[18:19]
	;;#ASMEND
	s_and_b32 s5, s0, 0xffff
	;;#ASMSTART
	v_med3_f32 v0, v0, v14, v15
v_med3_f32 v1, v1, v14, v15
v_cvt_pk_fp8_f32 v10, v0, v1
	;;#ASMEND
	s_mov_b32 s0, 0x5040100
	v_perm_b32 v0, v10, v20, s0
	s_mov_b32 s0, 0x1060504
	v_perm_b32 v0, v0, v10, s0
	;;#ASMSTART
	v_pk_mul_f32 v[10:11], v[16:17], v[18:19]
	;;#ASMEND
	s_mov_b32 s0, 0x1000504
	v_mov_b32_e32 v1, v11
	;;#ASMSTART
	v_med3_f32 v10, v10, v14, v15
v_med3_f32 v1, v1, v14, v15
v_cvt_pk_fp8_f32 v16, v10, v1
	;;#ASMEND
	s_mov_b32 s7, 0x20000
	;;#ASMSTART
	v_pk_mul_f32 v[10:11], v[12:13], v[18:19]
	;;#ASMEND
	s_nop 0
	v_mov_b32_e32 v1, v10
	;;#ASMSTART
	v_med3_f32 v1, v1, v14, v15
v_med3_f32 v11, v11, v14, v15
v_cvt_pk_fp8_f32 v10, v1, v11
	;;#ASMEND
	;;#ASMSTART
	v_pk_mul_f32 v[6:7], v[6:7], v[18:19]
	;;#ASMEND
	s_nop 0
	v_perm_b32 v1, v16, v10, s0
	;;#ASMSTART
	v_med3_f32 v6, v6, v14, v15
v_med3_f32 v7, v7, v14, v15
v_cvt_pk_fp8_f32 v10, v6, v7
	;;#ASMEND
	;;#ASMSTART
	v_pk_mul_f32 v[2:3], v[2:3], v[18:19]
	;;#ASMEND
	s_nop 0
	;;#ASMSTART
	v_med3_f32 v2, v2, v14, v15
v_med3_f32 v3, v3, v14, v15
v_cvt_pk_fp8_f32 v6, v2, v3
	;;#ASMEND
	s_nop 0
	v_perm_b32 v2, v10, v6, s0
	;;#ASMSTART
	v_pk_mul_f32 v[6:7], v[8:9], v[18:19]
	;;#ASMEND
	s_nop 0
	v_mov_b32_e32 v3, v7
	;;#ASMSTART
	v_med3_f32 v6, v6, v14, v15
v_med3_f32 v3, v3, v14, v15
v_cvt_pk_fp8_f32 v7, v6, v3
	;;#ASMEND
	;;#ASMSTART
	v_pk_mul_f32 v[4:5], v[4:5], v[18:19]
	;;#ASMEND
	s_nop 0
	v_mov_b32_e32 v3, v4
	;;#ASMSTART
	v_med3_f32 v3, v3, v14, v15
v_med3_f32 v5, v5, v14, v15
v_cvt_pk_fp8_f32 v4, v3, v5
	;;#ASMEND
	s_nop 0
	v_perm_b32 v3, v7, v4, s0
	buffer_store_dwordx4 v[0:3], v22, s[4:7], 0 offen
	;;#ASMSTART
	s_nop 0
	;;#ASMEND
.LBB536_36:
	s_endpgm
	.section	.rodata,"a",@progbits
	.p2align	6, 0x0
	.amdhsa_kernel _ZN5aiter24act_and_mul_quant_kernelItDB8_TnPFfRKT_EXadL_ZNS_11silu_kernelItEEfS4_EELi256ELi16ELb0EEEvPT0_PS3_Pfiifb
		.amdhsa_group_segment_fixed_size 0
		.amdhsa_private_segment_fixed_size 0
		.amdhsa_kernarg_size 296
		.amdhsa_user_sgpr_count 2
		.amdhsa_user_sgpr_dispatch_ptr 0
		.amdhsa_user_sgpr_queue_ptr 0
		.amdhsa_user_sgpr_kernarg_segment_ptr 1
		.amdhsa_user_sgpr_dispatch_id 0
		.amdhsa_user_sgpr_kernarg_preload_length 0
		.amdhsa_user_sgpr_kernarg_preload_offset 0
		.amdhsa_user_sgpr_private_segment_size 0
		.amdhsa_uses_dynamic_stack 0
		.amdhsa_enable_private_segment 0
		.amdhsa_system_sgpr_workgroup_id_x 1
		.amdhsa_system_sgpr_workgroup_id_y 0
		.amdhsa_system_sgpr_workgroup_id_z 0
		.amdhsa_system_sgpr_workgroup_info 0
		.amdhsa_system_vgpr_workitem_id 0
		.amdhsa_next_free_vgpr 40
		.amdhsa_next_free_sgpr 23
		.amdhsa_accum_offset 40
		.amdhsa_reserve_vcc 1
		.amdhsa_float_round_mode_32 0
		.amdhsa_float_round_mode_16_64 0
		.amdhsa_float_denorm_mode_32 3
		.amdhsa_float_denorm_mode_16_64 3
		.amdhsa_dx10_clamp 1
		.amdhsa_ieee_mode 1
		.amdhsa_fp16_overflow 0
		.amdhsa_tg_split 0
		.amdhsa_exception_fp_ieee_invalid_op 0
		.amdhsa_exception_fp_denorm_src 0
		.amdhsa_exception_fp_ieee_div_zero 0
		.amdhsa_exception_fp_ieee_overflow 0
		.amdhsa_exception_fp_ieee_underflow 0
		.amdhsa_exception_fp_ieee_inexact 0
		.amdhsa_exception_int_div_zero 0
	.end_amdhsa_kernel
	.section	.text._ZN5aiter24act_and_mul_quant_kernelItDB8_TnPFfRKT_EXadL_ZNS_11silu_kernelItEEfS4_EELi256ELi16ELb0EEEvPT0_PS3_Pfiifb,"axG",@progbits,_ZN5aiter24act_and_mul_quant_kernelItDB8_TnPFfRKT_EXadL_ZNS_11silu_kernelItEEfS4_EELi256ELi16ELb0EEEvPT0_PS3_Pfiifb,comdat
.Lfunc_end536:
	.size	_ZN5aiter24act_and_mul_quant_kernelItDB8_TnPFfRKT_EXadL_ZNS_11silu_kernelItEEfS4_EELi256ELi16ELb0EEEvPT0_PS3_Pfiifb, .Lfunc_end536-_ZN5aiter24act_and_mul_quant_kernelItDB8_TnPFfRKT_EXadL_ZNS_11silu_kernelItEEfS4_EELi256ELi16ELb0EEEvPT0_PS3_Pfiifb
                                        ; -- End function
	.section	.AMDGPU.csdata,"",@progbits
; Kernel info:
; codeLenInByte = 3632
; NumSgprs: 29
; NumVgprs: 40
; NumAgprs: 0
; TotalNumVgprs: 40
; ScratchSize: 0
; MemoryBound: 0
; FloatMode: 240
; IeeeMode: 1
; LDSByteSize: 0 bytes/workgroup (compile time only)
; SGPRBlocks: 3
; VGPRBlocks: 4
; NumSGPRsForWavesPerEU: 29
; NumVGPRsForWavesPerEU: 40
; AccumOffset: 40
; Occupancy: 8
; WaveLimiterHint : 0
; COMPUTE_PGM_RSRC2:SCRATCH_EN: 0
; COMPUTE_PGM_RSRC2:USER_SGPR: 2
; COMPUTE_PGM_RSRC2:TRAP_HANDLER: 0
; COMPUTE_PGM_RSRC2:TGID_X_EN: 1
; COMPUTE_PGM_RSRC2:TGID_Y_EN: 0
; COMPUTE_PGM_RSRC2:TGID_Z_EN: 0
; COMPUTE_PGM_RSRC2:TIDIG_COMP_CNT: 0
; COMPUTE_PGM_RSRC3_GFX90A:ACCUM_OFFSET: 9
; COMPUTE_PGM_RSRC3_GFX90A:TG_SPLIT: 0
	.section	.text._ZN5aiter24act_and_mul_quant_kernelIDF16_DB8_TnPFfRKT_EXadL_ZNS_11silu_kernelIDF16_EEfS4_EELi256ELi24ELb0EEEvPT0_PS3_Pfiifb,"axG",@progbits,_ZN5aiter24act_and_mul_quant_kernelIDF16_DB8_TnPFfRKT_EXadL_ZNS_11silu_kernelIDF16_EEfS4_EELi256ELi24ELb0EEEvPT0_PS3_Pfiifb,comdat
	.protected	_ZN5aiter24act_and_mul_quant_kernelIDF16_DB8_TnPFfRKT_EXadL_ZNS_11silu_kernelIDF16_EEfS4_EELi256ELi24ELb0EEEvPT0_PS3_Pfiifb ; -- Begin function _ZN5aiter24act_and_mul_quant_kernelIDF16_DB8_TnPFfRKT_EXadL_ZNS_11silu_kernelIDF16_EEfS4_EELi256ELi24ELb0EEEvPT0_PS3_Pfiifb
	.globl	_ZN5aiter24act_and_mul_quant_kernelIDF16_DB8_TnPFfRKT_EXadL_ZNS_11silu_kernelIDF16_EEfS4_EELi256ELi24ELb0EEEvPT0_PS3_Pfiifb
	.p2align	8
	.type	_ZN5aiter24act_and_mul_quant_kernelIDF16_DB8_TnPFfRKT_EXadL_ZNS_11silu_kernelIDF16_EEfS4_EELi256ELi24ELb0EEEvPT0_PS3_Pfiifb,@function
_ZN5aiter24act_and_mul_quant_kernelIDF16_DB8_TnPFfRKT_EXadL_ZNS_11silu_kernelIDF16_EEfS4_EELi256ELi24ELb0EEEvPT0_PS3_Pfiifb: ; @_ZN5aiter24act_and_mul_quant_kernelIDF16_DB8_TnPFfRKT_EXadL_ZNS_11silu_kernelIDF16_EEfS4_EELi256ELi24ELb0EEEvPT0_PS3_Pfiifb
; %bb.0:
	s_load_dwordx2 s[16:17], s[0:1], 0x18
	v_mul_u32_u24_e32 v30, 24, v0
	s_waitcnt lgkmcnt(0)
	v_cmp_gt_i32_e32 vcc, s16, v30
	s_and_saveexec_b64 s[4:5], vcc
	s_cbranch_execz .LBB537_36
; %bb.1:
	s_load_dwordx4 s[4:7], s[0:1], 0x0
	s_load_dwordx2 s[20:21], s[0:1], 0x10
	s_ashr_i32 s19, s16, 31
	s_mul_hi_u32 s3, s2, s16
	s_mul_i32 s8, s2, s19
	s_add_i32 s9, s3, s8
	s_mul_i32 s8, s2, s16
	s_lshl_b64 s[8:9], s[8:9], 2
	s_mov_b32 s18, s16
	s_waitcnt lgkmcnt(0)
	s_add_u32 s8, s6, s8
	s_addc_u32 s3, s7, s9
	s_lshl_b64 s[6:7], s[18:19], 1
	s_add_u32 s12, s8, s6
	s_addc_u32 s6, s3, s7
	s_lshl_b32 s7, s16, 1
	s_add_i32 s7, s7, 2
	s_and_b32 s14, s7, -4
	s_mov_b32 s15, 0x20000
	s_and_b32 s13, s6, 0xffff
	v_mul_u32_u24_e32 v26, 48, v0
	s_and_b32 s9, s3, 0xffff
	s_mov_b32 s10, s14
	s_mov_b32 s11, s15
	buffer_load_dwordx4 v[18:21], v26, s[12:15], 0 offen sc0 nt
	buffer_load_dwordx4 v[22:25], v26, s[8:11], 0 offen sc0 nt
	;; [unrolled: 1-line block ×6, first 2 shown]
	s_mov_b32 s7, 0xbfb8aa3b
	s_mov_b32 s23, 0xb2a5705f
	;; [unrolled: 1-line block ×4, first 2 shown]
	v_mov_b32_e32 v1, 0x7f800000
	s_mov_b32 s3, 0
	s_waitcnt vmcnt(5)
	v_cvt_f32_f16_e32 v26, v18
	s_waitcnt vmcnt(4)
	v_cvt_f32_f16_e32 v32, v22
	v_cvt_f32_f16_sdwa v33, v22 dst_sel:DWORD dst_unused:UNUSED_PAD src0_sel:WORD_1
	v_cvt_f32_f16_e32 v34, v23
	v_cvt_f32_f16_sdwa v35, v23 dst_sel:DWORD dst_unused:UNUSED_PAD src0_sel:WORD_1
	v_mul_f32_e32 v29, 0xbfb8aa3b, v32
	v_mul_f32_e32 v31, 0xbfb8aa3b, v33
	v_fma_mix_f32 v39, v22, s7, -v29 op_sel_hi:[1,0,0]
	v_rndne_f32_e32 v40, v29
	v_mul_f32_e32 v36, 0xbfb8aa3b, v34
	v_fma_mix_f32 v41, v22, s7, -v31 op_sel:[1,0,0] op_sel_hi:[1,0,0]
	v_rndne_f32_e32 v42, v31
	v_fma_mix_f32 v39, v22, s23, v39 op_sel_hi:[1,0,0]
	v_sub_f32_e32 v29, v29, v40
	v_mul_f32_e32 v37, 0xbfb8aa3b, v35
	v_fma_mix_f32 v43, v23, s7, -v36 op_sel_hi:[1,0,0]
	v_rndne_f32_e32 v44, v36
	v_fma_mix_f32 v22, v22, s23, v41 op_sel:[1,0,0] op_sel_hi:[1,0,0]
	v_sub_f32_e32 v31, v31, v42
	v_add_f32_e32 v29, v29, v39
	v_fma_mix_f32 v45, v23, s7, -v37 op_sel:[1,0,0] op_sel_hi:[1,0,0]
	v_rndne_f32_e32 v46, v37
	v_cvt_i32_f32_e32 v40, v40
	v_cvt_i32_f32_e32 v41, v42
	v_fma_mix_f32 v42, v23, s23, v43 op_sel_hi:[1,0,0]
	v_sub_f32_e32 v36, v36, v44
	v_add_f32_e32 v22, v31, v22
	v_exp_f32_e32 v29, v29
	v_fma_mix_f32 v23, v23, s23, v45 op_sel:[1,0,0] op_sel_hi:[1,0,0]
	v_sub_f32_e32 v37, v37, v46
	v_add_f32_e32 v31, v36, v42
	v_exp_f32_e32 v22, v22
	v_cvt_i32_f32_e32 v43, v44
	v_add_f32_e32 v23, v37, v23
	v_exp_f32_e32 v31, v31
	v_cvt_i32_f32_e32 v44, v46
	v_exp_f32_e32 v23, v23
	v_ldexp_f32 v29, v29, v40
	v_cmp_nlt_f32_e32 vcc, s6, v32
	v_ldexp_f32 v22, v22, v41
	v_ldexp_f32 v31, v31, v43
	v_cndmask_b32_e32 v29, 0, v29, vcc
	v_cmp_nlt_f32_e32 vcc, s6, v33
	v_ldexp_f32 v23, v23, v44
	v_cvt_f32_f16_e32 v28, v24
	v_cndmask_b32_e32 v22, 0, v22, vcc
	v_cmp_nlt_f32_e32 vcc, s6, v34
	v_cvt_f32_f16_sdwa v27, v18 dst_sel:DWORD dst_unused:UNUSED_PAD src0_sel:WORD_1
	v_mul_f32_e32 v38, 0xbfb8aa3b, v28
	v_cndmask_b32_e32 v31, 0, v31, vcc
	v_cmp_nlt_f32_e32 vcc, s6, v35
	v_fma_mix_f32 v47, v24, s7, -v38 op_sel_hi:[1,0,0]
	v_rndne_f32_e32 v48, v38
	v_cndmask_b32_e32 v23, 0, v23, vcc
	v_cmp_ngt_f32_e32 vcc, s22, v32
	v_fma_mix_f32 v45, v24, s23, v47 op_sel_hi:[1,0,0]
	v_cvt_f32_f16_e32 v18, v19
	v_cndmask_b32_e32 v29, v1, v29, vcc
	v_cmp_ngt_f32_e32 vcc, s22, v33
	v_add_f32_e32 v29, 1.0, v29
	v_cvt_f32_f16_sdwa v19, v19 dst_sel:DWORD dst_unused:UNUSED_PAD src0_sel:WORD_1
	v_cndmask_b32_e32 v22, v1, v22, vcc
	v_cmp_ngt_f32_e32 vcc, s22, v34
	v_add_f32_e32 v36, 1.0, v22
	v_rcp_f32_e32 v22, v29
	v_cndmask_b32_e32 v31, v1, v31, vcc
	v_cmp_ngt_f32_e32 vcc, s22, v35
	v_add_f32_e32 v31, 1.0, v31
	v_sub_f32_e32 v29, v38, v48
	v_cndmask_b32_e32 v23, v1, v23, vcc
	v_add_f32_e32 v37, 1.0, v23
	v_rcp_f32_e32 v23, v36
	v_rcp_f32_e32 v36, v31
	;; [unrolled: 1-line block ×3, first 2 shown]
	v_add_f32_e32 v29, v29, v45
	v_pk_mul_f32 v[22:23], v[22:23], v[32:33]
	v_exp_f32_e32 v31, v29
	v_pk_mul_f32 v[32:33], v[36:37], v[34:35]
	;;#ASMSTART
	v_pk_mul_f32 v[22:23], v[22:23], v[26:27]
	;;#ASMEND
	v_cvt_f32_f16_sdwa v29, v24 dst_sel:DWORD dst_unused:UNUSED_PAD src0_sel:WORD_1
	;;#ASMSTART
	v_pk_mul_f32 v[18:19], v[32:33], v[18:19]
	;;#ASMEND
	v_cvt_i32_f32_e32 v32, v48
	v_cvt_f32_f16_e32 v26, v20
	v_cvt_f32_f16_sdwa v27, v20 dst_sel:DWORD dst_unused:UNUSED_PAD src0_sel:WORD_1
	v_cmp_nlt_f32_e32 vcc, s6, v28
	v_ldexp_f32 v20, v31, v32
	v_mul_f32_e32 v31, 0xbfb8aa3b, v29
	v_fma_mix_f32 v32, v24, s7, -v31 op_sel:[1,0,0] op_sel_hi:[1,0,0]
	v_cndmask_b32_e32 v20, 0, v20, vcc
	v_fma_mix_f32 v24, v24, s23, v32 op_sel:[1,0,0] op_sel_hi:[1,0,0]
	v_rndne_f32_e32 v32, v31
	v_sub_f32_e32 v31, v31, v32
	v_add_f32_e32 v24, v31, v24
	v_exp_f32_e32 v24, v24
	v_cvt_i32_f32_e32 v31, v32
	v_cmp_ngt_f32_e32 vcc, s22, v28
	v_cvt_f32_f16_e32 v34, v25
	v_cvt_f32_f16_sdwa v35, v25 dst_sel:DWORD dst_unused:UNUSED_PAD src0_sel:WORD_1
	v_cndmask_b32_e32 v20, v1, v20, vcc
	v_add_f32_e32 v20, 1.0, v20
	v_rcp_f32_e32 v32, v20
	v_ldexp_f32 v20, v24, v31
	v_cmp_nlt_f32_e32 vcc, s6, v29
	s_waitcnt vmcnt(2)
	v_cvt_f32_f16_e32 v36, v14
	v_cvt_f32_f16_sdwa v37, v14 dst_sel:DWORD dst_unused:UNUSED_PAD src0_sel:WORD_1
	v_cndmask_b32_e32 v20, 0, v20, vcc
	v_cmp_ngt_f32_e32 vcc, s22, v29
	s_nop 1
	v_cndmask_b32_e32 v20, v1, v20, vcc
	v_add_f32_e32 v20, 1.0, v20
	v_rcp_f32_e32 v33, v20
	v_mul_f32_e32 v20, 0xbfb8aa3b, v34
	v_fma_mix_f32 v24, v25, s7, -v20 op_sel_hi:[1,0,0]
	v_rndne_f32_e32 v31, v20
	v_fma_mix_f32 v24, v25, s23, v24 op_sel_hi:[1,0,0]
	v_sub_f32_e32 v20, v20, v31
	v_add_f32_e32 v20, v20, v24
	v_exp_f32_e32 v24, v20
	v_cvt_i32_f32_e32 v31, v31
	v_pk_mul_f32 v[28:29], v[32:33], v[28:29]
	v_cmp_nlt_f32_e32 vcc, s6, v34
	v_cvt_f32_f16_e32 v20, v21
	v_ldexp_f32 v24, v24, v31
	v_mul_f32_e32 v31, 0xbfb8aa3b, v35
	v_fma_mix_f32 v32, v25, s7, -v31 op_sel:[1,0,0] op_sel_hi:[1,0,0]
	v_cndmask_b32_e32 v24, 0, v24, vcc
	v_fma_mix_f32 v25, v25, s23, v32 op_sel:[1,0,0] op_sel_hi:[1,0,0]
	v_rndne_f32_e32 v32, v31
	v_sub_f32_e32 v31, v31, v32
	v_add_f32_e32 v25, v31, v25
	v_exp_f32_e32 v25, v25
	v_cvt_i32_f32_e32 v31, v32
	v_cmp_ngt_f32_e32 vcc, s22, v34
	v_cvt_f32_f16_sdwa v21, v21 dst_sel:DWORD dst_unused:UNUSED_PAD src0_sel:WORD_1
	s_nop 0
	v_cndmask_b32_e32 v24, v1, v24, vcc
	v_add_f32_e32 v24, 1.0, v24
	v_rcp_f32_e32 v32, v24
	v_ldexp_f32 v24, v25, v31
	v_cmp_nlt_f32_e32 vcc, s6, v35
	s_nop 1
	v_cndmask_b32_e32 v24, 0, v24, vcc
	v_cmp_ngt_f32_e32 vcc, s22, v35
	s_nop 1
	v_cndmask_b32_e32 v24, v1, v24, vcc
	v_add_f32_e32 v24, 1.0, v24
	v_rcp_f32_e32 v33, v24
	;;#ASMSTART
	v_pk_mul_f32 v[24:25], v[28:29], v[26:27]
	;;#ASMEND
	v_cmp_nlt_f32_e32 vcc, s6, v36
	v_pk_mul_f32 v[26:27], v[32:33], v[34:35]
	s_nop 0
	;;#ASMSTART
	v_pk_mul_f32 v[20:21], v[26:27], v[20:21]
	;;#ASMEND
	v_mul_f32_e32 v26, 0xbfb8aa3b, v36
	v_fma_mix_f32 v27, v14, s7, -v26 op_sel_hi:[1,0,0]
	v_rndne_f32_e32 v28, v26
	v_fma_mix_f32 v27, v14, s23, v27 op_sel_hi:[1,0,0]
	v_sub_f32_e32 v26, v26, v28
	v_add_f32_e32 v26, v26, v27
	v_exp_f32_e32 v29, v26
	v_cvt_i32_f32_e32 v28, v28
	v_cvt_f32_f16_e32 v26, v10
	v_cvt_f32_f16_sdwa v27, v10 dst_sel:DWORD dst_unused:UNUSED_PAD src0_sel:WORD_1
	v_cvt_f32_f16_e32 v32, v15
	v_ldexp_f32 v10, v29, v28
	v_mul_f32_e32 v28, 0xbfb8aa3b, v37
	v_fma_mix_f32 v29, v14, s7, -v28 op_sel:[1,0,0] op_sel_hi:[1,0,0]
	v_cndmask_b32_e32 v10, 0, v10, vcc
	v_fma_mix_f32 v14, v14, s23, v29 op_sel:[1,0,0] op_sel_hi:[1,0,0]
	v_rndne_f32_e32 v29, v28
	v_sub_f32_e32 v28, v28, v29
	v_add_f32_e32 v14, v28, v14
	v_exp_f32_e32 v14, v14
	v_cvt_i32_f32_e32 v29, v29
	v_cmp_ngt_f32_e32 vcc, s22, v36
	v_cvt_f32_f16_sdwa v33, v15 dst_sel:DWORD dst_unused:UNUSED_PAD src0_sel:WORD_1
	s_nop 0
	v_cndmask_b32_e32 v10, v1, v10, vcc
	v_add_f32_e32 v10, 1.0, v10
	v_rcp_f32_e32 v28, v10
	v_ldexp_f32 v10, v14, v29
	v_cmp_nlt_f32_e32 vcc, s6, v37
	s_nop 1
	v_cndmask_b32_e32 v10, 0, v10, vcc
	v_cmp_ngt_f32_e32 vcc, s22, v37
	s_nop 1
	v_cndmask_b32_e32 v10, v1, v10, vcc
	v_add_f32_e32 v10, 1.0, v10
	v_rcp_f32_e32 v29, v10
	v_mul_f32_e32 v10, 0xbfb8aa3b, v32
	v_fma_mix_f32 v14, v15, s7, -v10 op_sel_hi:[1,0,0]
	v_rndne_f32_e32 v31, v10
	v_fma_mix_f32 v14, v15, s23, v14 op_sel_hi:[1,0,0]
	v_sub_f32_e32 v10, v10, v31
	v_add_f32_e32 v10, v10, v14
	v_exp_f32_e32 v14, v10
	v_cvt_i32_f32_e32 v31, v31
	v_cmp_nlt_f32_e32 vcc, s6, v32
	v_pk_mul_f32 v[28:29], v[28:29], v[36:37]
	v_cvt_f32_f16_e32 v36, v16
	v_ldexp_f32 v14, v14, v31
	v_mul_f32_e32 v31, 0xbfb8aa3b, v33
	v_fma_mix_f32 v34, v15, s7, -v31 op_sel:[1,0,0] op_sel_hi:[1,0,0]
	v_cndmask_b32_e32 v14, 0, v14, vcc
	v_fma_mix_f32 v15, v15, s23, v34 op_sel:[1,0,0] op_sel_hi:[1,0,0]
	v_rndne_f32_e32 v34, v31
	v_sub_f32_e32 v31, v31, v34
	v_add_f32_e32 v15, v31, v15
	v_exp_f32_e32 v15, v15
	v_cvt_i32_f32_e32 v31, v34
	v_cmp_ngt_f32_e32 vcc, s22, v32
	v_cvt_f32_f16_e32 v10, v11
	v_cvt_f32_f16_sdwa v11, v11 dst_sel:DWORD dst_unused:UNUSED_PAD src0_sel:WORD_1
	v_cndmask_b32_e32 v14, v1, v14, vcc
	v_add_f32_e32 v14, 1.0, v14
	v_rcp_f32_e32 v34, v14
	v_ldexp_f32 v14, v15, v31
	v_cmp_nlt_f32_e32 vcc, s6, v33
	v_cvt_f32_f16_sdwa v37, v16 dst_sel:DWORD dst_unused:UNUSED_PAD src0_sel:WORD_1
	s_nop 0
	v_cndmask_b32_e32 v14, 0, v14, vcc
	v_cmp_ngt_f32_e32 vcc, s22, v33
	s_nop 1
	v_cndmask_b32_e32 v14, v1, v14, vcc
	v_add_f32_e32 v14, 1.0, v14
	v_rcp_f32_e32 v35, v14
	;;#ASMSTART
	v_pk_mul_f32 v[14:15], v[28:29], v[26:27]
	;;#ASMEND
	v_cmp_nlt_f32_e32 vcc, s6, v36
	v_pk_mul_f32 v[26:27], v[34:35], v[32:33]
	s_nop 0
	;;#ASMSTART
	v_pk_mul_f32 v[10:11], v[26:27], v[10:11]
	;;#ASMEND
	v_mul_f32_e32 v26, 0xbfb8aa3b, v36
	v_fma_mix_f32 v27, v16, s7, -v26 op_sel_hi:[1,0,0]
	v_rndne_f32_e32 v28, v26
	v_fma_mix_f32 v27, v16, s23, v27 op_sel_hi:[1,0,0]
	v_sub_f32_e32 v26, v26, v28
	v_add_f32_e32 v26, v26, v27
	v_exp_f32_e32 v29, v26
	v_cvt_i32_f32_e32 v28, v28
	v_cvt_f32_f16_e32 v26, v12
	v_cvt_f32_f16_sdwa v27, v12 dst_sel:DWORD dst_unused:UNUSED_PAD src0_sel:WORD_1
	v_cvt_f32_f16_e32 v32, v17
	v_ldexp_f32 v12, v29, v28
	v_mul_f32_e32 v28, 0xbfb8aa3b, v37
	v_fma_mix_f32 v29, v16, s7, -v28 op_sel:[1,0,0] op_sel_hi:[1,0,0]
	v_cndmask_b32_e32 v12, 0, v12, vcc
	v_fma_mix_f32 v16, v16, s23, v29 op_sel:[1,0,0] op_sel_hi:[1,0,0]
	v_rndne_f32_e32 v29, v28
	v_sub_f32_e32 v28, v28, v29
	v_add_f32_e32 v16, v28, v16
	v_exp_f32_e32 v16, v16
	v_cvt_i32_f32_e32 v29, v29
	v_cmp_ngt_f32_e32 vcc, s22, v36
	v_cvt_f32_f16_sdwa v33, v17 dst_sel:DWORD dst_unused:UNUSED_PAD src0_sel:WORD_1
	s_nop 0
	v_cndmask_b32_e32 v12, v1, v12, vcc
	v_add_f32_e32 v12, 1.0, v12
	v_rcp_f32_e32 v28, v12
	v_ldexp_f32 v12, v16, v29
	v_cmp_nlt_f32_e32 vcc, s6, v37
	s_nop 1
	v_cndmask_b32_e32 v12, 0, v12, vcc
	v_cmp_ngt_f32_e32 vcc, s22, v37
	s_nop 1
	v_cndmask_b32_e32 v12, v1, v12, vcc
	v_add_f32_e32 v12, 1.0, v12
	v_rcp_f32_e32 v29, v12
	v_mul_f32_e32 v12, 0xbfb8aa3b, v32
	v_fma_mix_f32 v16, v17, s7, -v12 op_sel_hi:[1,0,0]
	v_rndne_f32_e32 v31, v12
	v_fma_mix_f32 v16, v17, s23, v16 op_sel_hi:[1,0,0]
	v_sub_f32_e32 v12, v12, v31
	v_add_f32_e32 v12, v12, v16
	v_exp_f32_e32 v16, v12
	v_cvt_i32_f32_e32 v31, v31
	v_cmp_nlt_f32_e32 vcc, s6, v32
	v_pk_mul_f32 v[28:29], v[28:29], v[36:37]
	s_waitcnt vmcnt(1)
	v_cvt_f32_f16_e32 v36, v6
	v_ldexp_f32 v16, v16, v31
	v_mul_f32_e32 v31, 0xbfb8aa3b, v33
	v_fma_mix_f32 v34, v17, s7, -v31 op_sel:[1,0,0] op_sel_hi:[1,0,0]
	v_cndmask_b32_e32 v16, 0, v16, vcc
	v_fma_mix_f32 v17, v17, s23, v34 op_sel:[1,0,0] op_sel_hi:[1,0,0]
	v_rndne_f32_e32 v34, v31
	v_sub_f32_e32 v31, v31, v34
	v_add_f32_e32 v17, v31, v17
	v_exp_f32_e32 v17, v17
	v_cvt_i32_f32_e32 v31, v34
	v_cmp_ngt_f32_e32 vcc, s22, v32
	v_cvt_f32_f16_e32 v12, v13
	v_cvt_f32_f16_sdwa v13, v13 dst_sel:DWORD dst_unused:UNUSED_PAD src0_sel:WORD_1
	v_cndmask_b32_e32 v16, v1, v16, vcc
	v_add_f32_e32 v16, 1.0, v16
	v_rcp_f32_e32 v34, v16
	v_ldexp_f32 v16, v17, v31
	v_cmp_nlt_f32_e32 vcc, s6, v33
	v_cvt_f32_f16_sdwa v37, v6 dst_sel:DWORD dst_unused:UNUSED_PAD src0_sel:WORD_1
	s_nop 0
	v_cndmask_b32_e32 v16, 0, v16, vcc
	v_cmp_ngt_f32_e32 vcc, s22, v33
	s_nop 1
	v_cndmask_b32_e32 v16, v1, v16, vcc
	v_add_f32_e32 v16, 1.0, v16
	v_rcp_f32_e32 v35, v16
	;;#ASMSTART
	v_pk_mul_f32 v[16:17], v[28:29], v[26:27]
	;;#ASMEND
	v_cmp_nlt_f32_e32 vcc, s6, v36
	v_pk_mul_f32 v[26:27], v[34:35], v[32:33]
	s_nop 0
	;;#ASMSTART
	v_pk_mul_f32 v[12:13], v[26:27], v[12:13]
	;;#ASMEND
	v_mul_f32_e32 v26, 0xbfb8aa3b, v36
	v_fma_mix_f32 v27, v6, s7, -v26 op_sel_hi:[1,0,0]
	v_rndne_f32_e32 v28, v26
	v_fma_mix_f32 v27, v6, s23, v27 op_sel_hi:[1,0,0]
	v_sub_f32_e32 v26, v26, v28
	v_add_f32_e32 v26, v26, v27
	v_exp_f32_e32 v29, v26
	v_cvt_i32_f32_e32 v28, v28
	s_waitcnt vmcnt(0)
	v_cvt_f32_f16_e32 v26, v2
	v_cvt_f32_f16_sdwa v27, v2 dst_sel:DWORD dst_unused:UNUSED_PAD src0_sel:WORD_1
	v_cvt_f32_f16_e32 v32, v7
	v_ldexp_f32 v2, v29, v28
	v_mul_f32_e32 v28, 0xbfb8aa3b, v37
	v_fma_mix_f32 v29, v6, s7, -v28 op_sel:[1,0,0] op_sel_hi:[1,0,0]
	v_cndmask_b32_e32 v2, 0, v2, vcc
	v_fma_mix_f32 v6, v6, s23, v29 op_sel:[1,0,0] op_sel_hi:[1,0,0]
	v_rndne_f32_e32 v29, v28
	v_sub_f32_e32 v28, v28, v29
	v_add_f32_e32 v6, v28, v6
	v_exp_f32_e32 v6, v6
	v_cvt_i32_f32_e32 v29, v29
	v_cmp_ngt_f32_e32 vcc, s22, v36
	v_cvt_f32_f16_sdwa v33, v7 dst_sel:DWORD dst_unused:UNUSED_PAD src0_sel:WORD_1
	s_nop 0
	v_cndmask_b32_e32 v2, v1, v2, vcc
	v_add_f32_e32 v2, 1.0, v2
	v_rcp_f32_e32 v28, v2
	v_ldexp_f32 v2, v6, v29
	v_cmp_nlt_f32_e32 vcc, s6, v37
	s_nop 1
	v_cndmask_b32_e32 v2, 0, v2, vcc
	v_cmp_ngt_f32_e32 vcc, s22, v37
	s_nop 1
	v_cndmask_b32_e32 v2, v1, v2, vcc
	v_add_f32_e32 v2, 1.0, v2
	v_rcp_f32_e32 v29, v2
	v_mul_f32_e32 v2, 0xbfb8aa3b, v32
	v_fma_mix_f32 v6, v7, s7, -v2 op_sel_hi:[1,0,0]
	v_rndne_f32_e32 v31, v2
	v_fma_mix_f32 v6, v7, s23, v6 op_sel_hi:[1,0,0]
	v_sub_f32_e32 v2, v2, v31
	v_add_f32_e32 v2, v2, v6
	v_exp_f32_e32 v6, v2
	v_cvt_i32_f32_e32 v31, v31
	v_cmp_nlt_f32_e32 vcc, s6, v32
	v_pk_mul_f32 v[28:29], v[28:29], v[36:37]
	v_cvt_f32_f16_e32 v36, v8
	v_ldexp_f32 v6, v6, v31
	v_mul_f32_e32 v31, 0xbfb8aa3b, v33
	v_fma_mix_f32 v34, v7, s7, -v31 op_sel:[1,0,0] op_sel_hi:[1,0,0]
	v_cndmask_b32_e32 v6, 0, v6, vcc
	v_fma_mix_f32 v7, v7, s23, v34 op_sel:[1,0,0] op_sel_hi:[1,0,0]
	v_rndne_f32_e32 v34, v31
	v_sub_f32_e32 v31, v31, v34
	v_add_f32_e32 v7, v31, v7
	v_exp_f32_e32 v7, v7
	v_cvt_i32_f32_e32 v31, v34
	v_cmp_ngt_f32_e32 vcc, s22, v32
	v_cvt_f32_f16_e32 v2, v3
	v_cvt_f32_f16_sdwa v3, v3 dst_sel:DWORD dst_unused:UNUSED_PAD src0_sel:WORD_1
	v_cndmask_b32_e32 v6, v1, v6, vcc
	v_add_f32_e32 v6, 1.0, v6
	v_rcp_f32_e32 v34, v6
	v_ldexp_f32 v6, v7, v31
	v_cmp_nlt_f32_e32 vcc, s6, v33
	v_cvt_f32_f16_sdwa v37, v8 dst_sel:DWORD dst_unused:UNUSED_PAD src0_sel:WORD_1
	s_nop 0
	v_cndmask_b32_e32 v6, 0, v6, vcc
	v_cmp_ngt_f32_e32 vcc, s22, v33
	s_nop 1
	v_cndmask_b32_e32 v6, v1, v6, vcc
	v_add_f32_e32 v6, 1.0, v6
	v_rcp_f32_e32 v35, v6
	;;#ASMSTART
	v_pk_mul_f32 v[6:7], v[28:29], v[26:27]
	;;#ASMEND
	v_cmp_nlt_f32_e32 vcc, s6, v36
	v_pk_mul_f32 v[26:27], v[34:35], v[32:33]
	s_nop 0
	;;#ASMSTART
	v_pk_mul_f32 v[2:3], v[26:27], v[2:3]
	;;#ASMEND
	v_mul_f32_e32 v26, 0xbfb8aa3b, v36
	v_fma_mix_f32 v27, v8, s7, -v26 op_sel_hi:[1,0,0]
	v_rndne_f32_e32 v28, v26
	v_fma_mix_f32 v27, v8, s23, v27 op_sel_hi:[1,0,0]
	v_sub_f32_e32 v26, v26, v28
	v_add_f32_e32 v26, v26, v27
	v_exp_f32_e32 v29, v26
	v_cvt_i32_f32_e32 v28, v28
	v_cvt_f32_f16_e32 v26, v4
	v_cvt_f32_f16_sdwa v27, v4 dst_sel:DWORD dst_unused:UNUSED_PAD src0_sel:WORD_1
	v_cvt_f32_f16_e32 v32, v9
	v_ldexp_f32 v4, v29, v28
	v_mul_f32_e32 v28, 0xbfb8aa3b, v37
	v_fma_mix_f32 v29, v8, s7, -v28 op_sel:[1,0,0] op_sel_hi:[1,0,0]
	v_cndmask_b32_e32 v4, 0, v4, vcc
	v_fma_mix_f32 v8, v8, s23, v29 op_sel:[1,0,0] op_sel_hi:[1,0,0]
	v_rndne_f32_e32 v29, v28
	v_sub_f32_e32 v28, v28, v29
	v_add_f32_e32 v8, v28, v8
	v_exp_f32_e32 v8, v8
	v_cvt_i32_f32_e32 v29, v29
	v_cmp_ngt_f32_e32 vcc, s22, v36
	v_cvt_f32_f16_sdwa v33, v9 dst_sel:DWORD dst_unused:UNUSED_PAD src0_sel:WORD_1
	s_nop 0
	v_cndmask_b32_e32 v4, v1, v4, vcc
	v_add_f32_e32 v4, 1.0, v4
	v_rcp_f32_e32 v28, v4
	v_ldexp_f32 v4, v8, v29
	v_mul_f32_e32 v8, 0xbfb8aa3b, v32
	v_fma_mix_f32 v29, v9, s7, -v8 op_sel_hi:[1,0,0]
	v_rndne_f32_e32 v31, v8
	v_fma_mix_f32 v29, v9, s23, v29 op_sel_hi:[1,0,0]
	v_sub_f32_e32 v8, v8, v31
	v_add_f32_e32 v8, v8, v29
	v_exp_f32_e32 v8, v8
	v_cvt_i32_f32_e32 v31, v31
	v_cmp_nlt_f32_e32 vcc, s6, v37
	v_ldexp_f32 v8, v8, v31
	v_mul_f32_e32 v31, 0xbfb8aa3b, v33
	v_fma_mix_f32 v34, v9, s7, -v31 op_sel:[1,0,0] op_sel_hi:[1,0,0]
	v_cndmask_b32_e32 v4, 0, v4, vcc
	v_fma_mix_f32 v9, v9, s23, v34 op_sel:[1,0,0] op_sel_hi:[1,0,0]
	v_rndne_f32_e32 v34, v31
	v_sub_f32_e32 v31, v31, v34
	v_cmp_ngt_f32_e32 vcc, s22, v37
	v_add_f32_e32 v9, v31, v9
	v_exp_f32_e32 v9, v9
	v_cndmask_b32_e32 v4, v1, v4, vcc
	v_cmp_nlt_f32_e32 vcc, s6, v32
	v_cvt_i32_f32_e32 v31, v34
	v_add_f32_e32 v4, 1.0, v4
	v_cndmask_b32_e32 v8, 0, v8, vcc
	v_cmp_ngt_f32_e32 vcc, s22, v32
	v_rcp_f32_e32 v29, v4
	v_cvt_f32_f16_e32 v4, v5
	v_cndmask_b32_e32 v8, v1, v8, vcc
	v_add_f32_e32 v8, 1.0, v8
	v_rcp_f32_e32 v34, v8
	v_ldexp_f32 v8, v9, v31
	v_cmp_nlt_f32_e32 vcc, s6, v33
	v_cvt_f32_f16_sdwa v5, v5 dst_sel:DWORD dst_unused:UNUSED_PAD src0_sel:WORD_1
	s_mul_hi_i32 s6, s17, 0x2aaaaaab
	v_cndmask_b32_e32 v8, 0, v8, vcc
	v_cmp_ngt_f32_e32 vcc, s22, v33
	s_lshr_b32 s7, s6, 31
	s_ashr_i32 s8, s6, 2
	v_cndmask_b32_e32 v1, v1, v8, vcc
	v_add_f32_e32 v1, 1.0, v1
	v_rcp_f32_e32 v35, v1
	v_pk_mul_f32 v[8:9], v[28:29], v[36:37]
	v_and_b32_e32 v1, 0x7fffffff, v22
	;;#ASMSTART
	v_pk_mul_f32 v[8:9], v[8:9], v[26:27]
	;;#ASMEND
	v_pk_mul_f32 v[26:27], v[34:35], v[32:33]
	s_add_i32 s8, s8, s7
	;;#ASMSTART
	v_pk_mul_f32 v[4:5], v[26:27], v[4:5]
	;;#ASMEND
	v_and_b32_e32 v26, 0x7fffffff, v23
	v_mov_b32_e32 v27, 0x2edbe6ff
	;;#ASMSTART
	v_max3_f32 v1, v27, v1, v26

	;;#ASMEND
	v_and_b32_e32 v26, 0x7fffffff, v18
	v_and_b32_e32 v27, 0x7fffffff, v19
	;;#ASMSTART
	v_max3_f32 v1, v1, v26, v27

	;;#ASMEND
	v_and_b32_e32 v26, 0x7fffffff, v24
	v_and_b32_e32 v27, 0x7fffffff, v25
	;; [unrolled: 6-line block ×10, first 2 shown]
	;;#ASMSTART
	v_max3_f32 v1, v1, v26, v27

	;;#ASMEND
	s_cmp_lt_i32 s8, 16
	v_and_b32_e32 v26, 0x7fffffff, v4
	v_and_b32_e32 v27, 0x7fffffff, v5
	;;#ASMSTART
	v_max3_f32 v1, v1, v26, v27

	;;#ASMEND
	s_cbranch_scc1 .LBB537_7
; %bb.2:
	s_cmp_lt_i32 s8, 32
	s_cbranch_scc1 .LBB537_8
; %bb.3:
	s_cmp_lt_i32 s8, 64
	s_cbranch_scc1 .LBB537_9
; %bb.4:
	s_cmp_eq_u32 s8, 64
	v_mov_b32_e32 v26, v1
	s_cbranch_scc0 .LBB537_6
; %bb.5:
	s_nop 0
	v_mov_b32_dpp v26, v1 quad_perm:[1,0,3,2] row_mask:0xf bank_mask:0xf
	v_cmp_gt_f32_e32 vcc, v1, v26
	v_bfrev_b32_e32 v28, 0.5
	s_nop 0
	v_cndmask_b32_e32 v26, v26, v1, vcc
	s_nop 1
	v_mov_b32_dpp v27, v26 quad_perm:[2,3,0,1] row_mask:0xf bank_mask:0xf
	v_cmp_gt_f32_e32 vcc, v26, v27
	s_nop 1
	v_cndmask_b32_e32 v26, v27, v26, vcc
	s_nop 1
	v_mov_b32_dpp v27, v26 row_ror:4 row_mask:0xf bank_mask:0xf
	v_cmp_gt_f32_e32 vcc, v26, v27
	s_nop 1
	v_cndmask_b32_e32 v26, v27, v26, vcc
	s_nop 1
	v_mov_b32_dpp v27, v26 row_ror:8 row_mask:0xf bank_mask:0xf
	v_cmp_gt_f32_e32 vcc, v26, v27
	s_nop 1
	v_cndmask_b32_e32 v26, v27, v26, vcc
	s_nop 1
	v_mov_b32_dpp v27, v26 row_bcast:15 row_mask:0xf bank_mask:0xf
	v_cmp_gt_f32_e32 vcc, v26, v27
	s_nop 1
	v_cndmask_b32_e32 v26, v27, v26, vcc
	s_nop 1
	v_mov_b32_dpp v27, v26 row_bcast:31 row_mask:0xf bank_mask:0xf
	v_cmp_gt_f32_e32 vcc, v26, v27
	s_nop 1
	v_cndmask_b32_e32 v26, v27, v26, vcc
	v_mbcnt_lo_u32_b32 v27, -1, 0
	v_mbcnt_hi_u32_b32 v27, -1, v27
	v_lshl_or_b32 v27, v27, 2, v28
	ds_bpermute_b32 v26, v27, v26
.LBB537_6:
	s_cbranch_execz .LBB537_10
	s_branch .LBB537_12
.LBB537_7:
                                        ; implicit-def: $vgpr26
	s_branch .LBB537_16
.LBB537_8:
                                        ; implicit-def: $vgpr26
	s_branch .LBB537_13
.LBB537_9:
                                        ; implicit-def: $vgpr26
.LBB537_10:
	s_cmp_eq_u32 s8, 32
	s_waitcnt lgkmcnt(0)
	v_mov_b32_e32 v26, v1
	s_cbranch_scc0 .LBB537_12
; %bb.11:
	s_nop 0
	v_mov_b32_dpp v26, v1 quad_perm:[1,0,3,2] row_mask:0xf bank_mask:0xf
	v_cmp_gt_f32_e32 vcc, v1, v26
	v_mov_b32_e32 v28, 0x7c
	s_nop 0
	v_cndmask_b32_e32 v26, v26, v1, vcc
	s_nop 1
	v_mov_b32_dpp v27, v26 quad_perm:[2,3,0,1] row_mask:0xf bank_mask:0xf
	v_cmp_gt_f32_e32 vcc, v26, v27
	s_nop 1
	v_cndmask_b32_e32 v26, v27, v26, vcc
	s_nop 1
	v_mov_b32_dpp v27, v26 row_half_mirror row_mask:0xf bank_mask:0xf
	v_cmp_gt_f32_e32 vcc, v26, v27
	s_nop 1
	v_cndmask_b32_e32 v26, v27, v26, vcc
	s_nop 1
	v_mov_b32_dpp v27, v26 row_mirror row_mask:0xf bank_mask:0xf
	v_cmp_gt_f32_e32 vcc, v26, v27
	s_nop 1
	v_cndmask_b32_e32 v26, v27, v26, vcc
	s_nop 1
	v_mov_b32_dpp v27, v26 row_bcast:15 row_mask:0xa bank_mask:0xf
	v_cmp_gt_f32_e32 vcc, v26, v27
	s_nop 1
	v_cndmask_b32_e32 v26, v27, v26, vcc
	v_mbcnt_lo_u32_b32 v27, -1, 0
	v_mbcnt_hi_u32_b32 v27, -1, v27
	v_lshl_or_b32 v27, v27, 2, v28
	ds_bpermute_b32 v26, v27, v26
.LBB537_12:
	s_cbranch_execnz .LBB537_15
.LBB537_13:
	s_cmp_eq_u32 s8, 16
	s_waitcnt lgkmcnt(0)
	v_mov_b32_e32 v26, v1
	s_cbranch_scc0 .LBB537_15
; %bb.14:
	s_nop 0
	v_mov_b32_dpp v26, v1 quad_perm:[1,0,3,2] row_mask:0xf bank_mask:0xf
	v_cmp_gt_f32_e32 vcc, v1, v26
	s_nop 1
	v_cndmask_b32_e32 v26, v26, v1, vcc
	s_nop 1
	v_mov_b32_dpp v27, v26 quad_perm:[2,3,0,1] row_mask:0xf bank_mask:0xf
	v_cmp_gt_f32_e32 vcc, v26, v27
	s_nop 1
	v_cndmask_b32_e32 v26, v27, v26, vcc
	s_nop 1
	v_mov_b32_dpp v27, v26 row_half_mirror row_mask:0xf bank_mask:0xf
	v_cmp_gt_f32_e32 vcc, v26, v27
	s_nop 1
	v_cndmask_b32_e32 v26, v27, v26, vcc
	s_nop 1
	v_mov_b32_dpp v27, v26 row_mirror row_mask:0xf bank_mask:0xf
	v_cmp_gt_f32_e32 vcc, v26, v27
	s_nop 1
	v_cndmask_b32_e32 v26, v27, v26, vcc
.LBB537_15:
	s_cbranch_execnz .LBB537_29
.LBB537_16:
	s_cmp_lt_i32 s8, 4
	s_cbranch_scc1 .LBB537_20
; %bb.17:
	s_cmp_lt_i32 s8, 8
	s_cbranch_scc1 .LBB537_21
; %bb.18:
	s_cmp_eq_u32 s8, 8
	s_waitcnt lgkmcnt(0)
	v_mov_b32_e32 v26, v1
	s_cbranch_scc0 .LBB537_22
; %bb.19:
	s_nop 0
	v_mov_b32_dpp v26, v1 quad_perm:[1,0,3,2] row_mask:0xf bank_mask:0xf
	v_cmp_gt_f32_e32 vcc, v1, v26
	s_nop 1
	v_cndmask_b32_e32 v26, v26, v1, vcc
	s_nop 1
	v_mov_b32_dpp v27, v26 quad_perm:[2,3,0,1] row_mask:0xf bank_mask:0xf
	v_cmp_gt_f32_e32 vcc, v26, v27
	s_nop 1
	v_cndmask_b32_e32 v26, v27, v26, vcc
	s_nop 1
	v_mov_b32_dpp v27, v26 row_half_mirror row_mask:0xf bank_mask:0xf
	v_cmp_gt_f32_e32 vcc, v26, v27
	s_nop 1
	v_cndmask_b32_e32 v26, v27, v26, vcc
	s_cbranch_execz .LBB537_23
	s_branch .LBB537_25
.LBB537_20:
                                        ; implicit-def: $vgpr26
	s_branch .LBB537_26
.LBB537_21:
                                        ; implicit-def: $vgpr26
	s_branch .LBB537_23
.LBB537_22:
	s_cbranch_execnz .LBB537_25
.LBB537_23:
	s_cmp_eq_u32 s8, 4
	s_waitcnt lgkmcnt(0)
	v_mov_b32_e32 v26, v1
	s_cbranch_scc0 .LBB537_25
; %bb.24:
	s_nop 0
	v_mov_b32_dpp v26, v1 quad_perm:[1,0,3,2] row_mask:0xf bank_mask:0xf
	v_cmp_gt_f32_e32 vcc, v1, v26
	s_nop 1
	v_cndmask_b32_e32 v26, v26, v1, vcc
	s_nop 1
	v_mov_b32_dpp v27, v26 quad_perm:[2,3,0,1] row_mask:0xf bank_mask:0xf
	v_cmp_gt_f32_e32 vcc, v26, v27
	s_nop 1
	v_cndmask_b32_e32 v26, v27, v26, vcc
.LBB537_25:
	s_cbranch_execnz .LBB537_29
.LBB537_26:
	s_cmp_lg_u32 s8, 2
	s_cbranch_scc1 .LBB537_28
; %bb.27:
	s_waitcnt lgkmcnt(0)
	v_mov_b32_dpp v26, v1 quad_perm:[1,0,3,2] row_mask:0xf bank_mask:0xf
	v_cmp_gt_f32_e32 vcc, v1, v26
	s_nop 1
	v_cndmask_b32_e32 v1, v26, v1, vcc
.LBB537_28:
	s_waitcnt lgkmcnt(0)
	v_mov_b32_e32 v26, v1
.LBB537_29:
	s_abs_i32 s6, s8
	v_cvt_f32_u32_e32 v1, s6
	s_sub_i32 s9, 0, s6
	s_waitcnt lgkmcnt(0)
	v_mul_f32_e32 v28, 0x3b888889, v26
	s_ashr_i32 s7, s8, 31
	v_rcp_iflag_f32_e32 v1, v1
	s_nop 0
	v_mul_f32_e32 v1, 0x4f7ffffe, v1
	v_cvt_u32_f32_e32 v1, v1
	v_mul_lo_u32 v26, s9, v1
	v_mul_hi_u32 v26, v1, v26
	v_add_u32_e32 v1, v1, v26
	v_mul_hi_u32 v1, v0, v1
	v_mul_lo_u32 v26, v1, s6
	v_sub_u32_e32 v26, v0, v26
	v_add_u32_e32 v27, 1, v1
	v_cmp_le_u32_e32 vcc, s6, v26
	s_nop 1
	v_cndmask_b32_e32 v1, v1, v27, vcc
	v_subrev_u32_e32 v27, s6, v26
	v_cndmask_b32_e32 v26, v26, v27, vcc
	v_add_u32_e32 v27, 1, v1
	v_cmp_le_u32_e32 vcc, s6, v26
	s_nop 1
	v_cndmask_b32_e32 v1, v1, v27, vcc
	v_xor_b32_e32 v1, s7, v1
	v_subrev_u32_e32 v26, s7, v1
	v_mul_lo_u32 v1, v26, s8
	v_sub_u32_e32 v0, v0, v1
	v_cmp_eq_u32_e32 vcc, 0, v0
	s_and_saveexec_b64 s[6:7], vcc
	s_cbranch_execz .LBB537_35
; %bb.30:
	s_load_dword s8, s[0:1], 0x24
	s_waitcnt lgkmcnt(0)
	s_bitcmp0_b32 s8, 0
	s_cbranch_scc0 .LBB537_32
; %bb.31:
	s_abs_i32 s8, s17
	v_cvt_f32_u32_e32 v0, s8
	s_sub_i32 s11, 0, s8
	s_abs_i32 s10, s18
	s_xor_b32 s9, s18, s17
	v_rcp_iflag_f32_e32 v0, v0
	s_ashr_i32 s9, s9, 31
	v_ashrrev_i32_e32 v27, 31, v26
	v_mov_b32_e32 v1, s2
	v_mul_f32_e32 v0, 0x4f7ffffe, v0
	v_cvt_u32_f32_e32 v0, v0
	s_nop 0
	v_readfirstlane_b32 s12, v0
	s_mul_i32 s11, s11, s12
	s_mul_hi_u32 s11, s12, s11
	s_add_i32 s12, s12, s11
	s_mul_hi_u32 s11, s10, s12
	s_mul_i32 s12, s11, s8
	s_sub_i32 s10, s10, s12
	s_add_i32 s13, s11, 1
	s_sub_i32 s12, s10, s8
	s_cmp_ge_u32 s10, s8
	s_cselect_b32 s11, s13, s11
	s_cselect_b32 s10, s12, s10
	s_add_i32 s12, s11, 1
	s_cmp_ge_u32 s10, s8
	s_cselect_b32 s8, s12, s11
	s_xor_b32 s8, s8, s9
	s_sub_i32 s8, s8, s9
	s_ashr_i32 s9, s8, 31
	s_mul_i32 s10, s9, s2
	v_mad_u64_u32 v[0:1], s[8:9], s8, v1, v[26:27]
	v_add_u32_e32 v1, s10, v1
	s_cbranch_execz .LBB537_33
	s_branch .LBB537_34
.LBB537_32:
                                        ; implicit-def: $vgpr0_vgpr1
.LBB537_33:
	s_load_dword s0, s[0:1], 0x28
	v_mov_b32_e32 v1, 0
	s_waitcnt lgkmcnt(0)
	v_mul_lo_u32 v0, s0, v26
	v_lshl_add_u64 v[0:1], v[0:1], 0, s[2:3]
.LBB537_34:
	v_lshl_add_u64 v[0:1], v[0:1], 2, s[20:21]
	global_store_dword v[0:1], v28, off
.LBB537_35:
	s_or_b64 exec, exec, s[6:7]
	s_add_i32 s0, s16, 3
	s_ashr_i32 s1, s0, 31
	s_lshr_b32 s1, s1, 30
	s_add_i32 s0, s0, s1
	s_and_b32 s6, s0, -4
	s_mul_i32 s0, s19, s2
	s_mul_hi_u32 s1, s18, s2
	s_add_i32 s1, s1, s0
	s_mul_i32 s0, s18, s2
	s_add_u32 s4, s4, s0
	;;#ASMSTART
	v_rcp_f32 v0, v28
	;;#ASMEND
	s_addc_u32 s0, s5, s1
	v_mov_b32_e32 v1, v0
	;;#ASMSTART
	v_pk_mul_f32 v[22:23], v[22:23], v[0:1]
	;;#ASMEND
	v_mov_b32_e32 v26, 0xc3700000
	v_mov_b32_e32 v27, 0x43700000
	;;#ASMSTART
	v_med3_f32 v22, v22, v26, v27
v_med3_f32 v23, v23, v26, v27
v_cvt_pk_fp8_f32 v28, v22, v23
	;;#ASMEND
	;;#ASMSTART
	v_pk_mul_f32 v[18:19], v[18:19], v[0:1]
	;;#ASMEND
	s_and_b32 s5, s0, 0xffff
	;;#ASMSTART
	v_med3_f32 v18, v18, v26, v27
v_med3_f32 v19, v19, v26, v27
v_cvt_pk_fp8_f32 v22, v18, v19
	;;#ASMEND
	s_mov_b32 s0, 0x5040100
	v_perm_b32 v19, v22, v28, s0
	s_movk_i32 s2, 0xff
	v_and_b32_e32 v18, 0xffffff00, v22
	v_and_b32_sdwa v22, v19, s2 dst_sel:DWORD dst_unused:UNUSED_PAD src0_sel:WORD_1 src1_sel:DWORD
	s_mov_b32 s1, 0xffff
	v_or_b32_sdwa v18, v22, v18 dst_sel:WORD_1 dst_unused:UNUSED_PAD src0_sel:DWORD src1_sel:DWORD
	;;#ASMSTART
	v_pk_mul_f32 v[22:23], v[24:25], v[0:1]
	;;#ASMEND
	s_mov_b32 s7, 0x20000
	v_and_or_b32 v18, v19, s1, v18
	v_mov_b32_e32 v19, v22
	;;#ASMSTART
	v_med3_f32 v19, v19, v26, v27
v_med3_f32 v23, v23, v26, v27
v_cvt_pk_fp8_f32 v22, v19, v23
	;;#ASMEND
	;;#ASMSTART
	v_pk_mul_f32 v[20:21], v[20:21], v[0:1]
	;;#ASMEND
	s_nop 0
	v_mov_b32_e32 v19, v21
	;;#ASMSTART
	v_med3_f32 v20, v20, v26, v27
v_med3_f32 v19, v19, v26, v27
v_cvt_pk_fp8_f32 v21, v20, v19
	;;#ASMEND
	s_nop 0
	v_lshlrev_b32_e32 v19, 16, v21
	v_and_or_b32 v19, v22, s1, v19
	buffer_store_dwordx2 v[18:19], v30, s[4:7], 0 offen
	;;#ASMSTART
	s_nop 0
	;;#ASMEND
	;;#ASMSTART
	v_pk_mul_f32 v[14:15], v[14:15], v[0:1]
	;;#ASMEND
	s_nop 0
	;;#ASMSTART
	v_med3_f32 v14, v14, v26, v27
v_med3_f32 v15, v15, v26, v27
v_cvt_pk_fp8_f32 v18, v14, v15
	;;#ASMEND
	;;#ASMSTART
	v_pk_mul_f32 v[10:11], v[10:11], v[0:1]
	;;#ASMEND
	s_nop 0
	;;#ASMSTART
	v_med3_f32 v10, v10, v26, v27
v_med3_f32 v11, v11, v26, v27
v_cvt_pk_fp8_f32 v14, v10, v11
	;;#ASMEND
	s_nop 0
	v_perm_b32 v11, v14, v18, s0
	v_and_b32_e32 v10, 0xffffff00, v14
	v_and_b32_sdwa v14, v11, s2 dst_sel:DWORD dst_unused:UNUSED_PAD src0_sel:WORD_1 src1_sel:DWORD
	v_or_b32_sdwa v10, v14, v10 dst_sel:WORD_1 dst_unused:UNUSED_PAD src0_sel:DWORD src1_sel:DWORD
	;;#ASMSTART
	v_pk_mul_f32 v[14:15], v[16:17], v[0:1]
	;;#ASMEND
	s_nop 0
	v_and_or_b32 v10, v11, s1, v10
	v_mov_b32_e32 v11, v14
	;;#ASMSTART
	v_med3_f32 v11, v11, v26, v27
v_med3_f32 v15, v15, v26, v27
v_cvt_pk_fp8_f32 v14, v11, v15
	;;#ASMEND
	;;#ASMSTART
	v_pk_mul_f32 v[12:13], v[12:13], v[0:1]
	;;#ASMEND
	s_nop 0
	v_mov_b32_e32 v11, v13
	;;#ASMSTART
	v_med3_f32 v12, v12, v26, v27
v_med3_f32 v11, v11, v26, v27
v_cvt_pk_fp8_f32 v13, v12, v11
	;;#ASMEND
	s_nop 0
	v_lshlrev_b32_e32 v11, 16, v13
	v_and_or_b32 v11, v14, s1, v11
	buffer_store_dwordx2 v[10:11], v30, s[4:7], 8 offen
	;;#ASMSTART
	s_nop 0
	;;#ASMEND
	;;#ASMSTART
	v_pk_mul_f32 v[6:7], v[6:7], v[0:1]
	;;#ASMEND
	s_nop 0
	;;#ASMSTART
	v_med3_f32 v6, v6, v26, v27
v_med3_f32 v7, v7, v26, v27
v_cvt_pk_fp8_f32 v10, v6, v7
	;;#ASMEND
	;;#ASMSTART
	v_pk_mul_f32 v[2:3], v[2:3], v[0:1]
	;;#ASMEND
	s_nop 0
	;;#ASMSTART
	v_med3_f32 v2, v2, v26, v27
v_med3_f32 v3, v3, v26, v27
v_cvt_pk_fp8_f32 v6, v2, v3
	;;#ASMEND
	s_nop 0
	v_perm_b32 v3, v6, v10, s0
	v_and_b32_e32 v2, 0xffffff00, v6
	v_and_b32_sdwa v6, v3, s2 dst_sel:DWORD dst_unused:UNUSED_PAD src0_sel:WORD_1 src1_sel:DWORD
	v_or_b32_sdwa v2, v6, v2 dst_sel:WORD_1 dst_unused:UNUSED_PAD src0_sel:DWORD src1_sel:DWORD
	;;#ASMSTART
	v_pk_mul_f32 v[6:7], v[8:9], v[0:1]
	;;#ASMEND
	s_nop 0
	v_and_or_b32 v2, v3, s1, v2
	v_mov_b32_e32 v3, v6
	;;#ASMSTART
	v_med3_f32 v3, v3, v26, v27
v_med3_f32 v7, v7, v26, v27
v_cvt_pk_fp8_f32 v6, v3, v7
	;;#ASMEND
	;;#ASMSTART
	v_pk_mul_f32 v[0:1], v[4:5], v[0:1]
	;;#ASMEND
	s_nop 0
	;;#ASMSTART
	v_med3_f32 v0, v0, v26, v27
v_med3_f32 v1, v1, v26, v27
v_cvt_pk_fp8_f32 v3, v0, v1
	;;#ASMEND
	s_nop 0
	v_lshlrev_b32_e32 v0, 16, v3
	v_and_or_b32 v3, v6, s1, v0
	buffer_store_dwordx2 v[2:3], v30, s[4:7], 16 offen
	;;#ASMSTART
	s_nop 0
	;;#ASMEND
.LBB537_36:
	s_endpgm
	.section	.rodata,"a",@progbits
	.p2align	6, 0x0
	.amdhsa_kernel _ZN5aiter24act_and_mul_quant_kernelIDF16_DB8_TnPFfRKT_EXadL_ZNS_11silu_kernelIDF16_EEfS4_EELi256ELi24ELb0EEEvPT0_PS3_Pfiifb
		.amdhsa_group_segment_fixed_size 0
		.amdhsa_private_segment_fixed_size 0
		.amdhsa_kernarg_size 296
		.amdhsa_user_sgpr_count 2
		.amdhsa_user_sgpr_dispatch_ptr 0
		.amdhsa_user_sgpr_queue_ptr 0
		.amdhsa_user_sgpr_kernarg_segment_ptr 1
		.amdhsa_user_sgpr_dispatch_id 0
		.amdhsa_user_sgpr_kernarg_preload_length 0
		.amdhsa_user_sgpr_kernarg_preload_offset 0
		.amdhsa_user_sgpr_private_segment_size 0
		.amdhsa_uses_dynamic_stack 0
		.amdhsa_enable_private_segment 0
		.amdhsa_system_sgpr_workgroup_id_x 1
		.amdhsa_system_sgpr_workgroup_id_y 0
		.amdhsa_system_sgpr_workgroup_id_z 0
		.amdhsa_system_sgpr_workgroup_info 0
		.amdhsa_system_vgpr_workitem_id 0
		.amdhsa_next_free_vgpr 49
		.amdhsa_next_free_sgpr 24
		.amdhsa_accum_offset 52
		.amdhsa_reserve_vcc 1
		.amdhsa_float_round_mode_32 0
		.amdhsa_float_round_mode_16_64 0
		.amdhsa_float_denorm_mode_32 3
		.amdhsa_float_denorm_mode_16_64 3
		.amdhsa_dx10_clamp 1
		.amdhsa_ieee_mode 1
		.amdhsa_fp16_overflow 0
		.amdhsa_tg_split 0
		.amdhsa_exception_fp_ieee_invalid_op 0
		.amdhsa_exception_fp_denorm_src 0
		.amdhsa_exception_fp_ieee_div_zero 0
		.amdhsa_exception_fp_ieee_overflow 0
		.amdhsa_exception_fp_ieee_underflow 0
		.amdhsa_exception_fp_ieee_inexact 0
		.amdhsa_exception_int_div_zero 0
	.end_amdhsa_kernel
	.section	.text._ZN5aiter24act_and_mul_quant_kernelIDF16_DB8_TnPFfRKT_EXadL_ZNS_11silu_kernelIDF16_EEfS4_EELi256ELi24ELb0EEEvPT0_PS3_Pfiifb,"axG",@progbits,_ZN5aiter24act_and_mul_quant_kernelIDF16_DB8_TnPFfRKT_EXadL_ZNS_11silu_kernelIDF16_EEfS4_EELi256ELi24ELb0EEEvPT0_PS3_Pfiifb,comdat
.Lfunc_end537:
	.size	_ZN5aiter24act_and_mul_quant_kernelIDF16_DB8_TnPFfRKT_EXadL_ZNS_11silu_kernelIDF16_EEfS4_EELi256ELi24ELb0EEEvPT0_PS3_Pfiifb, .Lfunc_end537-_ZN5aiter24act_and_mul_quant_kernelIDF16_DB8_TnPFfRKT_EXadL_ZNS_11silu_kernelIDF16_EEfS4_EELi256ELi24ELb0EEEvPT0_PS3_Pfiifb
                                        ; -- End function
	.section	.AMDGPU.csdata,"",@progbits
; Kernel info:
; codeLenInByte = 4888
; NumSgprs: 30
; NumVgprs: 49
; NumAgprs: 0
; TotalNumVgprs: 49
; ScratchSize: 0
; MemoryBound: 0
; FloatMode: 240
; IeeeMode: 1
; LDSByteSize: 0 bytes/workgroup (compile time only)
; SGPRBlocks: 3
; VGPRBlocks: 6
; NumSGPRsForWavesPerEU: 30
; NumVGPRsForWavesPerEU: 49
; AccumOffset: 52
; Occupancy: 8
; WaveLimiterHint : 0
; COMPUTE_PGM_RSRC2:SCRATCH_EN: 0
; COMPUTE_PGM_RSRC2:USER_SGPR: 2
; COMPUTE_PGM_RSRC2:TRAP_HANDLER: 0
; COMPUTE_PGM_RSRC2:TGID_X_EN: 1
; COMPUTE_PGM_RSRC2:TGID_Y_EN: 0
; COMPUTE_PGM_RSRC2:TGID_Z_EN: 0
; COMPUTE_PGM_RSRC2:TIDIG_COMP_CNT: 0
; COMPUTE_PGM_RSRC3_GFX90A:ACCUM_OFFSET: 12
; COMPUTE_PGM_RSRC3_GFX90A:TG_SPLIT: 0
	.section	.text._ZN5aiter24act_and_mul_quant_kernelItDB8_TnPFfRKT_EXadL_ZNS_11silu_kernelItEEfS4_EELi256ELi24ELb0EEEvPT0_PS3_Pfiifb,"axG",@progbits,_ZN5aiter24act_and_mul_quant_kernelItDB8_TnPFfRKT_EXadL_ZNS_11silu_kernelItEEfS4_EELi256ELi24ELb0EEEvPT0_PS3_Pfiifb,comdat
	.protected	_ZN5aiter24act_and_mul_quant_kernelItDB8_TnPFfRKT_EXadL_ZNS_11silu_kernelItEEfS4_EELi256ELi24ELb0EEEvPT0_PS3_Pfiifb ; -- Begin function _ZN5aiter24act_and_mul_quant_kernelItDB8_TnPFfRKT_EXadL_ZNS_11silu_kernelItEEfS4_EELi256ELi24ELb0EEEvPT0_PS3_Pfiifb
	.globl	_ZN5aiter24act_and_mul_quant_kernelItDB8_TnPFfRKT_EXadL_ZNS_11silu_kernelItEEfS4_EELi256ELi24ELb0EEEvPT0_PS3_Pfiifb
	.p2align	8
	.type	_ZN5aiter24act_and_mul_quant_kernelItDB8_TnPFfRKT_EXadL_ZNS_11silu_kernelItEEfS4_EELi256ELi24ELb0EEEvPT0_PS3_Pfiifb,@function
_ZN5aiter24act_and_mul_quant_kernelItDB8_TnPFfRKT_EXadL_ZNS_11silu_kernelItEEfS4_EELi256ELi24ELb0EEEvPT0_PS3_Pfiifb: ; @_ZN5aiter24act_and_mul_quant_kernelItDB8_TnPFfRKT_EXadL_ZNS_11silu_kernelItEEfS4_EELi256ELi24ELb0EEEvPT0_PS3_Pfiifb
; %bb.0:
	s_load_dwordx2 s[16:17], s[0:1], 0x18
	v_mul_u32_u24_e32 v30, 24, v0
	s_waitcnt lgkmcnt(0)
	v_cmp_gt_i32_e32 vcc, s16, v30
	s_and_saveexec_b64 s[4:5], vcc
	s_cbranch_execz .LBB538_36
; %bb.1:
	s_load_dwordx4 s[4:7], s[0:1], 0x0
	s_load_dwordx2 s[20:21], s[0:1], 0x10
	s_ashr_i32 s19, s16, 31
	s_mul_hi_u32 s3, s2, s16
	s_mul_i32 s8, s2, s19
	s_add_i32 s9, s3, s8
	s_mul_i32 s8, s2, s16
	s_lshl_b64 s[8:9], s[8:9], 2
	s_mov_b32 s18, s16
	s_waitcnt lgkmcnt(0)
	s_add_u32 s8, s6, s8
	s_addc_u32 s3, s7, s9
	s_lshl_b64 s[6:7], s[18:19], 1
	s_add_u32 s12, s8, s6
	s_addc_u32 s6, s3, s7
	s_lshl_b32 s7, s16, 1
	s_add_i32 s7, s7, 2
	s_and_b32 s14, s7, -4
	s_mov_b32 s15, 0x20000
	s_and_b32 s13, s6, 0xffff
	v_mul_u32_u24_e32 v26, 48, v0
	s_and_b32 s9, s3, 0xffff
	s_mov_b32 s10, s14
	s_mov_b32 s11, s15
	buffer_load_dwordx4 v[18:21], v26, s[12:15], 0 offen sc0 nt
	buffer_load_dwordx4 v[22:25], v26, s[8:11], 0 offen sc0 nt
	;; [unrolled: 1-line block ×6, first 2 shown]
	s_mov_b32 s22, 0xbfb8aa3b
	s_mov_b32 s6, 0x42ce8ed0
	;; [unrolled: 1-line block ×3, first 2 shown]
	v_mov_b32_e32 v1, 0x7f800000
	s_mov_b32 s3, 0
	s_waitcnt vmcnt(5)
	v_and_b32_e32 v27, 0xffff0000, v18
	v_lshlrev_b32_e32 v26, 16, v18
	s_waitcnt vmcnt(4)
	v_lshlrev_b32_e32 v18, 16, v22
	v_and_b32_e32 v33, 0xffff0000, v19
	v_lshlrev_b32_e32 v32, 16, v19
	v_and_b32_e32 v19, 0xffff0000, v22
	v_mul_f32_e32 v22, 0xbfb8aa3b, v18
	v_and_b32_e32 v35, 0xffff0000, v23
	v_lshlrev_b32_e32 v34, 16, v23
	v_mul_f32_e32 v23, 0xbfb8aa3b, v19
	v_fma_f32 v36, v18, s22, -v22
	v_rndne_f32_e32 v37, v22
	v_mul_f32_e32 v29, 0xbfb8aa3b, v34
	v_fma_f32 v39, v19, s22, -v23
	v_rndne_f32_e32 v40, v23
	v_fmac_f32_e32 v36, 0xb2a5705f, v18
	v_sub_f32_e32 v22, v22, v37
	v_mul_f32_e32 v31, 0xbfb8aa3b, v35
	v_fma_f32 v41, v34, s22, -v29
	v_rndne_f32_e32 v42, v29
	v_fmac_f32_e32 v39, 0xb2a5705f, v19
	v_sub_f32_e32 v23, v23, v40
	v_add_f32_e32 v22, v22, v36
	v_fma_f32 v43, v35, s22, -v31
	v_rndne_f32_e32 v44, v31
	v_cvt_i32_f32_e32 v37, v37
	v_fmac_f32_e32 v41, 0xb2a5705f, v34
	v_sub_f32_e32 v29, v29, v42
	v_add_f32_e32 v23, v23, v39
	v_exp_f32_e32 v22, v22
	v_cvt_i32_f32_e32 v40, v40
	v_fmac_f32_e32 v43, 0xb2a5705f, v35
	v_sub_f32_e32 v31, v31, v44
	v_add_f32_e32 v29, v29, v41
	v_exp_f32_e32 v23, v23
	v_cvt_i32_f32_e32 v42, v42
	v_add_f32_e32 v31, v31, v43
	v_exp_f32_e32 v29, v29
	v_cvt_i32_f32_e32 v44, v44
	v_exp_f32_e32 v31, v31
	v_ldexp_f32 v22, v22, v37
	v_cmp_nlt_f32_e32 vcc, s6, v18
	v_ldexp_f32 v23, v23, v40
	v_ldexp_f32 v29, v29, v42
	v_cndmask_b32_e32 v22, 0, v22, vcc
	v_cmp_nlt_f32_e32 vcc, s6, v19
	v_ldexp_f32 v31, v31, v44
	v_lshlrev_b32_e32 v28, 16, v24
	v_cndmask_b32_e32 v23, 0, v23, vcc
	v_cmp_nlt_f32_e32 vcc, s6, v34
	v_mul_f32_e32 v38, 0xbfb8aa3b, v28
	v_fma_f32 v45, v28, s22, -v38
	v_cndmask_b32_e32 v29, 0, v29, vcc
	v_cmp_nlt_f32_e32 vcc, s6, v35
	v_rndne_f32_e32 v46, v38
	v_fmac_f32_e32 v45, 0xb2a5705f, v28
	v_cndmask_b32_e32 v31, 0, v31, vcc
	v_cmp_ngt_f32_e32 vcc, s7, v18
	s_nop 1
	v_cndmask_b32_e32 v22, v1, v22, vcc
	v_cmp_ngt_f32_e32 vcc, s7, v19
	v_add_f32_e32 v22, 1.0, v22
	v_rcp_f32_e32 v22, v22
	v_cndmask_b32_e32 v23, v1, v23, vcc
	v_add_f32_e32 v23, 1.0, v23
	v_rcp_f32_e32 v23, v23
	v_cmp_ngt_f32_e32 vcc, s7, v34
	v_pk_mul_f32 v[18:19], v[22:23], v[18:19]
	s_nop 0
	v_cndmask_b32_e32 v29, v1, v29, vcc
	v_cmp_ngt_f32_e32 vcc, s7, v35
	v_add_f32_e32 v29, 1.0, v29
	v_rcp_f32_e32 v36, v29
	v_cndmask_b32_e32 v31, v1, v31, vcc
	v_sub_f32_e32 v29, v38, v46
	v_add_f32_e32 v31, 1.0, v31
	;;#ASMSTART
	v_pk_mul_f32 v[22:23], v[18:19], v[26:27]
	;;#ASMEND
	v_add_f32_e32 v18, v29, v45
	v_rcp_f32_e32 v37, v31
	v_exp_f32_e32 v26, v18
	v_cvt_i32_f32_e32 v31, v46
	v_and_b32_e32 v29, 0xffff0000, v24
	v_pk_mul_f32 v[34:35], v[36:37], v[34:35]
	v_cmp_nlt_f32_e32 vcc, s6, v28
	v_ldexp_f32 v24, v26, v31
	v_mul_f32_e32 v26, 0xbfb8aa3b, v29
	;;#ASMSTART
	v_pk_mul_f32 v[18:19], v[34:35], v[32:33]
	;;#ASMEND
	v_fma_f32 v31, v29, s22, -v26
	v_rndne_f32_e32 v32, v26
	v_fmac_f32_e32 v31, 0xb2a5705f, v29
	v_sub_f32_e32 v26, v26, v32
	v_add_f32_e32 v26, v26, v31
	v_exp_f32_e32 v26, v26
	v_cvt_i32_f32_e32 v31, v32
	v_cndmask_b32_e32 v24, 0, v24, vcc
	v_cmp_ngt_f32_e32 vcc, s7, v28
	v_lshlrev_b32_e32 v34, 16, v25
	v_and_b32_e32 v35, 0xffff0000, v25
	v_cndmask_b32_e32 v24, v1, v24, vcc
	v_add_f32_e32 v24, 1.0, v24
	v_rcp_f32_e32 v32, v24
	v_ldexp_f32 v24, v26, v31
	v_cmp_nlt_f32_e32 vcc, s6, v29
	v_and_b32_e32 v27, 0xffff0000, v20
	s_nop 0
	v_cndmask_b32_e32 v24, 0, v24, vcc
	v_cmp_ngt_f32_e32 vcc, s7, v29
	s_nop 1
	v_cndmask_b32_e32 v24, v1, v24, vcc
	v_add_f32_e32 v24, 1.0, v24
	v_rcp_f32_e32 v33, v24
	v_mul_f32_e32 v24, 0xbfb8aa3b, v34
	v_fma_f32 v26, v34, s22, -v24
	v_rndne_f32_e32 v31, v24
	v_fmac_f32_e32 v26, 0xb2a5705f, v34
	v_sub_f32_e32 v24, v24, v31
	v_add_f32_e32 v24, v24, v26
	v_exp_f32_e32 v24, v24
	v_cvt_i32_f32_e32 v31, v31
	v_lshlrev_b32_e32 v26, 16, v20
	v_cmp_nlt_f32_e32 vcc, s6, v34
	v_pk_mul_f32 v[28:29], v[32:33], v[28:29]
	v_ldexp_f32 v20, v24, v31
	v_mul_f32_e32 v24, 0xbfb8aa3b, v35
	v_fma_f32 v25, v35, s22, -v24
	v_rndne_f32_e32 v31, v24
	v_fmac_f32_e32 v25, 0xb2a5705f, v35
	v_sub_f32_e32 v24, v24, v31
	v_add_f32_e32 v24, v24, v25
	v_exp_f32_e32 v24, v24
	v_cvt_i32_f32_e32 v25, v31
	v_cndmask_b32_e32 v20, 0, v20, vcc
	v_cmp_ngt_f32_e32 vcc, s7, v34
	s_nop 1
	v_cndmask_b32_e32 v20, v1, v20, vcc
	v_add_f32_e32 v20, 1.0, v20
	v_rcp_f32_e32 v32, v20
	v_ldexp_f32 v20, v24, v25
	v_cmp_nlt_f32_e32 vcc, s6, v35
	;;#ASMSTART
	v_pk_mul_f32 v[24:25], v[28:29], v[26:27]
	;;#ASMEND
	s_waitcnt vmcnt(2)
	v_lshlrev_b32_e32 v28, 16, v14
	v_mul_f32_e32 v29, 0xbfb8aa3b, v28
	v_cndmask_b32_e32 v20, 0, v20, vcc
	v_cmp_ngt_f32_e32 vcc, s7, v35
	v_and_b32_e32 v27, 0xffff0000, v21
	v_lshlrev_b32_e32 v26, 16, v21
	v_cndmask_b32_e32 v20, v1, v20, vcc
	v_add_f32_e32 v20, 1.0, v20
	v_rcp_f32_e32 v33, v20
	v_fma_f32 v31, v28, s22, -v29
	v_fmac_f32_e32 v31, 0xb2a5705f, v28
	v_cmp_nlt_f32_e32 vcc, s6, v28
	v_pk_mul_f32 v[20:21], v[32:33], v[34:35]
	v_rndne_f32_e32 v32, v29
	v_sub_f32_e32 v29, v29, v32
	v_add_f32_e32 v29, v29, v31
	v_exp_f32_e32 v31, v29
	v_cvt_i32_f32_e32 v32, v32
	v_and_b32_e32 v29, 0xffff0000, v14
	;;#ASMSTART
	v_pk_mul_f32 v[20:21], v[20:21], v[26:27]
	;;#ASMEND
	v_mul_f32_e32 v26, 0xbfb8aa3b, v29
	v_ldexp_f32 v14, v31, v32
	v_fma_f32 v31, v29, s22, -v26
	v_rndne_f32_e32 v32, v26
	v_fmac_f32_e32 v31, 0xb2a5705f, v29
	v_sub_f32_e32 v26, v26, v32
	v_add_f32_e32 v26, v26, v31
	v_exp_f32_e32 v26, v26
	v_cvt_i32_f32_e32 v31, v32
	v_cndmask_b32_e32 v14, 0, v14, vcc
	v_cmp_ngt_f32_e32 vcc, s7, v28
	v_lshlrev_b32_e32 v34, 16, v15
	v_and_b32_e32 v35, 0xffff0000, v15
	v_cndmask_b32_e32 v14, v1, v14, vcc
	v_add_f32_e32 v14, 1.0, v14
	v_rcp_f32_e32 v32, v14
	v_ldexp_f32 v14, v26, v31
	v_cmp_nlt_f32_e32 vcc, s6, v29
	v_and_b32_e32 v27, 0xffff0000, v10
	s_nop 0
	v_cndmask_b32_e32 v14, 0, v14, vcc
	v_cmp_ngt_f32_e32 vcc, s7, v29
	s_nop 1
	v_cndmask_b32_e32 v14, v1, v14, vcc
	v_add_f32_e32 v14, 1.0, v14
	v_rcp_f32_e32 v33, v14
	v_mul_f32_e32 v14, 0xbfb8aa3b, v34
	v_fma_f32 v26, v34, s22, -v14
	v_rndne_f32_e32 v31, v14
	v_fmac_f32_e32 v26, 0xb2a5705f, v34
	v_sub_f32_e32 v14, v14, v31
	v_add_f32_e32 v14, v14, v26
	v_exp_f32_e32 v14, v14
	v_cvt_i32_f32_e32 v31, v31
	v_lshlrev_b32_e32 v26, 16, v10
	v_cmp_nlt_f32_e32 vcc, s6, v34
	v_pk_mul_f32 v[28:29], v[32:33], v[28:29]
	v_ldexp_f32 v10, v14, v31
	v_mul_f32_e32 v14, 0xbfb8aa3b, v35
	v_fma_f32 v15, v35, s22, -v14
	v_rndne_f32_e32 v31, v14
	v_fmac_f32_e32 v15, 0xb2a5705f, v35
	v_sub_f32_e32 v14, v14, v31
	v_add_f32_e32 v14, v14, v15
	v_exp_f32_e32 v14, v14
	v_cvt_i32_f32_e32 v15, v31
	v_cndmask_b32_e32 v10, 0, v10, vcc
	v_cmp_ngt_f32_e32 vcc, s7, v34
	s_nop 1
	v_cndmask_b32_e32 v10, v1, v10, vcc
	v_add_f32_e32 v10, 1.0, v10
	v_rcp_f32_e32 v32, v10
	v_ldexp_f32 v10, v14, v15
	v_cmp_nlt_f32_e32 vcc, s6, v35
	;;#ASMSTART
	v_pk_mul_f32 v[14:15], v[28:29], v[26:27]
	;;#ASMEND
	v_lshlrev_b32_e32 v28, 16, v16
	v_mul_f32_e32 v29, 0xbfb8aa3b, v28
	v_cndmask_b32_e32 v10, 0, v10, vcc
	v_cmp_ngt_f32_e32 vcc, s7, v35
	v_and_b32_e32 v27, 0xffff0000, v11
	v_lshlrev_b32_e32 v26, 16, v11
	v_cndmask_b32_e32 v10, v1, v10, vcc
	v_add_f32_e32 v10, 1.0, v10
	v_rcp_f32_e32 v33, v10
	v_fma_f32 v31, v28, s22, -v29
	v_fmac_f32_e32 v31, 0xb2a5705f, v28
	v_cmp_nlt_f32_e32 vcc, s6, v28
	v_pk_mul_f32 v[10:11], v[32:33], v[34:35]
	v_rndne_f32_e32 v32, v29
	v_sub_f32_e32 v29, v29, v32
	v_add_f32_e32 v29, v29, v31
	v_exp_f32_e32 v31, v29
	v_cvt_i32_f32_e32 v32, v32
	v_and_b32_e32 v29, 0xffff0000, v16
	;;#ASMSTART
	v_pk_mul_f32 v[10:11], v[10:11], v[26:27]
	;;#ASMEND
	v_mul_f32_e32 v26, 0xbfb8aa3b, v29
	v_ldexp_f32 v16, v31, v32
	v_fma_f32 v31, v29, s22, -v26
	v_rndne_f32_e32 v32, v26
	v_fmac_f32_e32 v31, 0xb2a5705f, v29
	v_sub_f32_e32 v26, v26, v32
	v_add_f32_e32 v26, v26, v31
	v_exp_f32_e32 v26, v26
	v_cvt_i32_f32_e32 v31, v32
	v_cndmask_b32_e32 v16, 0, v16, vcc
	v_cmp_ngt_f32_e32 vcc, s7, v28
	v_lshlrev_b32_e32 v34, 16, v17
	v_and_b32_e32 v35, 0xffff0000, v17
	v_cndmask_b32_e32 v16, v1, v16, vcc
	v_add_f32_e32 v16, 1.0, v16
	v_rcp_f32_e32 v32, v16
	v_ldexp_f32 v16, v26, v31
	v_cmp_nlt_f32_e32 vcc, s6, v29
	v_and_b32_e32 v27, 0xffff0000, v12
	s_nop 0
	v_cndmask_b32_e32 v16, 0, v16, vcc
	v_cmp_ngt_f32_e32 vcc, s7, v29
	s_nop 1
	v_cndmask_b32_e32 v16, v1, v16, vcc
	v_add_f32_e32 v16, 1.0, v16
	v_rcp_f32_e32 v33, v16
	v_mul_f32_e32 v16, 0xbfb8aa3b, v34
	v_fma_f32 v26, v34, s22, -v16
	v_rndne_f32_e32 v31, v16
	v_fmac_f32_e32 v26, 0xb2a5705f, v34
	v_sub_f32_e32 v16, v16, v31
	v_add_f32_e32 v16, v16, v26
	v_exp_f32_e32 v16, v16
	v_cvt_i32_f32_e32 v31, v31
	v_lshlrev_b32_e32 v26, 16, v12
	v_cmp_nlt_f32_e32 vcc, s6, v34
	v_pk_mul_f32 v[28:29], v[32:33], v[28:29]
	v_ldexp_f32 v12, v16, v31
	v_mul_f32_e32 v16, 0xbfb8aa3b, v35
	v_fma_f32 v17, v35, s22, -v16
	v_rndne_f32_e32 v31, v16
	v_fmac_f32_e32 v17, 0xb2a5705f, v35
	v_sub_f32_e32 v16, v16, v31
	v_add_f32_e32 v16, v16, v17
	v_exp_f32_e32 v16, v16
	v_cvt_i32_f32_e32 v17, v31
	v_cndmask_b32_e32 v12, 0, v12, vcc
	v_cmp_ngt_f32_e32 vcc, s7, v34
	s_nop 1
	v_cndmask_b32_e32 v12, v1, v12, vcc
	v_add_f32_e32 v12, 1.0, v12
	v_rcp_f32_e32 v32, v12
	v_ldexp_f32 v12, v16, v17
	v_cmp_nlt_f32_e32 vcc, s6, v35
	;;#ASMSTART
	v_pk_mul_f32 v[16:17], v[28:29], v[26:27]
	;;#ASMEND
	s_waitcnt vmcnt(1)
	v_lshlrev_b32_e32 v28, 16, v6
	v_mul_f32_e32 v29, 0xbfb8aa3b, v28
	v_cndmask_b32_e32 v12, 0, v12, vcc
	v_cmp_ngt_f32_e32 vcc, s7, v35
	v_and_b32_e32 v27, 0xffff0000, v13
	v_lshlrev_b32_e32 v26, 16, v13
	v_cndmask_b32_e32 v12, v1, v12, vcc
	v_add_f32_e32 v12, 1.0, v12
	v_rcp_f32_e32 v33, v12
	v_fma_f32 v31, v28, s22, -v29
	v_fmac_f32_e32 v31, 0xb2a5705f, v28
	v_cmp_nlt_f32_e32 vcc, s6, v28
	v_pk_mul_f32 v[12:13], v[32:33], v[34:35]
	v_rndne_f32_e32 v32, v29
	v_sub_f32_e32 v29, v29, v32
	v_add_f32_e32 v29, v29, v31
	v_exp_f32_e32 v31, v29
	v_cvt_i32_f32_e32 v32, v32
	v_and_b32_e32 v29, 0xffff0000, v6
	;;#ASMSTART
	v_pk_mul_f32 v[12:13], v[12:13], v[26:27]
	;;#ASMEND
	v_mul_f32_e32 v26, 0xbfb8aa3b, v29
	v_ldexp_f32 v6, v31, v32
	v_fma_f32 v31, v29, s22, -v26
	v_rndne_f32_e32 v32, v26
	v_fmac_f32_e32 v31, 0xb2a5705f, v29
	v_sub_f32_e32 v26, v26, v32
	v_add_f32_e32 v26, v26, v31
	v_exp_f32_e32 v26, v26
	v_cvt_i32_f32_e32 v31, v32
	v_cndmask_b32_e32 v6, 0, v6, vcc
	v_cmp_ngt_f32_e32 vcc, s7, v28
	v_lshlrev_b32_e32 v34, 16, v7
	v_and_b32_e32 v35, 0xffff0000, v7
	v_cndmask_b32_e32 v6, v1, v6, vcc
	v_add_f32_e32 v6, 1.0, v6
	v_rcp_f32_e32 v32, v6
	v_ldexp_f32 v6, v26, v31
	v_cmp_nlt_f32_e32 vcc, s6, v29
	s_waitcnt vmcnt(0)
	v_and_b32_e32 v27, 0xffff0000, v2
	v_cndmask_b32_e32 v6, 0, v6, vcc
	v_cmp_ngt_f32_e32 vcc, s7, v29
	s_nop 1
	v_cndmask_b32_e32 v6, v1, v6, vcc
	v_add_f32_e32 v6, 1.0, v6
	v_rcp_f32_e32 v33, v6
	v_mul_f32_e32 v6, 0xbfb8aa3b, v34
	v_fma_f32 v26, v34, s22, -v6
	v_rndne_f32_e32 v31, v6
	v_fmac_f32_e32 v26, 0xb2a5705f, v34
	v_sub_f32_e32 v6, v6, v31
	v_add_f32_e32 v6, v6, v26
	v_exp_f32_e32 v6, v6
	v_cvt_i32_f32_e32 v31, v31
	v_lshlrev_b32_e32 v26, 16, v2
	v_cmp_nlt_f32_e32 vcc, s6, v34
	v_pk_mul_f32 v[28:29], v[32:33], v[28:29]
	v_ldexp_f32 v2, v6, v31
	v_mul_f32_e32 v6, 0xbfb8aa3b, v35
	v_fma_f32 v7, v35, s22, -v6
	v_rndne_f32_e32 v31, v6
	v_fmac_f32_e32 v7, 0xb2a5705f, v35
	v_sub_f32_e32 v6, v6, v31
	v_add_f32_e32 v6, v6, v7
	v_exp_f32_e32 v6, v6
	v_cvt_i32_f32_e32 v7, v31
	v_cndmask_b32_e32 v2, 0, v2, vcc
	v_cmp_ngt_f32_e32 vcc, s7, v34
	s_nop 1
	v_cndmask_b32_e32 v2, v1, v2, vcc
	v_add_f32_e32 v2, 1.0, v2
	v_rcp_f32_e32 v32, v2
	v_ldexp_f32 v2, v6, v7
	v_cmp_nlt_f32_e32 vcc, s6, v35
	;;#ASMSTART
	v_pk_mul_f32 v[6:7], v[28:29], v[26:27]
	;;#ASMEND
	v_lshlrev_b32_e32 v28, 16, v8
	v_mul_f32_e32 v29, 0xbfb8aa3b, v28
	v_cndmask_b32_e32 v2, 0, v2, vcc
	v_cmp_ngt_f32_e32 vcc, s7, v35
	v_and_b32_e32 v27, 0xffff0000, v3
	v_lshlrev_b32_e32 v26, 16, v3
	v_cndmask_b32_e32 v2, v1, v2, vcc
	v_add_f32_e32 v2, 1.0, v2
	v_rcp_f32_e32 v33, v2
	v_fma_f32 v31, v28, s22, -v29
	v_fmac_f32_e32 v31, 0xb2a5705f, v28
	v_cmp_nlt_f32_e32 vcc, s6, v28
	v_pk_mul_f32 v[2:3], v[32:33], v[34:35]
	v_rndne_f32_e32 v32, v29
	v_sub_f32_e32 v29, v29, v32
	v_add_f32_e32 v29, v29, v31
	v_exp_f32_e32 v31, v29
	v_cvt_i32_f32_e32 v32, v32
	v_and_b32_e32 v29, 0xffff0000, v8
	;;#ASMSTART
	v_pk_mul_f32 v[2:3], v[2:3], v[26:27]
	;;#ASMEND
	v_mul_f32_e32 v26, 0xbfb8aa3b, v29
	v_ldexp_f32 v8, v31, v32
	v_fma_f32 v31, v29, s22, -v26
	v_rndne_f32_e32 v32, v26
	v_fmac_f32_e32 v31, 0xb2a5705f, v29
	v_sub_f32_e32 v26, v26, v32
	v_add_f32_e32 v26, v26, v31
	v_exp_f32_e32 v26, v26
	v_cvt_i32_f32_e32 v31, v32
	v_cndmask_b32_e32 v8, 0, v8, vcc
	v_cmp_ngt_f32_e32 vcc, s7, v28
	v_lshlrev_b32_e32 v34, 16, v9
	v_and_b32_e32 v35, 0xffff0000, v9
	v_cndmask_b32_e32 v8, v1, v8, vcc
	v_add_f32_e32 v8, 1.0, v8
	v_rcp_f32_e32 v32, v8
	v_ldexp_f32 v8, v26, v31
	v_cmp_nlt_f32_e32 vcc, s6, v29
	v_and_b32_e32 v27, 0xffff0000, v4
	s_nop 0
	v_cndmask_b32_e32 v8, 0, v8, vcc
	v_cmp_ngt_f32_e32 vcc, s7, v29
	s_nop 1
	v_cndmask_b32_e32 v8, v1, v8, vcc
	v_add_f32_e32 v8, 1.0, v8
	v_rcp_f32_e32 v33, v8
	v_mul_f32_e32 v8, 0xbfb8aa3b, v34
	v_fma_f32 v26, v34, s22, -v8
	v_rndne_f32_e32 v31, v8
	v_fmac_f32_e32 v26, 0xb2a5705f, v34
	v_sub_f32_e32 v8, v8, v31
	v_add_f32_e32 v8, v8, v26
	v_exp_f32_e32 v8, v8
	v_cvt_i32_f32_e32 v31, v31
	v_lshlrev_b32_e32 v26, 16, v4
	v_cmp_nlt_f32_e32 vcc, s6, v34
	v_pk_mul_f32 v[28:29], v[32:33], v[28:29]
	v_ldexp_f32 v4, v8, v31
	v_mul_f32_e32 v8, 0xbfb8aa3b, v35
	v_fma_f32 v9, v35, s22, -v8
	v_rndne_f32_e32 v31, v8
	v_fmac_f32_e32 v9, 0xb2a5705f, v35
	v_sub_f32_e32 v8, v8, v31
	v_add_f32_e32 v8, v8, v9
	v_exp_f32_e32 v8, v8
	v_cvt_i32_f32_e32 v9, v31
	v_cndmask_b32_e32 v4, 0, v4, vcc
	v_cmp_ngt_f32_e32 vcc, s7, v34
	s_nop 1
	v_cndmask_b32_e32 v4, v1, v4, vcc
	v_add_f32_e32 v4, 1.0, v4
	v_rcp_f32_e32 v32, v4
	v_ldexp_f32 v4, v8, v9
	v_cmp_nlt_f32_e32 vcc, s6, v35
	;;#ASMSTART
	v_pk_mul_f32 v[8:9], v[28:29], v[26:27]
	;;#ASMEND
	v_and_b32_e32 v27, 0xffff0000, v5
	v_lshlrev_b32_e32 v26, 16, v5
	v_cndmask_b32_e32 v4, 0, v4, vcc
	v_cmp_ngt_f32_e32 vcc, s7, v35
	s_mul_hi_i32 s6, s17, 0x2aaaaaab
	s_lshr_b32 s7, s6, 31
	v_cndmask_b32_e32 v1, v1, v4, vcc
	v_add_f32_e32 v1, 1.0, v1
	v_rcp_f32_e32 v33, v1
	v_and_b32_e32 v1, 0x7fffffff, v22
	s_ashr_i32 s8, s6, 2
	s_add_i32 s8, s8, s7
	v_pk_mul_f32 v[4:5], v[32:33], v[34:35]
	s_cmp_lt_i32 s8, 16
	;;#ASMSTART
	v_pk_mul_f32 v[4:5], v[4:5], v[26:27]
	;;#ASMEND
	v_and_b32_e32 v26, 0x7fffffff, v23
	v_mov_b32_e32 v27, 0x2edbe6ff
	;;#ASMSTART
	v_max3_f32 v1, v27, v1, v26

	;;#ASMEND
	v_and_b32_e32 v26, 0x7fffffff, v18
	v_and_b32_e32 v27, 0x7fffffff, v19
	;;#ASMSTART
	v_max3_f32 v1, v1, v26, v27

	;;#ASMEND
	v_and_b32_e32 v26, 0x7fffffff, v24
	v_and_b32_e32 v27, 0x7fffffff, v25
	;; [unrolled: 6-line block ×11, first 2 shown]
	;;#ASMSTART
	v_max3_f32 v1, v1, v26, v27

	;;#ASMEND
	s_cbranch_scc1 .LBB538_7
; %bb.2:
	s_cmp_lt_i32 s8, 32
	s_cbranch_scc1 .LBB538_8
; %bb.3:
	s_cmp_lt_i32 s8, 64
	s_cbranch_scc1 .LBB538_9
; %bb.4:
	s_cmp_eq_u32 s8, 64
	v_mov_b32_e32 v26, v1
	s_cbranch_scc0 .LBB538_6
; %bb.5:
	s_nop 0
	v_mov_b32_dpp v26, v1 quad_perm:[1,0,3,2] row_mask:0xf bank_mask:0xf
	v_cmp_gt_f32_e32 vcc, v1, v26
	v_bfrev_b32_e32 v28, 0.5
	s_nop 0
	v_cndmask_b32_e32 v26, v26, v1, vcc
	s_nop 1
	v_mov_b32_dpp v27, v26 quad_perm:[2,3,0,1] row_mask:0xf bank_mask:0xf
	v_cmp_gt_f32_e32 vcc, v26, v27
	s_nop 1
	v_cndmask_b32_e32 v26, v27, v26, vcc
	s_nop 1
	v_mov_b32_dpp v27, v26 row_ror:4 row_mask:0xf bank_mask:0xf
	v_cmp_gt_f32_e32 vcc, v26, v27
	s_nop 1
	v_cndmask_b32_e32 v26, v27, v26, vcc
	s_nop 1
	v_mov_b32_dpp v27, v26 row_ror:8 row_mask:0xf bank_mask:0xf
	v_cmp_gt_f32_e32 vcc, v26, v27
	s_nop 1
	v_cndmask_b32_e32 v26, v27, v26, vcc
	s_nop 1
	v_mov_b32_dpp v27, v26 row_bcast:15 row_mask:0xf bank_mask:0xf
	v_cmp_gt_f32_e32 vcc, v26, v27
	s_nop 1
	v_cndmask_b32_e32 v26, v27, v26, vcc
	s_nop 1
	v_mov_b32_dpp v27, v26 row_bcast:31 row_mask:0xf bank_mask:0xf
	v_cmp_gt_f32_e32 vcc, v26, v27
	s_nop 1
	v_cndmask_b32_e32 v26, v27, v26, vcc
	v_mbcnt_lo_u32_b32 v27, -1, 0
	v_mbcnt_hi_u32_b32 v27, -1, v27
	v_lshl_or_b32 v27, v27, 2, v28
	ds_bpermute_b32 v26, v27, v26
.LBB538_6:
	s_cbranch_execz .LBB538_10
	s_branch .LBB538_12
.LBB538_7:
                                        ; implicit-def: $vgpr26
	s_branch .LBB538_16
.LBB538_8:
                                        ; implicit-def: $vgpr26
	s_branch .LBB538_13
.LBB538_9:
                                        ; implicit-def: $vgpr26
.LBB538_10:
	s_cmp_eq_u32 s8, 32
	s_waitcnt lgkmcnt(0)
	v_mov_b32_e32 v26, v1
	s_cbranch_scc0 .LBB538_12
; %bb.11:
	s_nop 0
	v_mov_b32_dpp v26, v1 quad_perm:[1,0,3,2] row_mask:0xf bank_mask:0xf
	v_cmp_gt_f32_e32 vcc, v1, v26
	v_mov_b32_e32 v28, 0x7c
	s_nop 0
	v_cndmask_b32_e32 v26, v26, v1, vcc
	s_nop 1
	v_mov_b32_dpp v27, v26 quad_perm:[2,3,0,1] row_mask:0xf bank_mask:0xf
	v_cmp_gt_f32_e32 vcc, v26, v27
	s_nop 1
	v_cndmask_b32_e32 v26, v27, v26, vcc
	s_nop 1
	v_mov_b32_dpp v27, v26 row_half_mirror row_mask:0xf bank_mask:0xf
	v_cmp_gt_f32_e32 vcc, v26, v27
	s_nop 1
	v_cndmask_b32_e32 v26, v27, v26, vcc
	s_nop 1
	v_mov_b32_dpp v27, v26 row_mirror row_mask:0xf bank_mask:0xf
	v_cmp_gt_f32_e32 vcc, v26, v27
	s_nop 1
	v_cndmask_b32_e32 v26, v27, v26, vcc
	s_nop 1
	v_mov_b32_dpp v27, v26 row_bcast:15 row_mask:0xa bank_mask:0xf
	v_cmp_gt_f32_e32 vcc, v26, v27
	s_nop 1
	v_cndmask_b32_e32 v26, v27, v26, vcc
	v_mbcnt_lo_u32_b32 v27, -1, 0
	v_mbcnt_hi_u32_b32 v27, -1, v27
	v_lshl_or_b32 v27, v27, 2, v28
	ds_bpermute_b32 v26, v27, v26
.LBB538_12:
	s_cbranch_execnz .LBB538_15
.LBB538_13:
	s_cmp_eq_u32 s8, 16
	s_waitcnt lgkmcnt(0)
	v_mov_b32_e32 v26, v1
	s_cbranch_scc0 .LBB538_15
; %bb.14:
	s_nop 0
	v_mov_b32_dpp v26, v1 quad_perm:[1,0,3,2] row_mask:0xf bank_mask:0xf
	v_cmp_gt_f32_e32 vcc, v1, v26
	s_nop 1
	v_cndmask_b32_e32 v26, v26, v1, vcc
	s_nop 1
	v_mov_b32_dpp v27, v26 quad_perm:[2,3,0,1] row_mask:0xf bank_mask:0xf
	v_cmp_gt_f32_e32 vcc, v26, v27
	s_nop 1
	v_cndmask_b32_e32 v26, v27, v26, vcc
	s_nop 1
	v_mov_b32_dpp v27, v26 row_half_mirror row_mask:0xf bank_mask:0xf
	v_cmp_gt_f32_e32 vcc, v26, v27
	s_nop 1
	v_cndmask_b32_e32 v26, v27, v26, vcc
	s_nop 1
	v_mov_b32_dpp v27, v26 row_mirror row_mask:0xf bank_mask:0xf
	v_cmp_gt_f32_e32 vcc, v26, v27
	s_nop 1
	v_cndmask_b32_e32 v26, v27, v26, vcc
.LBB538_15:
	s_cbranch_execnz .LBB538_29
.LBB538_16:
	s_cmp_lt_i32 s8, 4
	s_cbranch_scc1 .LBB538_20
; %bb.17:
	s_cmp_lt_i32 s8, 8
	s_cbranch_scc1 .LBB538_21
; %bb.18:
	s_cmp_eq_u32 s8, 8
	s_waitcnt lgkmcnt(0)
	v_mov_b32_e32 v26, v1
	s_cbranch_scc0 .LBB538_22
; %bb.19:
	s_nop 0
	v_mov_b32_dpp v26, v1 quad_perm:[1,0,3,2] row_mask:0xf bank_mask:0xf
	v_cmp_gt_f32_e32 vcc, v1, v26
	s_nop 1
	v_cndmask_b32_e32 v26, v26, v1, vcc
	s_nop 1
	v_mov_b32_dpp v27, v26 quad_perm:[2,3,0,1] row_mask:0xf bank_mask:0xf
	v_cmp_gt_f32_e32 vcc, v26, v27
	s_nop 1
	v_cndmask_b32_e32 v26, v27, v26, vcc
	s_nop 1
	v_mov_b32_dpp v27, v26 row_half_mirror row_mask:0xf bank_mask:0xf
	v_cmp_gt_f32_e32 vcc, v26, v27
	s_nop 1
	v_cndmask_b32_e32 v26, v27, v26, vcc
	s_cbranch_execz .LBB538_23
	s_branch .LBB538_25
.LBB538_20:
                                        ; implicit-def: $vgpr26
	s_branch .LBB538_26
.LBB538_21:
                                        ; implicit-def: $vgpr26
	s_branch .LBB538_23
.LBB538_22:
	s_cbranch_execnz .LBB538_25
.LBB538_23:
	s_cmp_eq_u32 s8, 4
	s_waitcnt lgkmcnt(0)
	v_mov_b32_e32 v26, v1
	s_cbranch_scc0 .LBB538_25
; %bb.24:
	s_nop 0
	v_mov_b32_dpp v26, v1 quad_perm:[1,0,3,2] row_mask:0xf bank_mask:0xf
	v_cmp_gt_f32_e32 vcc, v1, v26
	s_nop 1
	v_cndmask_b32_e32 v26, v26, v1, vcc
	s_nop 1
	v_mov_b32_dpp v27, v26 quad_perm:[2,3,0,1] row_mask:0xf bank_mask:0xf
	v_cmp_gt_f32_e32 vcc, v26, v27
	s_nop 1
	v_cndmask_b32_e32 v26, v27, v26, vcc
.LBB538_25:
	s_cbranch_execnz .LBB538_29
.LBB538_26:
	s_cmp_lg_u32 s8, 2
	s_cbranch_scc1 .LBB538_28
; %bb.27:
	s_waitcnt lgkmcnt(0)
	v_mov_b32_dpp v26, v1 quad_perm:[1,0,3,2] row_mask:0xf bank_mask:0xf
	v_cmp_gt_f32_e32 vcc, v1, v26
	s_nop 1
	v_cndmask_b32_e32 v1, v26, v1, vcc
.LBB538_28:
	s_waitcnt lgkmcnt(0)
	v_mov_b32_e32 v26, v1
.LBB538_29:
	s_abs_i32 s6, s8
	v_cvt_f32_u32_e32 v1, s6
	s_sub_i32 s9, 0, s6
	s_waitcnt lgkmcnt(0)
	v_mul_f32_e32 v28, 0x3b888889, v26
	s_ashr_i32 s7, s8, 31
	v_rcp_iflag_f32_e32 v1, v1
	s_nop 0
	v_mul_f32_e32 v1, 0x4f7ffffe, v1
	v_cvt_u32_f32_e32 v1, v1
	v_mul_lo_u32 v26, s9, v1
	v_mul_hi_u32 v26, v1, v26
	v_add_u32_e32 v1, v1, v26
	v_mul_hi_u32 v1, v0, v1
	v_mul_lo_u32 v26, v1, s6
	v_sub_u32_e32 v26, v0, v26
	v_add_u32_e32 v27, 1, v1
	v_cmp_le_u32_e32 vcc, s6, v26
	s_nop 1
	v_cndmask_b32_e32 v1, v1, v27, vcc
	v_subrev_u32_e32 v27, s6, v26
	v_cndmask_b32_e32 v26, v26, v27, vcc
	v_add_u32_e32 v27, 1, v1
	v_cmp_le_u32_e32 vcc, s6, v26
	s_nop 1
	v_cndmask_b32_e32 v1, v1, v27, vcc
	v_xor_b32_e32 v1, s7, v1
	v_subrev_u32_e32 v26, s7, v1
	v_mul_lo_u32 v1, v26, s8
	v_sub_u32_e32 v0, v0, v1
	v_cmp_eq_u32_e32 vcc, 0, v0
	s_and_saveexec_b64 s[6:7], vcc
	s_cbranch_execz .LBB538_35
; %bb.30:
	s_load_dword s8, s[0:1], 0x24
	s_waitcnt lgkmcnt(0)
	s_bitcmp0_b32 s8, 0
	s_cbranch_scc0 .LBB538_32
; %bb.31:
	s_abs_i32 s8, s17
	v_cvt_f32_u32_e32 v0, s8
	s_sub_i32 s11, 0, s8
	s_abs_i32 s10, s18
	s_xor_b32 s9, s18, s17
	v_rcp_iflag_f32_e32 v0, v0
	s_ashr_i32 s9, s9, 31
	v_ashrrev_i32_e32 v27, 31, v26
	v_mov_b32_e32 v1, s2
	v_mul_f32_e32 v0, 0x4f7ffffe, v0
	v_cvt_u32_f32_e32 v0, v0
	s_nop 0
	v_readfirstlane_b32 s12, v0
	s_mul_i32 s11, s11, s12
	s_mul_hi_u32 s11, s12, s11
	s_add_i32 s12, s12, s11
	s_mul_hi_u32 s11, s10, s12
	s_mul_i32 s12, s11, s8
	s_sub_i32 s10, s10, s12
	s_add_i32 s13, s11, 1
	s_sub_i32 s12, s10, s8
	s_cmp_ge_u32 s10, s8
	s_cselect_b32 s11, s13, s11
	s_cselect_b32 s10, s12, s10
	s_add_i32 s12, s11, 1
	s_cmp_ge_u32 s10, s8
	s_cselect_b32 s8, s12, s11
	s_xor_b32 s8, s8, s9
	s_sub_i32 s8, s8, s9
	s_ashr_i32 s9, s8, 31
	s_mul_i32 s10, s9, s2
	v_mad_u64_u32 v[0:1], s[8:9], s8, v1, v[26:27]
	v_add_u32_e32 v1, s10, v1
	s_cbranch_execz .LBB538_33
	s_branch .LBB538_34
.LBB538_32:
                                        ; implicit-def: $vgpr0_vgpr1
.LBB538_33:
	s_load_dword s0, s[0:1], 0x28
	v_mov_b32_e32 v1, 0
	s_waitcnt lgkmcnt(0)
	v_mul_lo_u32 v0, s0, v26
	v_lshl_add_u64 v[0:1], v[0:1], 0, s[2:3]
.LBB538_34:
	v_lshl_add_u64 v[0:1], v[0:1], 2, s[20:21]
	global_store_dword v[0:1], v28, off
.LBB538_35:
	s_or_b64 exec, exec, s[6:7]
	s_add_i32 s0, s16, 3
	s_ashr_i32 s1, s0, 31
	s_lshr_b32 s1, s1, 30
	s_add_i32 s0, s0, s1
	s_and_b32 s6, s0, -4
	s_mul_i32 s0, s19, s2
	s_mul_hi_u32 s1, s18, s2
	s_add_i32 s1, s1, s0
	s_mul_i32 s0, s18, s2
	s_add_u32 s4, s4, s0
	;;#ASMSTART
	v_rcp_f32 v0, v28
	;;#ASMEND
	s_addc_u32 s0, s5, s1
	v_mov_b32_e32 v1, v0
	;;#ASMSTART
	v_pk_mul_f32 v[22:23], v[22:23], v[0:1]
	;;#ASMEND
	v_mov_b32_e32 v26, 0xc3700000
	v_mov_b32_e32 v27, 0x43700000
	;;#ASMSTART
	v_med3_f32 v22, v22, v26, v27
v_med3_f32 v23, v23, v26, v27
v_cvt_pk_fp8_f32 v28, v22, v23
	;;#ASMEND
	;;#ASMSTART
	v_pk_mul_f32 v[18:19], v[18:19], v[0:1]
	;;#ASMEND
	s_and_b32 s5, s0, 0xffff
	;;#ASMSTART
	v_med3_f32 v18, v18, v26, v27
v_med3_f32 v19, v19, v26, v27
v_cvt_pk_fp8_f32 v22, v18, v19
	;;#ASMEND
	s_mov_b32 s0, 0x5040100
	v_perm_b32 v19, v22, v28, s0
	s_movk_i32 s2, 0xff
	v_and_b32_e32 v18, 0xffffff00, v22
	v_and_b32_sdwa v22, v19, s2 dst_sel:DWORD dst_unused:UNUSED_PAD src0_sel:WORD_1 src1_sel:DWORD
	s_mov_b32 s1, 0xffff
	v_or_b32_sdwa v18, v22, v18 dst_sel:WORD_1 dst_unused:UNUSED_PAD src0_sel:DWORD src1_sel:DWORD
	;;#ASMSTART
	v_pk_mul_f32 v[22:23], v[24:25], v[0:1]
	;;#ASMEND
	s_mov_b32 s7, 0x20000
	v_and_or_b32 v18, v19, s1, v18
	v_mov_b32_e32 v19, v23
	;;#ASMSTART
	v_med3_f32 v22, v22, v26, v27
v_med3_f32 v19, v19, v26, v27
v_cvt_pk_fp8_f32 v23, v22, v19
	;;#ASMEND
	;;#ASMSTART
	v_pk_mul_f32 v[20:21], v[20:21], v[0:1]
	;;#ASMEND
	s_nop 0
	v_mov_b32_e32 v19, v21
	;;#ASMSTART
	v_med3_f32 v20, v20, v26, v27
v_med3_f32 v19, v19, v26, v27
v_cvt_pk_fp8_f32 v21, v20, v19
	;;#ASMEND
	s_nop 0
	v_lshlrev_b32_e32 v19, 16, v21
	v_and_or_b32 v19, v23, s1, v19
	buffer_store_dwordx2 v[18:19], v30, s[4:7], 0 offen
	;;#ASMSTART
	s_nop 0
	;;#ASMEND
	;;#ASMSTART
	v_pk_mul_f32 v[14:15], v[14:15], v[0:1]
	;;#ASMEND
	s_nop 0
	;;#ASMSTART
	v_med3_f32 v14, v14, v26, v27
v_med3_f32 v15, v15, v26, v27
v_cvt_pk_fp8_f32 v18, v14, v15
	;;#ASMEND
	;;#ASMSTART
	v_pk_mul_f32 v[10:11], v[10:11], v[0:1]
	;;#ASMEND
	s_nop 0
	;;#ASMSTART
	v_med3_f32 v10, v10, v26, v27
v_med3_f32 v11, v11, v26, v27
v_cvt_pk_fp8_f32 v14, v10, v11
	;;#ASMEND
	s_nop 0
	v_perm_b32 v11, v14, v18, s0
	v_and_b32_e32 v10, 0xffffff00, v14
	v_and_b32_sdwa v14, v11, s2 dst_sel:DWORD dst_unused:UNUSED_PAD src0_sel:WORD_1 src1_sel:DWORD
	v_or_b32_sdwa v10, v14, v10 dst_sel:WORD_1 dst_unused:UNUSED_PAD src0_sel:DWORD src1_sel:DWORD
	;;#ASMSTART
	v_pk_mul_f32 v[14:15], v[16:17], v[0:1]
	;;#ASMEND
	s_nop 0
	v_and_or_b32 v10, v11, s1, v10
	v_mov_b32_e32 v11, v15
	;;#ASMSTART
	v_med3_f32 v14, v14, v26, v27
v_med3_f32 v11, v11, v26, v27
v_cvt_pk_fp8_f32 v15, v14, v11
	;;#ASMEND
	;;#ASMSTART
	v_pk_mul_f32 v[12:13], v[12:13], v[0:1]
	;;#ASMEND
	s_nop 0
	v_mov_b32_e32 v11, v13
	;;#ASMSTART
	v_med3_f32 v12, v12, v26, v27
v_med3_f32 v11, v11, v26, v27
v_cvt_pk_fp8_f32 v13, v12, v11
	;;#ASMEND
	s_nop 0
	v_lshlrev_b32_e32 v11, 16, v13
	v_and_or_b32 v11, v15, s1, v11
	buffer_store_dwordx2 v[10:11], v30, s[4:7], 8 offen
	;;#ASMSTART
	s_nop 0
	;;#ASMEND
	;;#ASMSTART
	v_pk_mul_f32 v[6:7], v[6:7], v[0:1]
	;;#ASMEND
	s_nop 0
	;;#ASMSTART
	v_med3_f32 v6, v6, v26, v27
v_med3_f32 v7, v7, v26, v27
v_cvt_pk_fp8_f32 v10, v6, v7
	;;#ASMEND
	;;#ASMSTART
	v_pk_mul_f32 v[2:3], v[2:3], v[0:1]
	;;#ASMEND
	s_nop 0
	;;#ASMSTART
	v_med3_f32 v2, v2, v26, v27
v_med3_f32 v3, v3, v26, v27
v_cvt_pk_fp8_f32 v6, v2, v3
	;;#ASMEND
	s_nop 0
	v_perm_b32 v3, v6, v10, s0
	v_and_b32_e32 v2, 0xffffff00, v6
	v_and_b32_sdwa v6, v3, s2 dst_sel:DWORD dst_unused:UNUSED_PAD src0_sel:WORD_1 src1_sel:DWORD
	v_or_b32_sdwa v2, v6, v2 dst_sel:WORD_1 dst_unused:UNUSED_PAD src0_sel:DWORD src1_sel:DWORD
	;;#ASMSTART
	v_pk_mul_f32 v[6:7], v[8:9], v[0:1]
	;;#ASMEND
	s_nop 0
	v_and_or_b32 v2, v3, s1, v2
	v_mov_b32_e32 v3, v7
	;;#ASMSTART
	v_med3_f32 v6, v6, v26, v27
v_med3_f32 v3, v3, v26, v27
v_cvt_pk_fp8_f32 v7, v6, v3
	;;#ASMEND
	;;#ASMSTART
	v_pk_mul_f32 v[0:1], v[4:5], v[0:1]
	;;#ASMEND
	s_nop 0
	;;#ASMSTART
	v_med3_f32 v0, v0, v26, v27
v_med3_f32 v1, v1, v26, v27
v_cvt_pk_fp8_f32 v3, v0, v1
	;;#ASMEND
	s_nop 0
	v_lshlrev_b32_e32 v0, 16, v3
	v_and_or_b32 v3, v7, s1, v0
	buffer_store_dwordx2 v[2:3], v30, s[4:7], 16 offen
	;;#ASMSTART
	s_nop 0
	;;#ASMEND
.LBB538_36:
	s_endpgm
	.section	.rodata,"a",@progbits
	.p2align	6, 0x0
	.amdhsa_kernel _ZN5aiter24act_and_mul_quant_kernelItDB8_TnPFfRKT_EXadL_ZNS_11silu_kernelItEEfS4_EELi256ELi24ELb0EEEvPT0_PS3_Pfiifb
		.amdhsa_group_segment_fixed_size 0
		.amdhsa_private_segment_fixed_size 0
		.amdhsa_kernarg_size 296
		.amdhsa_user_sgpr_count 2
		.amdhsa_user_sgpr_dispatch_ptr 0
		.amdhsa_user_sgpr_queue_ptr 0
		.amdhsa_user_sgpr_kernarg_segment_ptr 1
		.amdhsa_user_sgpr_dispatch_id 0
		.amdhsa_user_sgpr_kernarg_preload_length 0
		.amdhsa_user_sgpr_kernarg_preload_offset 0
		.amdhsa_user_sgpr_private_segment_size 0
		.amdhsa_uses_dynamic_stack 0
		.amdhsa_enable_private_segment 0
		.amdhsa_system_sgpr_workgroup_id_x 1
		.amdhsa_system_sgpr_workgroup_id_y 0
		.amdhsa_system_sgpr_workgroup_id_z 0
		.amdhsa_system_sgpr_workgroup_info 0
		.amdhsa_system_vgpr_workitem_id 0
		.amdhsa_next_free_vgpr 47
		.amdhsa_next_free_sgpr 23
		.amdhsa_accum_offset 48
		.amdhsa_reserve_vcc 1
		.amdhsa_float_round_mode_32 0
		.amdhsa_float_round_mode_16_64 0
		.amdhsa_float_denorm_mode_32 3
		.amdhsa_float_denorm_mode_16_64 3
		.amdhsa_dx10_clamp 1
		.amdhsa_ieee_mode 1
		.amdhsa_fp16_overflow 0
		.amdhsa_tg_split 0
		.amdhsa_exception_fp_ieee_invalid_op 0
		.amdhsa_exception_fp_denorm_src 0
		.amdhsa_exception_fp_ieee_div_zero 0
		.amdhsa_exception_fp_ieee_overflow 0
		.amdhsa_exception_fp_ieee_underflow 0
		.amdhsa_exception_fp_ieee_inexact 0
		.amdhsa_exception_int_div_zero 0
	.end_amdhsa_kernel
	.section	.text._ZN5aiter24act_and_mul_quant_kernelItDB8_TnPFfRKT_EXadL_ZNS_11silu_kernelItEEfS4_EELi256ELi24ELb0EEEvPT0_PS3_Pfiifb,"axG",@progbits,_ZN5aiter24act_and_mul_quant_kernelItDB8_TnPFfRKT_EXadL_ZNS_11silu_kernelItEEfS4_EELi256ELi24ELb0EEEvPT0_PS3_Pfiifb,comdat
.Lfunc_end538:
	.size	_ZN5aiter24act_and_mul_quant_kernelItDB8_TnPFfRKT_EXadL_ZNS_11silu_kernelItEEfS4_EELi256ELi24ELb0EEEvPT0_PS3_Pfiifb, .Lfunc_end538-_ZN5aiter24act_and_mul_quant_kernelItDB8_TnPFfRKT_EXadL_ZNS_11silu_kernelItEEfS4_EELi256ELi24ELb0EEEvPT0_PS3_Pfiifb
                                        ; -- End function
	.section	.AMDGPU.csdata,"",@progbits
; Kernel info:
; codeLenInByte = 4848
; NumSgprs: 29
; NumVgprs: 47
; NumAgprs: 0
; TotalNumVgprs: 47
; ScratchSize: 0
; MemoryBound: 0
; FloatMode: 240
; IeeeMode: 1
; LDSByteSize: 0 bytes/workgroup (compile time only)
; SGPRBlocks: 3
; VGPRBlocks: 5
; NumSGPRsForWavesPerEU: 29
; NumVGPRsForWavesPerEU: 47
; AccumOffset: 48
; Occupancy: 8
; WaveLimiterHint : 0
; COMPUTE_PGM_RSRC2:SCRATCH_EN: 0
; COMPUTE_PGM_RSRC2:USER_SGPR: 2
; COMPUTE_PGM_RSRC2:TRAP_HANDLER: 0
; COMPUTE_PGM_RSRC2:TGID_X_EN: 1
; COMPUTE_PGM_RSRC2:TGID_Y_EN: 0
; COMPUTE_PGM_RSRC2:TGID_Z_EN: 0
; COMPUTE_PGM_RSRC2:TIDIG_COMP_CNT: 0
; COMPUTE_PGM_RSRC3_GFX90A:ACCUM_OFFSET: 11
; COMPUTE_PGM_RSRC3_GFX90A:TG_SPLIT: 0
	.section	.text._ZN5aiter24act_and_mul_quant_kernelIDF16_DB8_TnPFfRKT_EXadL_ZNS_11silu_kernelIDF16_EEfS4_EELi256ELi32ELb0EEEvPT0_PS3_Pfiifb,"axG",@progbits,_ZN5aiter24act_and_mul_quant_kernelIDF16_DB8_TnPFfRKT_EXadL_ZNS_11silu_kernelIDF16_EEfS4_EELi256ELi32ELb0EEEvPT0_PS3_Pfiifb,comdat
	.protected	_ZN5aiter24act_and_mul_quant_kernelIDF16_DB8_TnPFfRKT_EXadL_ZNS_11silu_kernelIDF16_EEfS4_EELi256ELi32ELb0EEEvPT0_PS3_Pfiifb ; -- Begin function _ZN5aiter24act_and_mul_quant_kernelIDF16_DB8_TnPFfRKT_EXadL_ZNS_11silu_kernelIDF16_EEfS4_EELi256ELi32ELb0EEEvPT0_PS3_Pfiifb
	.globl	_ZN5aiter24act_and_mul_quant_kernelIDF16_DB8_TnPFfRKT_EXadL_ZNS_11silu_kernelIDF16_EEfS4_EELi256ELi32ELb0EEEvPT0_PS3_Pfiifb
	.p2align	8
	.type	_ZN5aiter24act_and_mul_quant_kernelIDF16_DB8_TnPFfRKT_EXadL_ZNS_11silu_kernelIDF16_EEfS4_EELi256ELi32ELb0EEEvPT0_PS3_Pfiifb,@function
_ZN5aiter24act_and_mul_quant_kernelIDF16_DB8_TnPFfRKT_EXadL_ZNS_11silu_kernelIDF16_EEfS4_EELi256ELi32ELb0EEEvPT0_PS3_Pfiifb: ; @_ZN5aiter24act_and_mul_quant_kernelIDF16_DB8_TnPFfRKT_EXadL_ZNS_11silu_kernelIDF16_EEfS4_EELi256ELi32ELb0EEEvPT0_PS3_Pfiifb
; %bb.0:
	s_load_dwordx2 s[16:17], s[0:1], 0x18
	v_lshlrev_b32_e32 v38, 5, v0
	s_waitcnt lgkmcnt(0)
	v_cmp_gt_i32_e32 vcc, s16, v38
	s_and_saveexec_b64 s[4:5], vcc
	s_cbranch_execz .LBB539_36
; %bb.1:
	s_load_dwordx4 s[4:7], s[0:1], 0x0
	s_load_dwordx2 s[20:21], s[0:1], 0x10
	s_ashr_i32 s19, s16, 31
	s_mul_hi_u32 s3, s2, s16
	s_mul_i32 s8, s2, s19
	s_add_i32 s9, s3, s8
	s_mul_i32 s8, s2, s16
	s_lshl_b64 s[8:9], s[8:9], 2
	s_mov_b32 s18, s16
	s_waitcnt lgkmcnt(0)
	s_add_u32 s8, s6, s8
	s_addc_u32 s3, s7, s9
	s_lshl_b64 s[6:7], s[18:19], 1
	s_add_u32 s12, s8, s6
	s_addc_u32 s6, s3, s7
	s_lshl_b32 s7, s16, 1
	s_add_i32 s7, s7, 2
	s_and_b32 s14, s7, -4
	s_mov_b32 s15, 0x20000
	s_and_b32 s13, s6, 0xffff
	v_lshlrev_b32_e32 v34, 6, v0
	s_and_b32 s9, s3, 0xffff
	s_mov_b32 s10, s14
	s_mov_b32 s11, s15
	buffer_load_dwordx4 v[26:29], v34, s[12:15], 0 offen sc0 nt
	buffer_load_dwordx4 v[30:33], v34, s[8:11], 0 offen sc0 nt
	;; [unrolled: 1-line block ×8, first 2 shown]
	s_mov_b32 s7, 0xbfb8aa3b
	s_mov_b32 s23, 0xb2a5705f
	;; [unrolled: 1-line block ×4, first 2 shown]
	v_mov_b32_e32 v1, 0x7f800000
	s_mov_b32 s3, 0
	s_waitcnt vmcnt(7)
	v_cvt_f32_f16_e32 v34, v26
	s_waitcnt vmcnt(6)
	v_cvt_f32_f16_e32 v40, v30
	v_cvt_f32_f16_sdwa v41, v30 dst_sel:DWORD dst_unused:UNUSED_PAD src0_sel:WORD_1
	v_cvt_f32_f16_e32 v42, v31
	v_cvt_f32_f16_sdwa v43, v31 dst_sel:DWORD dst_unused:UNUSED_PAD src0_sel:WORD_1
	v_mul_f32_e32 v37, 0xbfb8aa3b, v40
	v_mul_f32_e32 v39, 0xbfb8aa3b, v41
	v_fma_mix_f32 v47, v30, s7, -v37 op_sel_hi:[1,0,0]
	v_rndne_f32_e32 v48, v37
	v_mul_f32_e32 v44, 0xbfb8aa3b, v42
	v_fma_mix_f32 v49, v30, s7, -v39 op_sel:[1,0,0] op_sel_hi:[1,0,0]
	v_rndne_f32_e32 v50, v39
	v_fma_mix_f32 v47, v30, s23, v47 op_sel_hi:[1,0,0]
	v_sub_f32_e32 v37, v37, v48
	v_mul_f32_e32 v45, 0xbfb8aa3b, v43
	v_fma_mix_f32 v51, v31, s7, -v44 op_sel_hi:[1,0,0]
	v_rndne_f32_e32 v52, v44
	v_fma_mix_f32 v30, v30, s23, v49 op_sel:[1,0,0] op_sel_hi:[1,0,0]
	v_sub_f32_e32 v39, v39, v50
	v_add_f32_e32 v37, v37, v47
	v_fma_mix_f32 v53, v31, s7, -v45 op_sel:[1,0,0] op_sel_hi:[1,0,0]
	v_rndne_f32_e32 v54, v45
	v_cvt_i32_f32_e32 v48, v48
	v_cvt_i32_f32_e32 v49, v50
	v_fma_mix_f32 v50, v31, s23, v51 op_sel_hi:[1,0,0]
	v_sub_f32_e32 v44, v44, v52
	v_add_f32_e32 v30, v39, v30
	v_exp_f32_e32 v37, v37
	v_fma_mix_f32 v31, v31, s23, v53 op_sel:[1,0,0] op_sel_hi:[1,0,0]
	v_sub_f32_e32 v45, v45, v54
	v_add_f32_e32 v39, v44, v50
	v_exp_f32_e32 v30, v30
	v_cvt_i32_f32_e32 v51, v52
	v_add_f32_e32 v31, v45, v31
	v_exp_f32_e32 v39, v39
	v_cvt_i32_f32_e32 v52, v54
	v_exp_f32_e32 v31, v31
	v_ldexp_f32 v37, v37, v48
	v_cmp_nlt_f32_e32 vcc, s6, v40
	v_ldexp_f32 v30, v30, v49
	v_ldexp_f32 v39, v39, v51
	v_cndmask_b32_e32 v37, 0, v37, vcc
	v_cmp_nlt_f32_e32 vcc, s6, v41
	v_ldexp_f32 v31, v31, v52
	v_cvt_f32_f16_e32 v36, v32
	v_cndmask_b32_e32 v30, 0, v30, vcc
	v_cmp_nlt_f32_e32 vcc, s6, v42
	v_cvt_f32_f16_sdwa v35, v26 dst_sel:DWORD dst_unused:UNUSED_PAD src0_sel:WORD_1
	v_mul_f32_e32 v46, 0xbfb8aa3b, v36
	v_cndmask_b32_e32 v39, 0, v39, vcc
	v_cmp_nlt_f32_e32 vcc, s6, v43
	v_fma_mix_f32 v55, v32, s7, -v46 op_sel_hi:[1,0,0]
	v_cvt_f32_f16_e32 v26, v27
	v_cndmask_b32_e32 v31, 0, v31, vcc
	v_cmp_ngt_f32_e32 vcc, s22, v40
	v_cvt_f32_f16_sdwa v27, v27 dst_sel:DWORD dst_unused:UNUSED_PAD src0_sel:WORD_1
	s_nop 0
	v_cndmask_b32_e32 v37, v1, v37, vcc
	v_cmp_ngt_f32_e32 vcc, s22, v41
	v_add_f32_e32 v37, 1.0, v37
	s_nop 0
	v_cndmask_b32_e32 v30, v1, v30, vcc
	v_cmp_ngt_f32_e32 vcc, s22, v42
	v_add_f32_e32 v44, 1.0, v30
	v_rcp_f32_e32 v30, v37
	v_cndmask_b32_e32 v39, v1, v39, vcc
	v_cmp_ngt_f32_e32 vcc, s22, v43
	v_add_f32_e32 v39, 1.0, v39
	v_rndne_f32_e32 v37, v46
	v_cndmask_b32_e32 v31, v1, v31, vcc
	v_add_f32_e32 v45, 1.0, v31
	v_rcp_f32_e32 v31, v44
	v_rcp_f32_e32 v44, v39
	;; [unrolled: 1-line block ×3, first 2 shown]
	v_fma_mix_f32 v39, v32, s23, v55 op_sel_hi:[1,0,0]
	v_pk_mul_f32 v[30:31], v[30:31], v[40:41]
	v_cmp_nlt_f32_e32 vcc, s6, v36
	;;#ASMSTART
	v_pk_mul_f32 v[30:31], v[30:31], v[34:35]
	;;#ASMEND
	v_sub_f32_e32 v34, v46, v37
	v_pk_mul_f32 v[40:41], v[44:45], v[42:43]
	v_add_f32_e32 v34, v34, v39
	;;#ASMSTART
	v_pk_mul_f32 v[26:27], v[40:41], v[26:27]
	;;#ASMEND
	v_exp_f32_e32 v39, v34
	v_cvt_i32_f32_e32 v40, v37
	v_cvt_f32_f16_sdwa v37, v32 dst_sel:DWORD dst_unused:UNUSED_PAD src0_sel:WORD_1
	v_cvt_f32_f16_e32 v34, v28
	v_cvt_f32_f16_sdwa v35, v28 dst_sel:DWORD dst_unused:UNUSED_PAD src0_sel:WORD_1
	v_ldexp_f32 v28, v39, v40
	v_mul_f32_e32 v39, 0xbfb8aa3b, v37
	v_fma_mix_f32 v40, v32, s7, -v39 op_sel:[1,0,0] op_sel_hi:[1,0,0]
	v_cndmask_b32_e32 v28, 0, v28, vcc
	v_fma_mix_f32 v32, v32, s23, v40 op_sel:[1,0,0] op_sel_hi:[1,0,0]
	v_rndne_f32_e32 v40, v39
	v_sub_f32_e32 v39, v39, v40
	v_add_f32_e32 v32, v39, v32
	v_exp_f32_e32 v32, v32
	v_cvt_i32_f32_e32 v39, v40
	v_cmp_ngt_f32_e32 vcc, s22, v36
	v_cvt_f32_f16_e32 v42, v33
	v_cvt_f32_f16_sdwa v43, v33 dst_sel:DWORD dst_unused:UNUSED_PAD src0_sel:WORD_1
	v_cndmask_b32_e32 v28, v1, v28, vcc
	v_add_f32_e32 v28, 1.0, v28
	v_rcp_f32_e32 v40, v28
	v_ldexp_f32 v28, v32, v39
	v_cmp_nlt_f32_e32 vcc, s6, v37
	s_waitcnt vmcnt(2)
	v_cvt_f32_f16_e32 v44, v22
	v_cvt_f32_f16_sdwa v45, v22 dst_sel:DWORD dst_unused:UNUSED_PAD src0_sel:WORD_1
	v_cndmask_b32_e32 v28, 0, v28, vcc
	v_cmp_ngt_f32_e32 vcc, s22, v37
	s_nop 1
	v_cndmask_b32_e32 v28, v1, v28, vcc
	v_add_f32_e32 v28, 1.0, v28
	v_rcp_f32_e32 v41, v28
	v_mul_f32_e32 v28, 0xbfb8aa3b, v42
	v_fma_mix_f32 v32, v33, s7, -v28 op_sel_hi:[1,0,0]
	v_rndne_f32_e32 v39, v28
	v_fma_mix_f32 v32, v33, s23, v32 op_sel_hi:[1,0,0]
	v_sub_f32_e32 v28, v28, v39
	v_add_f32_e32 v28, v28, v32
	v_exp_f32_e32 v32, v28
	v_cvt_i32_f32_e32 v39, v39
	v_pk_mul_f32 v[36:37], v[40:41], v[36:37]
	v_cmp_nlt_f32_e32 vcc, s6, v42
	v_cvt_f32_f16_e32 v28, v29
	v_ldexp_f32 v32, v32, v39
	v_mul_f32_e32 v39, 0xbfb8aa3b, v43
	v_fma_mix_f32 v40, v33, s7, -v39 op_sel:[1,0,0] op_sel_hi:[1,0,0]
	v_cndmask_b32_e32 v32, 0, v32, vcc
	v_fma_mix_f32 v33, v33, s23, v40 op_sel:[1,0,0] op_sel_hi:[1,0,0]
	v_rndne_f32_e32 v40, v39
	v_sub_f32_e32 v39, v39, v40
	v_add_f32_e32 v33, v39, v33
	v_exp_f32_e32 v33, v33
	v_cvt_i32_f32_e32 v39, v40
	v_cmp_ngt_f32_e32 vcc, s22, v42
	v_cvt_f32_f16_sdwa v29, v29 dst_sel:DWORD dst_unused:UNUSED_PAD src0_sel:WORD_1
	s_nop 0
	v_cndmask_b32_e32 v32, v1, v32, vcc
	v_add_f32_e32 v32, 1.0, v32
	v_rcp_f32_e32 v40, v32
	v_ldexp_f32 v32, v33, v39
	v_cmp_nlt_f32_e32 vcc, s6, v43
	s_nop 1
	v_cndmask_b32_e32 v32, 0, v32, vcc
	v_cmp_ngt_f32_e32 vcc, s22, v43
	s_nop 1
	v_cndmask_b32_e32 v32, v1, v32, vcc
	v_add_f32_e32 v32, 1.0, v32
	v_rcp_f32_e32 v41, v32
	;;#ASMSTART
	v_pk_mul_f32 v[32:33], v[36:37], v[34:35]
	;;#ASMEND
	v_cmp_nlt_f32_e32 vcc, s6, v44
	v_pk_mul_f32 v[34:35], v[40:41], v[42:43]
	s_nop 0
	;;#ASMSTART
	v_pk_mul_f32 v[28:29], v[34:35], v[28:29]
	;;#ASMEND
	v_mul_f32_e32 v34, 0xbfb8aa3b, v44
	v_fma_mix_f32 v35, v22, s7, -v34 op_sel_hi:[1,0,0]
	v_rndne_f32_e32 v36, v34
	v_fma_mix_f32 v35, v22, s23, v35 op_sel_hi:[1,0,0]
	v_sub_f32_e32 v34, v34, v36
	v_add_f32_e32 v34, v34, v35
	v_exp_f32_e32 v37, v34
	v_cvt_i32_f32_e32 v36, v36
	v_cvt_f32_f16_e32 v34, v18
	v_cvt_f32_f16_sdwa v35, v18 dst_sel:DWORD dst_unused:UNUSED_PAD src0_sel:WORD_1
	v_cvt_f32_f16_e32 v40, v23
	v_ldexp_f32 v18, v37, v36
	v_mul_f32_e32 v36, 0xbfb8aa3b, v45
	v_fma_mix_f32 v37, v22, s7, -v36 op_sel:[1,0,0] op_sel_hi:[1,0,0]
	v_cndmask_b32_e32 v18, 0, v18, vcc
	v_fma_mix_f32 v22, v22, s23, v37 op_sel:[1,0,0] op_sel_hi:[1,0,0]
	v_rndne_f32_e32 v37, v36
	v_sub_f32_e32 v36, v36, v37
	v_add_f32_e32 v22, v36, v22
	v_exp_f32_e32 v22, v22
	v_cvt_i32_f32_e32 v37, v37
	v_cmp_ngt_f32_e32 vcc, s22, v44
	v_cvt_f32_f16_sdwa v41, v23 dst_sel:DWORD dst_unused:UNUSED_PAD src0_sel:WORD_1
	s_nop 0
	v_cndmask_b32_e32 v18, v1, v18, vcc
	v_add_f32_e32 v18, 1.0, v18
	v_rcp_f32_e32 v36, v18
	v_ldexp_f32 v18, v22, v37
	v_cmp_nlt_f32_e32 vcc, s6, v45
	s_nop 1
	v_cndmask_b32_e32 v18, 0, v18, vcc
	v_cmp_ngt_f32_e32 vcc, s22, v45
	s_nop 1
	v_cndmask_b32_e32 v18, v1, v18, vcc
	v_add_f32_e32 v18, 1.0, v18
	v_rcp_f32_e32 v37, v18
	v_mul_f32_e32 v18, 0xbfb8aa3b, v40
	v_fma_mix_f32 v22, v23, s7, -v18 op_sel_hi:[1,0,0]
	v_rndne_f32_e32 v39, v18
	v_fma_mix_f32 v22, v23, s23, v22 op_sel_hi:[1,0,0]
	v_sub_f32_e32 v18, v18, v39
	v_add_f32_e32 v18, v18, v22
	v_exp_f32_e32 v22, v18
	v_cvt_i32_f32_e32 v39, v39
	v_cmp_nlt_f32_e32 vcc, s6, v40
	v_pk_mul_f32 v[36:37], v[36:37], v[44:45]
	v_cvt_f32_f16_e32 v44, v24
	v_ldexp_f32 v22, v22, v39
	v_mul_f32_e32 v39, 0xbfb8aa3b, v41
	v_fma_mix_f32 v42, v23, s7, -v39 op_sel:[1,0,0] op_sel_hi:[1,0,0]
	v_cndmask_b32_e32 v22, 0, v22, vcc
	v_fma_mix_f32 v23, v23, s23, v42 op_sel:[1,0,0] op_sel_hi:[1,0,0]
	v_rndne_f32_e32 v42, v39
	v_sub_f32_e32 v39, v39, v42
	v_add_f32_e32 v23, v39, v23
	v_exp_f32_e32 v23, v23
	v_cvt_i32_f32_e32 v39, v42
	v_cmp_ngt_f32_e32 vcc, s22, v40
	v_cvt_f32_f16_e32 v18, v19
	v_cvt_f32_f16_sdwa v19, v19 dst_sel:DWORD dst_unused:UNUSED_PAD src0_sel:WORD_1
	v_cndmask_b32_e32 v22, v1, v22, vcc
	v_add_f32_e32 v22, 1.0, v22
	v_rcp_f32_e32 v42, v22
	v_ldexp_f32 v22, v23, v39
	v_cmp_nlt_f32_e32 vcc, s6, v41
	v_cvt_f32_f16_sdwa v45, v24 dst_sel:DWORD dst_unused:UNUSED_PAD src0_sel:WORD_1
	s_nop 0
	v_cndmask_b32_e32 v22, 0, v22, vcc
	v_cmp_ngt_f32_e32 vcc, s22, v41
	s_nop 1
	v_cndmask_b32_e32 v22, v1, v22, vcc
	v_add_f32_e32 v22, 1.0, v22
	v_rcp_f32_e32 v43, v22
	;;#ASMSTART
	v_pk_mul_f32 v[22:23], v[36:37], v[34:35]
	;;#ASMEND
	v_cmp_nlt_f32_e32 vcc, s6, v44
	v_pk_mul_f32 v[34:35], v[42:43], v[40:41]
	s_nop 0
	;;#ASMSTART
	v_pk_mul_f32 v[18:19], v[34:35], v[18:19]
	;;#ASMEND
	v_mul_f32_e32 v34, 0xbfb8aa3b, v44
	v_fma_mix_f32 v35, v24, s7, -v34 op_sel_hi:[1,0,0]
	v_rndne_f32_e32 v36, v34
	v_fma_mix_f32 v35, v24, s23, v35 op_sel_hi:[1,0,0]
	v_sub_f32_e32 v34, v34, v36
	v_add_f32_e32 v34, v34, v35
	v_exp_f32_e32 v37, v34
	v_cvt_i32_f32_e32 v36, v36
	v_cvt_f32_f16_e32 v34, v20
	v_cvt_f32_f16_sdwa v35, v20 dst_sel:DWORD dst_unused:UNUSED_PAD src0_sel:WORD_1
	v_cvt_f32_f16_e32 v40, v25
	v_ldexp_f32 v20, v37, v36
	v_mul_f32_e32 v36, 0xbfb8aa3b, v45
	v_fma_mix_f32 v37, v24, s7, -v36 op_sel:[1,0,0] op_sel_hi:[1,0,0]
	v_cndmask_b32_e32 v20, 0, v20, vcc
	v_fma_mix_f32 v24, v24, s23, v37 op_sel:[1,0,0] op_sel_hi:[1,0,0]
	v_rndne_f32_e32 v37, v36
	v_sub_f32_e32 v36, v36, v37
	v_add_f32_e32 v24, v36, v24
	v_exp_f32_e32 v24, v24
	v_cvt_i32_f32_e32 v37, v37
	v_cmp_ngt_f32_e32 vcc, s22, v44
	v_cvt_f32_f16_sdwa v41, v25 dst_sel:DWORD dst_unused:UNUSED_PAD src0_sel:WORD_1
	s_nop 0
	v_cndmask_b32_e32 v20, v1, v20, vcc
	v_add_f32_e32 v20, 1.0, v20
	v_rcp_f32_e32 v36, v20
	v_ldexp_f32 v20, v24, v37
	v_cmp_nlt_f32_e32 vcc, s6, v45
	s_nop 1
	v_cndmask_b32_e32 v20, 0, v20, vcc
	v_cmp_ngt_f32_e32 vcc, s22, v45
	s_nop 1
	v_cndmask_b32_e32 v20, v1, v20, vcc
	v_add_f32_e32 v20, 1.0, v20
	v_rcp_f32_e32 v37, v20
	v_mul_f32_e32 v20, 0xbfb8aa3b, v40
	v_fma_mix_f32 v24, v25, s7, -v20 op_sel_hi:[1,0,0]
	v_rndne_f32_e32 v39, v20
	v_fma_mix_f32 v24, v25, s23, v24 op_sel_hi:[1,0,0]
	v_sub_f32_e32 v20, v20, v39
	v_add_f32_e32 v20, v20, v24
	v_exp_f32_e32 v24, v20
	v_cvt_i32_f32_e32 v39, v39
	v_cmp_nlt_f32_e32 vcc, s6, v40
	v_pk_mul_f32 v[36:37], v[36:37], v[44:45]
	s_waitcnt vmcnt(1)
	v_cvt_f32_f16_e32 v44, v14
	v_ldexp_f32 v24, v24, v39
	v_mul_f32_e32 v39, 0xbfb8aa3b, v41
	v_fma_mix_f32 v42, v25, s7, -v39 op_sel:[1,0,0] op_sel_hi:[1,0,0]
	v_cndmask_b32_e32 v24, 0, v24, vcc
	v_fma_mix_f32 v25, v25, s23, v42 op_sel:[1,0,0] op_sel_hi:[1,0,0]
	v_rndne_f32_e32 v42, v39
	v_sub_f32_e32 v39, v39, v42
	v_add_f32_e32 v25, v39, v25
	v_exp_f32_e32 v25, v25
	v_cvt_i32_f32_e32 v39, v42
	v_cmp_ngt_f32_e32 vcc, s22, v40
	v_cvt_f32_f16_e32 v20, v21
	v_cvt_f32_f16_sdwa v21, v21 dst_sel:DWORD dst_unused:UNUSED_PAD src0_sel:WORD_1
	v_cndmask_b32_e32 v24, v1, v24, vcc
	v_add_f32_e32 v24, 1.0, v24
	v_rcp_f32_e32 v42, v24
	v_ldexp_f32 v24, v25, v39
	v_cmp_nlt_f32_e32 vcc, s6, v41
	v_cvt_f32_f16_sdwa v45, v14 dst_sel:DWORD dst_unused:UNUSED_PAD src0_sel:WORD_1
	s_nop 0
	v_cndmask_b32_e32 v24, 0, v24, vcc
	v_cmp_ngt_f32_e32 vcc, s22, v41
	s_nop 1
	v_cndmask_b32_e32 v24, v1, v24, vcc
	v_add_f32_e32 v24, 1.0, v24
	v_rcp_f32_e32 v43, v24
	;;#ASMSTART
	v_pk_mul_f32 v[24:25], v[36:37], v[34:35]
	;;#ASMEND
	v_cmp_nlt_f32_e32 vcc, s6, v44
	v_pk_mul_f32 v[34:35], v[42:43], v[40:41]
	s_nop 0
	;;#ASMSTART
	v_pk_mul_f32 v[20:21], v[34:35], v[20:21]
	;;#ASMEND
	v_mul_f32_e32 v34, 0xbfb8aa3b, v44
	v_fma_mix_f32 v35, v14, s7, -v34 op_sel_hi:[1,0,0]
	v_rndne_f32_e32 v36, v34
	v_fma_mix_f32 v35, v14, s23, v35 op_sel_hi:[1,0,0]
	v_sub_f32_e32 v34, v34, v36
	v_add_f32_e32 v34, v34, v35
	v_exp_f32_e32 v37, v34
	v_cvt_i32_f32_e32 v36, v36
	v_cvt_f32_f16_e32 v34, v10
	v_cvt_f32_f16_sdwa v35, v10 dst_sel:DWORD dst_unused:UNUSED_PAD src0_sel:WORD_1
	v_cvt_f32_f16_e32 v40, v15
	v_ldexp_f32 v10, v37, v36
	v_mul_f32_e32 v36, 0xbfb8aa3b, v45
	v_fma_mix_f32 v37, v14, s7, -v36 op_sel:[1,0,0] op_sel_hi:[1,0,0]
	v_cndmask_b32_e32 v10, 0, v10, vcc
	v_fma_mix_f32 v14, v14, s23, v37 op_sel:[1,0,0] op_sel_hi:[1,0,0]
	v_rndne_f32_e32 v37, v36
	v_sub_f32_e32 v36, v36, v37
	v_add_f32_e32 v14, v36, v14
	v_exp_f32_e32 v14, v14
	v_cvt_i32_f32_e32 v37, v37
	v_cmp_ngt_f32_e32 vcc, s22, v44
	v_cvt_f32_f16_sdwa v41, v15 dst_sel:DWORD dst_unused:UNUSED_PAD src0_sel:WORD_1
	s_nop 0
	v_cndmask_b32_e32 v10, v1, v10, vcc
	v_add_f32_e32 v10, 1.0, v10
	v_rcp_f32_e32 v36, v10
	v_ldexp_f32 v10, v14, v37
	v_cmp_nlt_f32_e32 vcc, s6, v45
	s_nop 1
	v_cndmask_b32_e32 v10, 0, v10, vcc
	v_cmp_ngt_f32_e32 vcc, s22, v45
	s_nop 1
	v_cndmask_b32_e32 v10, v1, v10, vcc
	v_add_f32_e32 v10, 1.0, v10
	v_rcp_f32_e32 v37, v10
	v_mul_f32_e32 v10, 0xbfb8aa3b, v40
	v_fma_mix_f32 v14, v15, s7, -v10 op_sel_hi:[1,0,0]
	v_rndne_f32_e32 v39, v10
	v_fma_mix_f32 v14, v15, s23, v14 op_sel_hi:[1,0,0]
	v_sub_f32_e32 v10, v10, v39
	v_add_f32_e32 v10, v10, v14
	v_exp_f32_e32 v14, v10
	v_cvt_i32_f32_e32 v39, v39
	v_cmp_nlt_f32_e32 vcc, s6, v40
	v_pk_mul_f32 v[36:37], v[36:37], v[44:45]
	v_cvt_f32_f16_e32 v44, v16
	v_ldexp_f32 v14, v14, v39
	v_mul_f32_e32 v39, 0xbfb8aa3b, v41
	v_fma_mix_f32 v42, v15, s7, -v39 op_sel:[1,0,0] op_sel_hi:[1,0,0]
	v_cndmask_b32_e32 v14, 0, v14, vcc
	v_fma_mix_f32 v15, v15, s23, v42 op_sel:[1,0,0] op_sel_hi:[1,0,0]
	v_rndne_f32_e32 v42, v39
	v_sub_f32_e32 v39, v39, v42
	v_add_f32_e32 v15, v39, v15
	v_exp_f32_e32 v15, v15
	v_cvt_i32_f32_e32 v39, v42
	v_cmp_ngt_f32_e32 vcc, s22, v40
	v_cvt_f32_f16_e32 v10, v11
	v_cvt_f32_f16_sdwa v11, v11 dst_sel:DWORD dst_unused:UNUSED_PAD src0_sel:WORD_1
	v_cndmask_b32_e32 v14, v1, v14, vcc
	v_add_f32_e32 v14, 1.0, v14
	v_rcp_f32_e32 v42, v14
	v_ldexp_f32 v14, v15, v39
	v_cmp_nlt_f32_e32 vcc, s6, v41
	v_cvt_f32_f16_sdwa v45, v16 dst_sel:DWORD dst_unused:UNUSED_PAD src0_sel:WORD_1
	s_nop 0
	v_cndmask_b32_e32 v14, 0, v14, vcc
	v_cmp_ngt_f32_e32 vcc, s22, v41
	s_nop 1
	v_cndmask_b32_e32 v14, v1, v14, vcc
	v_add_f32_e32 v14, 1.0, v14
	v_rcp_f32_e32 v43, v14
	;;#ASMSTART
	v_pk_mul_f32 v[14:15], v[36:37], v[34:35]
	;;#ASMEND
	v_cmp_nlt_f32_e32 vcc, s6, v44
	v_pk_mul_f32 v[34:35], v[42:43], v[40:41]
	s_nop 0
	;;#ASMSTART
	v_pk_mul_f32 v[10:11], v[34:35], v[10:11]
	;;#ASMEND
	v_mul_f32_e32 v34, 0xbfb8aa3b, v44
	v_fma_mix_f32 v35, v16, s7, -v34 op_sel_hi:[1,0,0]
	v_rndne_f32_e32 v36, v34
	v_fma_mix_f32 v35, v16, s23, v35 op_sel_hi:[1,0,0]
	v_sub_f32_e32 v34, v34, v36
	v_add_f32_e32 v34, v34, v35
	v_exp_f32_e32 v37, v34
	v_cvt_i32_f32_e32 v36, v36
	v_cvt_f32_f16_e32 v34, v12
	v_cvt_f32_f16_sdwa v35, v12 dst_sel:DWORD dst_unused:UNUSED_PAD src0_sel:WORD_1
	v_cvt_f32_f16_e32 v40, v17
	v_ldexp_f32 v12, v37, v36
	v_mul_f32_e32 v36, 0xbfb8aa3b, v45
	v_fma_mix_f32 v37, v16, s7, -v36 op_sel:[1,0,0] op_sel_hi:[1,0,0]
	v_cndmask_b32_e32 v12, 0, v12, vcc
	v_fma_mix_f32 v16, v16, s23, v37 op_sel:[1,0,0] op_sel_hi:[1,0,0]
	v_rndne_f32_e32 v37, v36
	v_sub_f32_e32 v36, v36, v37
	v_add_f32_e32 v16, v36, v16
	v_exp_f32_e32 v16, v16
	v_cvt_i32_f32_e32 v37, v37
	v_cmp_ngt_f32_e32 vcc, s22, v44
	v_cvt_f32_f16_sdwa v41, v17 dst_sel:DWORD dst_unused:UNUSED_PAD src0_sel:WORD_1
	s_nop 0
	v_cndmask_b32_e32 v12, v1, v12, vcc
	v_add_f32_e32 v12, 1.0, v12
	v_rcp_f32_e32 v36, v12
	v_ldexp_f32 v12, v16, v37
	v_cmp_nlt_f32_e32 vcc, s6, v45
	s_nop 1
	v_cndmask_b32_e32 v12, 0, v12, vcc
	v_cmp_ngt_f32_e32 vcc, s22, v45
	s_nop 1
	v_cndmask_b32_e32 v12, v1, v12, vcc
	v_add_f32_e32 v12, 1.0, v12
	v_rcp_f32_e32 v37, v12
	v_mul_f32_e32 v12, 0xbfb8aa3b, v40
	v_fma_mix_f32 v16, v17, s7, -v12 op_sel_hi:[1,0,0]
	v_rndne_f32_e32 v39, v12
	v_fma_mix_f32 v16, v17, s23, v16 op_sel_hi:[1,0,0]
	v_sub_f32_e32 v12, v12, v39
	v_add_f32_e32 v12, v12, v16
	v_exp_f32_e32 v16, v12
	v_cvt_i32_f32_e32 v39, v39
	v_cmp_nlt_f32_e32 vcc, s6, v40
	v_pk_mul_f32 v[36:37], v[36:37], v[44:45]
	s_waitcnt vmcnt(0)
	v_cvt_f32_f16_e32 v44, v6
	v_ldexp_f32 v16, v16, v39
	v_mul_f32_e32 v39, 0xbfb8aa3b, v41
	v_fma_mix_f32 v42, v17, s7, -v39 op_sel:[1,0,0] op_sel_hi:[1,0,0]
	v_cndmask_b32_e32 v16, 0, v16, vcc
	v_fma_mix_f32 v17, v17, s23, v42 op_sel:[1,0,0] op_sel_hi:[1,0,0]
	v_rndne_f32_e32 v42, v39
	v_sub_f32_e32 v39, v39, v42
	v_add_f32_e32 v17, v39, v17
	v_exp_f32_e32 v17, v17
	v_cvt_i32_f32_e32 v39, v42
	v_cmp_ngt_f32_e32 vcc, s22, v40
	v_cvt_f32_f16_e32 v12, v13
	v_cvt_f32_f16_sdwa v13, v13 dst_sel:DWORD dst_unused:UNUSED_PAD src0_sel:WORD_1
	v_cndmask_b32_e32 v16, v1, v16, vcc
	v_add_f32_e32 v16, 1.0, v16
	v_rcp_f32_e32 v42, v16
	v_ldexp_f32 v16, v17, v39
	v_cmp_nlt_f32_e32 vcc, s6, v41
	v_cvt_f32_f16_sdwa v45, v6 dst_sel:DWORD dst_unused:UNUSED_PAD src0_sel:WORD_1
	s_nop 0
	v_cndmask_b32_e32 v16, 0, v16, vcc
	v_cmp_ngt_f32_e32 vcc, s22, v41
	s_nop 1
	v_cndmask_b32_e32 v16, v1, v16, vcc
	v_add_f32_e32 v16, 1.0, v16
	v_rcp_f32_e32 v43, v16
	;;#ASMSTART
	v_pk_mul_f32 v[16:17], v[36:37], v[34:35]
	;;#ASMEND
	v_cmp_nlt_f32_e32 vcc, s6, v44
	v_pk_mul_f32 v[34:35], v[42:43], v[40:41]
	s_nop 0
	;;#ASMSTART
	v_pk_mul_f32 v[12:13], v[34:35], v[12:13]
	;;#ASMEND
	v_mul_f32_e32 v34, 0xbfb8aa3b, v44
	v_fma_mix_f32 v35, v6, s7, -v34 op_sel_hi:[1,0,0]
	v_rndne_f32_e32 v36, v34
	v_fma_mix_f32 v35, v6, s23, v35 op_sel_hi:[1,0,0]
	v_sub_f32_e32 v34, v34, v36
	v_add_f32_e32 v34, v34, v35
	v_exp_f32_e32 v37, v34
	v_cvt_i32_f32_e32 v36, v36
	v_cvt_f32_f16_e32 v34, v2
	v_cvt_f32_f16_sdwa v35, v2 dst_sel:DWORD dst_unused:UNUSED_PAD src0_sel:WORD_1
	v_cvt_f32_f16_e32 v40, v7
	v_ldexp_f32 v2, v37, v36
	v_mul_f32_e32 v36, 0xbfb8aa3b, v45
	v_fma_mix_f32 v37, v6, s7, -v36 op_sel:[1,0,0] op_sel_hi:[1,0,0]
	v_cndmask_b32_e32 v2, 0, v2, vcc
	v_fma_mix_f32 v6, v6, s23, v37 op_sel:[1,0,0] op_sel_hi:[1,0,0]
	v_rndne_f32_e32 v37, v36
	v_sub_f32_e32 v36, v36, v37
	v_add_f32_e32 v6, v36, v6
	v_exp_f32_e32 v6, v6
	v_cvt_i32_f32_e32 v37, v37
	v_cmp_ngt_f32_e32 vcc, s22, v44
	v_cvt_f32_f16_sdwa v41, v7 dst_sel:DWORD dst_unused:UNUSED_PAD src0_sel:WORD_1
	s_nop 0
	v_cndmask_b32_e32 v2, v1, v2, vcc
	v_add_f32_e32 v2, 1.0, v2
	v_rcp_f32_e32 v36, v2
	v_ldexp_f32 v2, v6, v37
	v_cmp_nlt_f32_e32 vcc, s6, v45
	s_nop 1
	v_cndmask_b32_e32 v2, 0, v2, vcc
	v_cmp_ngt_f32_e32 vcc, s22, v45
	s_nop 1
	v_cndmask_b32_e32 v2, v1, v2, vcc
	v_add_f32_e32 v2, 1.0, v2
	v_rcp_f32_e32 v37, v2
	v_mul_f32_e32 v2, 0xbfb8aa3b, v40
	v_fma_mix_f32 v6, v7, s7, -v2 op_sel_hi:[1,0,0]
	v_rndne_f32_e32 v39, v2
	v_fma_mix_f32 v6, v7, s23, v6 op_sel_hi:[1,0,0]
	v_sub_f32_e32 v2, v2, v39
	v_add_f32_e32 v2, v2, v6
	v_exp_f32_e32 v6, v2
	v_cvt_i32_f32_e32 v39, v39
	v_cmp_nlt_f32_e32 vcc, s6, v40
	v_pk_mul_f32 v[36:37], v[36:37], v[44:45]
	v_cvt_f32_f16_e32 v44, v8
	v_ldexp_f32 v6, v6, v39
	v_mul_f32_e32 v39, 0xbfb8aa3b, v41
	v_fma_mix_f32 v42, v7, s7, -v39 op_sel:[1,0,0] op_sel_hi:[1,0,0]
	v_cndmask_b32_e32 v6, 0, v6, vcc
	v_fma_mix_f32 v7, v7, s23, v42 op_sel:[1,0,0] op_sel_hi:[1,0,0]
	v_rndne_f32_e32 v42, v39
	v_sub_f32_e32 v39, v39, v42
	v_add_f32_e32 v7, v39, v7
	v_exp_f32_e32 v7, v7
	v_cvt_i32_f32_e32 v39, v42
	v_cmp_ngt_f32_e32 vcc, s22, v40
	v_cvt_f32_f16_e32 v2, v3
	v_cvt_f32_f16_sdwa v3, v3 dst_sel:DWORD dst_unused:UNUSED_PAD src0_sel:WORD_1
	v_cndmask_b32_e32 v6, v1, v6, vcc
	v_add_f32_e32 v6, 1.0, v6
	v_rcp_f32_e32 v42, v6
	v_ldexp_f32 v6, v7, v39
	v_cmp_nlt_f32_e32 vcc, s6, v41
	v_cvt_f32_f16_sdwa v45, v8 dst_sel:DWORD dst_unused:UNUSED_PAD src0_sel:WORD_1
	s_nop 0
	v_cndmask_b32_e32 v6, 0, v6, vcc
	v_cmp_ngt_f32_e32 vcc, s22, v41
	s_nop 1
	v_cndmask_b32_e32 v6, v1, v6, vcc
	v_add_f32_e32 v6, 1.0, v6
	v_rcp_f32_e32 v43, v6
	;;#ASMSTART
	v_pk_mul_f32 v[6:7], v[36:37], v[34:35]
	;;#ASMEND
	v_cmp_nlt_f32_e32 vcc, s6, v44
	v_pk_mul_f32 v[34:35], v[42:43], v[40:41]
	s_nop 0
	;;#ASMSTART
	v_pk_mul_f32 v[2:3], v[34:35], v[2:3]
	;;#ASMEND
	v_mul_f32_e32 v34, 0xbfb8aa3b, v44
	v_fma_mix_f32 v35, v8, s7, -v34 op_sel_hi:[1,0,0]
	v_rndne_f32_e32 v36, v34
	v_fma_mix_f32 v35, v8, s23, v35 op_sel_hi:[1,0,0]
	v_sub_f32_e32 v34, v34, v36
	v_add_f32_e32 v34, v34, v35
	v_exp_f32_e32 v37, v34
	v_cvt_i32_f32_e32 v36, v36
	v_cvt_f32_f16_e32 v34, v4
	v_cvt_f32_f16_sdwa v35, v4 dst_sel:DWORD dst_unused:UNUSED_PAD src0_sel:WORD_1
	v_cvt_f32_f16_e32 v40, v9
	v_ldexp_f32 v4, v37, v36
	v_mul_f32_e32 v36, 0xbfb8aa3b, v45
	v_fma_mix_f32 v37, v8, s7, -v36 op_sel:[1,0,0] op_sel_hi:[1,0,0]
	v_cndmask_b32_e32 v4, 0, v4, vcc
	v_fma_mix_f32 v8, v8, s23, v37 op_sel:[1,0,0] op_sel_hi:[1,0,0]
	v_rndne_f32_e32 v37, v36
	v_sub_f32_e32 v36, v36, v37
	v_add_f32_e32 v8, v36, v8
	v_exp_f32_e32 v8, v8
	v_cvt_i32_f32_e32 v37, v37
	v_cmp_ngt_f32_e32 vcc, s22, v44
	v_cvt_f32_f16_sdwa v41, v9 dst_sel:DWORD dst_unused:UNUSED_PAD src0_sel:WORD_1
	s_nop 0
	v_cndmask_b32_e32 v4, v1, v4, vcc
	v_add_f32_e32 v4, 1.0, v4
	v_rcp_f32_e32 v36, v4
	v_ldexp_f32 v4, v8, v37
	v_mul_f32_e32 v8, 0xbfb8aa3b, v40
	v_fma_mix_f32 v37, v9, s7, -v8 op_sel_hi:[1,0,0]
	v_rndne_f32_e32 v39, v8
	v_fma_mix_f32 v37, v9, s23, v37 op_sel_hi:[1,0,0]
	v_sub_f32_e32 v8, v8, v39
	v_add_f32_e32 v8, v8, v37
	v_exp_f32_e32 v8, v8
	v_cvt_i32_f32_e32 v39, v39
	v_cmp_nlt_f32_e32 vcc, s6, v45
	v_ldexp_f32 v8, v8, v39
	v_mul_f32_e32 v39, 0xbfb8aa3b, v41
	v_fma_mix_f32 v42, v9, s7, -v39 op_sel:[1,0,0] op_sel_hi:[1,0,0]
	v_cndmask_b32_e32 v4, 0, v4, vcc
	v_fma_mix_f32 v9, v9, s23, v42 op_sel:[1,0,0] op_sel_hi:[1,0,0]
	v_rndne_f32_e32 v42, v39
	v_sub_f32_e32 v39, v39, v42
	v_cmp_ngt_f32_e32 vcc, s22, v45
	v_add_f32_e32 v9, v39, v9
	v_exp_f32_e32 v9, v9
	v_cndmask_b32_e32 v4, v1, v4, vcc
	v_cmp_nlt_f32_e32 vcc, s6, v40
	v_cvt_i32_f32_e32 v39, v42
	v_add_f32_e32 v4, 1.0, v4
	v_cndmask_b32_e32 v8, 0, v8, vcc
	v_cmp_ngt_f32_e32 vcc, s22, v40
	v_rcp_f32_e32 v37, v4
	v_cvt_f32_f16_e32 v4, v5
	v_cndmask_b32_e32 v8, v1, v8, vcc
	v_add_f32_e32 v8, 1.0, v8
	v_rcp_f32_e32 v42, v8
	v_ldexp_f32 v8, v9, v39
	v_cmp_nlt_f32_e32 vcc, s6, v41
	v_cvt_f32_f16_sdwa v5, v5 dst_sel:DWORD dst_unused:UNUSED_PAD src0_sel:WORD_1
	s_ashr_i32 s6, s17, 31
	v_cndmask_b32_e32 v8, 0, v8, vcc
	v_cmp_ngt_f32_e32 vcc, s22, v41
	s_lshr_b32 s6, s6, 27
	s_add_i32 s6, s17, s6
	v_cndmask_b32_e32 v1, v1, v8, vcc
	v_add_f32_e32 v1, 1.0, v1
	v_rcp_f32_e32 v43, v1
	v_pk_mul_f32 v[8:9], v[36:37], v[44:45]
	v_and_b32_e32 v1, 0x7fffffff, v30
	;;#ASMSTART
	v_pk_mul_f32 v[8:9], v[8:9], v[34:35]
	;;#ASMEND
	v_pk_mul_f32 v[34:35], v[42:43], v[40:41]
	s_ashr_i32 s8, s6, 5
	;;#ASMSTART
	v_pk_mul_f32 v[4:5], v[34:35], v[4:5]
	;;#ASMEND
	v_and_b32_e32 v34, 0x7fffffff, v31
	v_mov_b32_e32 v35, 0x2edbe6ff
	;;#ASMSTART
	v_max3_f32 v1, v35, v1, v34

	;;#ASMEND
	v_and_b32_e32 v34, 0x7fffffff, v26
	v_and_b32_e32 v35, 0x7fffffff, v27
	;;#ASMSTART
	v_max3_f32 v1, v1, v34, v35

	;;#ASMEND
	v_and_b32_e32 v34, 0x7fffffff, v32
	v_and_b32_e32 v35, 0x7fffffff, v33
	;; [unrolled: 6-line block ×14, first 2 shown]
	;;#ASMSTART
	v_max3_f32 v1, v1, v34, v35

	;;#ASMEND
	s_cmp_lt_i32 s8, 16
	v_and_b32_e32 v34, 0x7fffffff, v4
	v_and_b32_e32 v35, 0x7fffffff, v5
	;;#ASMSTART
	v_max3_f32 v1, v1, v34, v35

	;;#ASMEND
	s_cbranch_scc1 .LBB539_7
; %bb.2:
	s_cmp_lt_i32 s8, 32
	s_cbranch_scc1 .LBB539_8
; %bb.3:
	s_cmp_lt_i32 s8, 64
	s_cbranch_scc1 .LBB539_9
; %bb.4:
	s_cmp_eq_u32 s8, 64
	v_mov_b32_e32 v34, v1
	s_cbranch_scc0 .LBB539_6
; %bb.5:
	s_nop 0
	v_mov_b32_dpp v34, v1 quad_perm:[1,0,3,2] row_mask:0xf bank_mask:0xf
	v_cmp_gt_f32_e32 vcc, v1, v34
	v_bfrev_b32_e32 v36, 0.5
	s_nop 0
	v_cndmask_b32_e32 v34, v34, v1, vcc
	s_nop 1
	v_mov_b32_dpp v35, v34 quad_perm:[2,3,0,1] row_mask:0xf bank_mask:0xf
	v_cmp_gt_f32_e32 vcc, v34, v35
	s_nop 1
	v_cndmask_b32_e32 v34, v35, v34, vcc
	s_nop 1
	v_mov_b32_dpp v35, v34 row_ror:4 row_mask:0xf bank_mask:0xf
	v_cmp_gt_f32_e32 vcc, v34, v35
	s_nop 1
	v_cndmask_b32_e32 v34, v35, v34, vcc
	s_nop 1
	v_mov_b32_dpp v35, v34 row_ror:8 row_mask:0xf bank_mask:0xf
	v_cmp_gt_f32_e32 vcc, v34, v35
	s_nop 1
	v_cndmask_b32_e32 v34, v35, v34, vcc
	s_nop 1
	v_mov_b32_dpp v35, v34 row_bcast:15 row_mask:0xf bank_mask:0xf
	v_cmp_gt_f32_e32 vcc, v34, v35
	s_nop 1
	v_cndmask_b32_e32 v34, v35, v34, vcc
	s_nop 1
	v_mov_b32_dpp v35, v34 row_bcast:31 row_mask:0xf bank_mask:0xf
	v_cmp_gt_f32_e32 vcc, v34, v35
	s_nop 1
	v_cndmask_b32_e32 v34, v35, v34, vcc
	v_mbcnt_lo_u32_b32 v35, -1, 0
	v_mbcnt_hi_u32_b32 v35, -1, v35
	v_lshl_or_b32 v35, v35, 2, v36
	ds_bpermute_b32 v34, v35, v34
.LBB539_6:
	s_cbranch_execz .LBB539_10
	s_branch .LBB539_12
.LBB539_7:
                                        ; implicit-def: $vgpr34
	s_branch .LBB539_16
.LBB539_8:
                                        ; implicit-def: $vgpr34
	s_branch .LBB539_13
.LBB539_9:
                                        ; implicit-def: $vgpr34
.LBB539_10:
	s_cmp_eq_u32 s8, 32
	s_waitcnt lgkmcnt(0)
	v_mov_b32_e32 v34, v1
	s_cbranch_scc0 .LBB539_12
; %bb.11:
	s_nop 0
	v_mov_b32_dpp v34, v1 quad_perm:[1,0,3,2] row_mask:0xf bank_mask:0xf
	v_cmp_gt_f32_e32 vcc, v1, v34
	v_mov_b32_e32 v36, 0x7c
	s_nop 0
	v_cndmask_b32_e32 v34, v34, v1, vcc
	s_nop 1
	v_mov_b32_dpp v35, v34 quad_perm:[2,3,0,1] row_mask:0xf bank_mask:0xf
	v_cmp_gt_f32_e32 vcc, v34, v35
	s_nop 1
	v_cndmask_b32_e32 v34, v35, v34, vcc
	s_nop 1
	v_mov_b32_dpp v35, v34 row_half_mirror row_mask:0xf bank_mask:0xf
	v_cmp_gt_f32_e32 vcc, v34, v35
	s_nop 1
	v_cndmask_b32_e32 v34, v35, v34, vcc
	s_nop 1
	v_mov_b32_dpp v35, v34 row_mirror row_mask:0xf bank_mask:0xf
	v_cmp_gt_f32_e32 vcc, v34, v35
	s_nop 1
	v_cndmask_b32_e32 v34, v35, v34, vcc
	s_nop 1
	v_mov_b32_dpp v35, v34 row_bcast:15 row_mask:0xa bank_mask:0xf
	v_cmp_gt_f32_e32 vcc, v34, v35
	s_nop 1
	v_cndmask_b32_e32 v34, v35, v34, vcc
	v_mbcnt_lo_u32_b32 v35, -1, 0
	v_mbcnt_hi_u32_b32 v35, -1, v35
	v_lshl_or_b32 v35, v35, 2, v36
	ds_bpermute_b32 v34, v35, v34
.LBB539_12:
	s_cbranch_execnz .LBB539_15
.LBB539_13:
	s_cmp_eq_u32 s8, 16
	s_waitcnt lgkmcnt(0)
	v_mov_b32_e32 v34, v1
	s_cbranch_scc0 .LBB539_15
; %bb.14:
	s_nop 0
	v_mov_b32_dpp v34, v1 quad_perm:[1,0,3,2] row_mask:0xf bank_mask:0xf
	v_cmp_gt_f32_e32 vcc, v1, v34
	s_nop 1
	v_cndmask_b32_e32 v34, v34, v1, vcc
	s_nop 1
	v_mov_b32_dpp v35, v34 quad_perm:[2,3,0,1] row_mask:0xf bank_mask:0xf
	v_cmp_gt_f32_e32 vcc, v34, v35
	s_nop 1
	v_cndmask_b32_e32 v34, v35, v34, vcc
	s_nop 1
	v_mov_b32_dpp v35, v34 row_half_mirror row_mask:0xf bank_mask:0xf
	v_cmp_gt_f32_e32 vcc, v34, v35
	s_nop 1
	v_cndmask_b32_e32 v34, v35, v34, vcc
	s_nop 1
	v_mov_b32_dpp v35, v34 row_mirror row_mask:0xf bank_mask:0xf
	v_cmp_gt_f32_e32 vcc, v34, v35
	s_nop 1
	v_cndmask_b32_e32 v34, v35, v34, vcc
.LBB539_15:
	s_cbranch_execnz .LBB539_29
.LBB539_16:
	s_cmp_lt_i32 s8, 4
	s_cbranch_scc1 .LBB539_20
; %bb.17:
	s_cmp_lt_i32 s8, 8
	s_cbranch_scc1 .LBB539_21
; %bb.18:
	s_cmp_eq_u32 s8, 8
	s_waitcnt lgkmcnt(0)
	v_mov_b32_e32 v34, v1
	s_cbranch_scc0 .LBB539_22
; %bb.19:
	s_nop 0
	v_mov_b32_dpp v34, v1 quad_perm:[1,0,3,2] row_mask:0xf bank_mask:0xf
	v_cmp_gt_f32_e32 vcc, v1, v34
	s_nop 1
	v_cndmask_b32_e32 v34, v34, v1, vcc
	s_nop 1
	v_mov_b32_dpp v35, v34 quad_perm:[2,3,0,1] row_mask:0xf bank_mask:0xf
	v_cmp_gt_f32_e32 vcc, v34, v35
	s_nop 1
	v_cndmask_b32_e32 v34, v35, v34, vcc
	s_nop 1
	v_mov_b32_dpp v35, v34 row_half_mirror row_mask:0xf bank_mask:0xf
	v_cmp_gt_f32_e32 vcc, v34, v35
	s_nop 1
	v_cndmask_b32_e32 v34, v35, v34, vcc
	s_cbranch_execz .LBB539_23
	s_branch .LBB539_25
.LBB539_20:
                                        ; implicit-def: $vgpr34
	s_branch .LBB539_26
.LBB539_21:
                                        ; implicit-def: $vgpr34
	s_branch .LBB539_23
.LBB539_22:
	s_cbranch_execnz .LBB539_25
.LBB539_23:
	s_cmp_eq_u32 s8, 4
	s_waitcnt lgkmcnt(0)
	v_mov_b32_e32 v34, v1
	s_cbranch_scc0 .LBB539_25
; %bb.24:
	s_nop 0
	v_mov_b32_dpp v34, v1 quad_perm:[1,0,3,2] row_mask:0xf bank_mask:0xf
	v_cmp_gt_f32_e32 vcc, v1, v34
	s_nop 1
	v_cndmask_b32_e32 v34, v34, v1, vcc
	s_nop 1
	v_mov_b32_dpp v35, v34 quad_perm:[2,3,0,1] row_mask:0xf bank_mask:0xf
	v_cmp_gt_f32_e32 vcc, v34, v35
	s_nop 1
	v_cndmask_b32_e32 v34, v35, v34, vcc
.LBB539_25:
	s_cbranch_execnz .LBB539_29
.LBB539_26:
	s_cmp_lg_u32 s8, 2
	s_cbranch_scc1 .LBB539_28
; %bb.27:
	s_waitcnt lgkmcnt(0)
	v_mov_b32_dpp v34, v1 quad_perm:[1,0,3,2] row_mask:0xf bank_mask:0xf
	v_cmp_gt_f32_e32 vcc, v1, v34
	s_nop 1
	v_cndmask_b32_e32 v1, v34, v1, vcc
.LBB539_28:
	s_waitcnt lgkmcnt(0)
	v_mov_b32_e32 v34, v1
.LBB539_29:
	s_abs_i32 s6, s8
	v_cvt_f32_u32_e32 v1, s6
	s_sub_i32 s9, 0, s6
	s_waitcnt lgkmcnt(0)
	v_mul_f32_e32 v36, 0x3b888889, v34
	s_ashr_i32 s7, s8, 31
	v_rcp_iflag_f32_e32 v1, v1
	s_nop 0
	v_mul_f32_e32 v1, 0x4f7ffffe, v1
	v_cvt_u32_f32_e32 v1, v1
	v_mul_lo_u32 v34, s9, v1
	v_mul_hi_u32 v34, v1, v34
	v_add_u32_e32 v1, v1, v34
	v_mul_hi_u32 v1, v0, v1
	v_mul_lo_u32 v34, v1, s6
	v_sub_u32_e32 v34, v0, v34
	v_add_u32_e32 v35, 1, v1
	v_cmp_le_u32_e32 vcc, s6, v34
	s_nop 1
	v_cndmask_b32_e32 v1, v1, v35, vcc
	v_subrev_u32_e32 v35, s6, v34
	v_cndmask_b32_e32 v34, v34, v35, vcc
	v_add_u32_e32 v35, 1, v1
	v_cmp_le_u32_e32 vcc, s6, v34
	s_nop 1
	v_cndmask_b32_e32 v1, v1, v35, vcc
	v_xor_b32_e32 v1, s7, v1
	v_subrev_u32_e32 v34, s7, v1
	v_mul_lo_u32 v1, v34, s8
	v_sub_u32_e32 v0, v0, v1
	v_cmp_eq_u32_e32 vcc, 0, v0
	s_and_saveexec_b64 s[6:7], vcc
	s_cbranch_execz .LBB539_35
; %bb.30:
	s_load_dword s8, s[0:1], 0x24
	s_waitcnt lgkmcnt(0)
	s_bitcmp0_b32 s8, 0
	s_cbranch_scc0 .LBB539_32
; %bb.31:
	s_abs_i32 s8, s17
	v_cvt_f32_u32_e32 v0, s8
	s_sub_i32 s11, 0, s8
	s_abs_i32 s10, s18
	s_xor_b32 s9, s18, s17
	v_rcp_iflag_f32_e32 v0, v0
	s_ashr_i32 s9, s9, 31
	v_ashrrev_i32_e32 v35, 31, v34
	v_mov_b32_e32 v1, s2
	v_mul_f32_e32 v0, 0x4f7ffffe, v0
	v_cvt_u32_f32_e32 v0, v0
	s_nop 0
	v_readfirstlane_b32 s12, v0
	s_mul_i32 s11, s11, s12
	s_mul_hi_u32 s11, s12, s11
	s_add_i32 s12, s12, s11
	s_mul_hi_u32 s11, s10, s12
	s_mul_i32 s12, s11, s8
	s_sub_i32 s10, s10, s12
	s_add_i32 s13, s11, 1
	s_sub_i32 s12, s10, s8
	s_cmp_ge_u32 s10, s8
	s_cselect_b32 s11, s13, s11
	s_cselect_b32 s10, s12, s10
	s_add_i32 s12, s11, 1
	s_cmp_ge_u32 s10, s8
	s_cselect_b32 s8, s12, s11
	s_xor_b32 s8, s8, s9
	s_sub_i32 s8, s8, s9
	s_ashr_i32 s9, s8, 31
	s_mul_i32 s10, s9, s2
	v_mad_u64_u32 v[0:1], s[8:9], s8, v1, v[34:35]
	v_add_u32_e32 v1, s10, v1
	s_cbranch_execz .LBB539_33
	s_branch .LBB539_34
.LBB539_32:
                                        ; implicit-def: $vgpr0_vgpr1
.LBB539_33:
	s_load_dword s0, s[0:1], 0x28
	v_mov_b32_e32 v1, 0
	s_waitcnt lgkmcnt(0)
	v_mul_lo_u32 v0, s0, v34
	v_lshl_add_u64 v[0:1], v[0:1], 0, s[2:3]
.LBB539_34:
	v_lshl_add_u64 v[0:1], v[0:1], 2, s[20:21]
	global_store_dword v[0:1], v36, off
.LBB539_35:
	s_or_b64 exec, exec, s[6:7]
	s_add_i32 s0, s16, 3
	s_ashr_i32 s1, s0, 31
	s_lshr_b32 s1, s1, 30
	s_add_i32 s0, s0, s1
	s_and_b32 s6, s0, -4
	s_mul_i32 s0, s19, s2
	s_mul_hi_u32 s1, s18, s2
	s_add_i32 s1, s1, s0
	s_mul_i32 s0, s18, s2
	s_add_u32 s4, s4, s0
	;;#ASMSTART
	v_rcp_f32 v0, v36
	;;#ASMEND
	s_addc_u32 s0, s5, s1
	v_mov_b32_e32 v1, v0
	;;#ASMSTART
	v_pk_mul_f32 v[30:31], v[30:31], v[0:1]
	;;#ASMEND
	v_mov_b32_e32 v34, 0xc3700000
	v_mov_b32_e32 v35, 0x43700000
	;;#ASMSTART
	v_med3_f32 v30, v30, v34, v35
v_med3_f32 v31, v31, v34, v35
v_cvt_pk_fp8_f32 v36, v30, v31
	;;#ASMEND
	;;#ASMSTART
	v_pk_mul_f32 v[26:27], v[26:27], v[0:1]
	;;#ASMEND
	s_and_b32 s5, s0, 0xffff
	;;#ASMSTART
	v_med3_f32 v26, v26, v34, v35
v_med3_f32 v27, v27, v34, v35
v_cvt_pk_fp8_f32 v30, v26, v27
	;;#ASMEND
	s_mov_b32 s0, 0x5040100
	v_perm_b32 v26, v30, v36, s0
	s_mov_b32 s1, 0x1060504
	v_perm_b32 v26, v26, v30, s1
	;;#ASMSTART
	v_pk_mul_f32 v[30:31], v[32:33], v[0:1]
	;;#ASMEND
	s_mov_b32 s2, 0x1000504
	v_mov_b32_e32 v27, v31
	;;#ASMSTART
	v_med3_f32 v30, v30, v34, v35
v_med3_f32 v27, v27, v34, v35
v_cvt_pk_fp8_f32 v31, v30, v27
	;;#ASMEND
	;;#ASMSTART
	v_pk_mul_f32 v[28:29], v[28:29], v[0:1]
	;;#ASMEND
	s_mov_b32 s7, 0x20000
	v_mov_b32_e32 v27, v29
	;;#ASMSTART
	v_med3_f32 v28, v28, v34, v35
v_med3_f32 v27, v27, v34, v35
v_cvt_pk_fp8_f32 v29, v28, v27
	;;#ASMEND
	;;#ASMSTART
	v_pk_mul_f32 v[22:23], v[22:23], v[0:1]
	;;#ASMEND
	s_nop 0
	;;#ASMSTART
	v_med3_f32 v22, v22, v34, v35
v_med3_f32 v23, v23, v34, v35
v_cvt_pk_fp8_f32 v28, v22, v23
	;;#ASMEND
	;;#ASMSTART
	v_pk_mul_f32 v[18:19], v[18:19], v[0:1]
	;;#ASMEND
	v_perm_b32 v27, v31, v29, s2
	;;#ASMSTART
	v_med3_f32 v18, v18, v34, v35
v_med3_f32 v19, v19, v34, v35
v_cvt_pk_fp8_f32 v22, v18, v19
	;;#ASMEND
	s_nop 0
	;;#ASMSTART
	v_pk_mul_f32 v[18:19], v[24:25], v[0:1]
	;;#ASMEND
	v_perm_b32 v28, v28, v22, s2
	;;#ASMSTART
	v_med3_f32 v18, v18, v34, v35
v_med3_f32 v19, v19, v34, v35
v_cvt_pk_fp8_f32 v22, v18, v19
	;;#ASMEND
	s_nop 0
	;;#ASMSTART
	v_pk_mul_f32 v[18:19], v[20:21], v[0:1]
	;;#ASMEND
	s_nop 0
	;;#ASMSTART
	v_med3_f32 v18, v18, v34, v35
v_med3_f32 v19, v19, v34, v35
v_cvt_pk_fp8_f32 v20, v18, v19
	;;#ASMEND
	s_nop 0
	v_perm_b32 v29, v22, v20, s2
	buffer_store_dwordx4 v[26:29], v38, s[4:7], 0 offen
	;;#ASMSTART
	s_nop 0
	;;#ASMEND
	;;#ASMSTART
	v_pk_mul_f32 v[14:15], v[14:15], v[0:1]
	;;#ASMEND
	s_nop 0
	;;#ASMSTART
	v_med3_f32 v14, v14, v34, v35
v_med3_f32 v15, v15, v34, v35
v_cvt_pk_fp8_f32 v18, v14, v15
	;;#ASMEND
	;;#ASMSTART
	v_pk_mul_f32 v[10:11], v[10:11], v[0:1]
	;;#ASMEND
	s_nop 0
	;;#ASMSTART
	v_med3_f32 v10, v10, v34, v35
v_med3_f32 v11, v11, v34, v35
v_cvt_pk_fp8_f32 v14, v10, v11
	;;#ASMEND
	s_nop 0
	v_perm_b32 v10, v14, v18, s0
	v_perm_b32 v10, v10, v14, s1
	;;#ASMSTART
	v_pk_mul_f32 v[14:15], v[16:17], v[0:1]
	;;#ASMEND
	s_nop 0
	v_mov_b32_e32 v11, v15
	;;#ASMSTART
	v_med3_f32 v14, v14, v34, v35
v_med3_f32 v11, v11, v34, v35
v_cvt_pk_fp8_f32 v15, v14, v11
	;;#ASMEND
	;;#ASMSTART
	v_pk_mul_f32 v[12:13], v[12:13], v[0:1]
	;;#ASMEND
	s_nop 0
	v_mov_b32_e32 v11, v13
	;;#ASMSTART
	v_med3_f32 v12, v12, v34, v35
v_med3_f32 v11, v11, v34, v35
v_cvt_pk_fp8_f32 v13, v12, v11
	;;#ASMEND
	;;#ASMSTART
	v_pk_mul_f32 v[6:7], v[6:7], v[0:1]
	;;#ASMEND
	s_nop 0
	;;#ASMSTART
	v_med3_f32 v6, v6, v34, v35
v_med3_f32 v7, v7, v34, v35
v_cvt_pk_fp8_f32 v12, v6, v7
	;;#ASMEND
	;;#ASMSTART
	v_pk_mul_f32 v[2:3], v[2:3], v[0:1]
	;;#ASMEND
	v_perm_b32 v11, v15, v13, s2
	;;#ASMSTART
	v_med3_f32 v2, v2, v34, v35
v_med3_f32 v3, v3, v34, v35
v_cvt_pk_fp8_f32 v6, v2, v3
	;;#ASMEND
	s_nop 0
	;;#ASMSTART
	v_pk_mul_f32 v[2:3], v[8:9], v[0:1]
	;;#ASMEND
	v_perm_b32 v12, v12, v6, s2
	;;#ASMSTART
	v_med3_f32 v2, v2, v34, v35
v_med3_f32 v3, v3, v34, v35
v_cvt_pk_fp8_f32 v6, v2, v3
	;;#ASMEND
	;;#ASMSTART
	v_pk_mul_f32 v[0:1], v[4:5], v[0:1]
	;;#ASMEND
	s_nop 0
	;;#ASMSTART
	v_med3_f32 v0, v0, v34, v35
v_med3_f32 v1, v1, v34, v35
v_cvt_pk_fp8_f32 v2, v0, v1
	;;#ASMEND
	s_nop 0
	v_perm_b32 v13, v6, v2, s2
	buffer_store_dwordx4 v[10:13], v38, s[4:7], 16 offen
	;;#ASMSTART
	s_nop 0
	;;#ASMEND
.LBB539_36:
	s_endpgm
	.section	.rodata,"a",@progbits
	.p2align	6, 0x0
	.amdhsa_kernel _ZN5aiter24act_and_mul_quant_kernelIDF16_DB8_TnPFfRKT_EXadL_ZNS_11silu_kernelIDF16_EEfS4_EELi256ELi32ELb0EEEvPT0_PS3_Pfiifb
		.amdhsa_group_segment_fixed_size 0
		.amdhsa_private_segment_fixed_size 0
		.amdhsa_kernarg_size 296
		.amdhsa_user_sgpr_count 2
		.amdhsa_user_sgpr_dispatch_ptr 0
		.amdhsa_user_sgpr_queue_ptr 0
		.amdhsa_user_sgpr_kernarg_segment_ptr 1
		.amdhsa_user_sgpr_dispatch_id 0
		.amdhsa_user_sgpr_kernarg_preload_length 0
		.amdhsa_user_sgpr_kernarg_preload_offset 0
		.amdhsa_user_sgpr_private_segment_size 0
		.amdhsa_uses_dynamic_stack 0
		.amdhsa_enable_private_segment 0
		.amdhsa_system_sgpr_workgroup_id_x 1
		.amdhsa_system_sgpr_workgroup_id_y 0
		.amdhsa_system_sgpr_workgroup_id_z 0
		.amdhsa_system_sgpr_workgroup_info 0
		.amdhsa_system_vgpr_workitem_id 0
		.amdhsa_next_free_vgpr 56
		.amdhsa_next_free_sgpr 24
		.amdhsa_accum_offset 56
		.amdhsa_reserve_vcc 1
		.amdhsa_float_round_mode_32 0
		.amdhsa_float_round_mode_16_64 0
		.amdhsa_float_denorm_mode_32 3
		.amdhsa_float_denorm_mode_16_64 3
		.amdhsa_dx10_clamp 1
		.amdhsa_ieee_mode 1
		.amdhsa_fp16_overflow 0
		.amdhsa_tg_split 0
		.amdhsa_exception_fp_ieee_invalid_op 0
		.amdhsa_exception_fp_denorm_src 0
		.amdhsa_exception_fp_ieee_div_zero 0
		.amdhsa_exception_fp_ieee_overflow 0
		.amdhsa_exception_fp_ieee_underflow 0
		.amdhsa_exception_fp_ieee_inexact 0
		.amdhsa_exception_int_div_zero 0
	.end_amdhsa_kernel
	.section	.text._ZN5aiter24act_and_mul_quant_kernelIDF16_DB8_TnPFfRKT_EXadL_ZNS_11silu_kernelIDF16_EEfS4_EELi256ELi32ELb0EEEvPT0_PS3_Pfiifb,"axG",@progbits,_ZN5aiter24act_and_mul_quant_kernelIDF16_DB8_TnPFfRKT_EXadL_ZNS_11silu_kernelIDF16_EEfS4_EELi256ELi32ELb0EEEvPT0_PS3_Pfiifb,comdat
.Lfunc_end539:
	.size	_ZN5aiter24act_and_mul_quant_kernelIDF16_DB8_TnPFfRKT_EXadL_ZNS_11silu_kernelIDF16_EEfS4_EELi256ELi32ELb0EEEvPT0_PS3_Pfiifb, .Lfunc_end539-_ZN5aiter24act_and_mul_quant_kernelIDF16_DB8_TnPFfRKT_EXadL_ZNS_11silu_kernelIDF16_EEfS4_EELi256ELi32ELb0EEEvPT0_PS3_Pfiifb
                                        ; -- End function
	.section	.AMDGPU.csdata,"",@progbits
; Kernel info:
; codeLenInByte = 5856
; NumSgprs: 30
; NumVgprs: 56
; NumAgprs: 0
; TotalNumVgprs: 56
; ScratchSize: 0
; MemoryBound: 0
; FloatMode: 240
; IeeeMode: 1
; LDSByteSize: 0 bytes/workgroup (compile time only)
; SGPRBlocks: 3
; VGPRBlocks: 6
; NumSGPRsForWavesPerEU: 30
; NumVGPRsForWavesPerEU: 56
; AccumOffset: 56
; Occupancy: 8
; WaveLimiterHint : 0
; COMPUTE_PGM_RSRC2:SCRATCH_EN: 0
; COMPUTE_PGM_RSRC2:USER_SGPR: 2
; COMPUTE_PGM_RSRC2:TRAP_HANDLER: 0
; COMPUTE_PGM_RSRC2:TGID_X_EN: 1
; COMPUTE_PGM_RSRC2:TGID_Y_EN: 0
; COMPUTE_PGM_RSRC2:TGID_Z_EN: 0
; COMPUTE_PGM_RSRC2:TIDIG_COMP_CNT: 0
; COMPUTE_PGM_RSRC3_GFX90A:ACCUM_OFFSET: 13
; COMPUTE_PGM_RSRC3_GFX90A:TG_SPLIT: 0
	.section	.text._ZN5aiter24act_and_mul_quant_kernelItDB8_TnPFfRKT_EXadL_ZNS_11silu_kernelItEEfS4_EELi256ELi32ELb0EEEvPT0_PS3_Pfiifb,"axG",@progbits,_ZN5aiter24act_and_mul_quant_kernelItDB8_TnPFfRKT_EXadL_ZNS_11silu_kernelItEEfS4_EELi256ELi32ELb0EEEvPT0_PS3_Pfiifb,comdat
	.protected	_ZN5aiter24act_and_mul_quant_kernelItDB8_TnPFfRKT_EXadL_ZNS_11silu_kernelItEEfS4_EELi256ELi32ELb0EEEvPT0_PS3_Pfiifb ; -- Begin function _ZN5aiter24act_and_mul_quant_kernelItDB8_TnPFfRKT_EXadL_ZNS_11silu_kernelItEEfS4_EELi256ELi32ELb0EEEvPT0_PS3_Pfiifb
	.globl	_ZN5aiter24act_and_mul_quant_kernelItDB8_TnPFfRKT_EXadL_ZNS_11silu_kernelItEEfS4_EELi256ELi32ELb0EEEvPT0_PS3_Pfiifb
	.p2align	8
	.type	_ZN5aiter24act_and_mul_quant_kernelItDB8_TnPFfRKT_EXadL_ZNS_11silu_kernelItEEfS4_EELi256ELi32ELb0EEEvPT0_PS3_Pfiifb,@function
_ZN5aiter24act_and_mul_quant_kernelItDB8_TnPFfRKT_EXadL_ZNS_11silu_kernelItEEfS4_EELi256ELi32ELb0EEEvPT0_PS3_Pfiifb: ; @_ZN5aiter24act_and_mul_quant_kernelItDB8_TnPFfRKT_EXadL_ZNS_11silu_kernelItEEfS4_EELi256ELi32ELb0EEEvPT0_PS3_Pfiifb
; %bb.0:
	s_load_dwordx2 s[16:17], s[0:1], 0x18
	v_lshlrev_b32_e32 v36, 5, v0
	s_waitcnt lgkmcnt(0)
	v_cmp_gt_i32_e32 vcc, s16, v36
	s_and_saveexec_b64 s[4:5], vcc
	s_cbranch_execz .LBB540_36
; %bb.1:
	s_load_dwordx4 s[4:7], s[0:1], 0x0
	s_load_dwordx2 s[20:21], s[0:1], 0x10
	s_ashr_i32 s19, s16, 31
	s_mul_hi_u32 s3, s2, s16
	s_mul_i32 s8, s2, s19
	s_add_i32 s9, s3, s8
	s_mul_i32 s8, s2, s16
	s_lshl_b64 s[8:9], s[8:9], 2
	s_mov_b32 s18, s16
	s_waitcnt lgkmcnt(0)
	s_add_u32 s8, s6, s8
	s_addc_u32 s3, s7, s9
	s_lshl_b64 s[6:7], s[18:19], 1
	s_add_u32 s12, s8, s6
	s_addc_u32 s6, s3, s7
	s_lshl_b32 s7, s16, 1
	s_add_i32 s7, s7, 2
	s_and_b32 s14, s7, -4
	s_mov_b32 s15, 0x20000
	s_and_b32 s13, s6, 0xffff
	v_lshlrev_b32_e32 v34, 6, v0
	s_and_b32 s9, s3, 0xffff
	s_mov_b32 s10, s14
	s_mov_b32 s11, s15
	buffer_load_dwordx4 v[26:29], v34, s[12:15], 0 offen sc0 nt
	buffer_load_dwordx4 v[30:33], v34, s[8:11], 0 offen sc0 nt
	;; [unrolled: 1-line block ×8, first 2 shown]
	s_mov_b32 s22, 0xbfb8aa3b
	s_mov_b32 s6, 0x42ce8ed0
	;; [unrolled: 1-line block ×3, first 2 shown]
	v_mov_b32_e32 v1, 0x7f800000
	s_mov_b32 s3, 0
	s_waitcnt vmcnt(7)
	v_and_b32_e32 v35, 0xffff0000, v26
	v_lshlrev_b32_e32 v34, 16, v26
	s_waitcnt vmcnt(6)
	v_lshlrev_b32_e32 v26, 16, v30
	v_and_b32_e32 v39, 0xffff0000, v27
	v_lshlrev_b32_e32 v38, 16, v27
	v_and_b32_e32 v27, 0xffff0000, v30
	v_mul_f32_e32 v30, 0xbfb8aa3b, v26
	v_and_b32_e32 v41, 0xffff0000, v31
	v_lshlrev_b32_e32 v40, 16, v31
	v_mul_f32_e32 v31, 0xbfb8aa3b, v27
	v_fma_f32 v44, v26, s22, -v30
	v_rndne_f32_e32 v45, v30
	v_mul_f32_e32 v37, 0xbfb8aa3b, v40
	v_fma_f32 v47, v27, s22, -v31
	v_rndne_f32_e32 v48, v31
	v_fmac_f32_e32 v44, 0xb2a5705f, v26
	v_sub_f32_e32 v30, v30, v45
	v_mul_f32_e32 v43, 0xbfb8aa3b, v41
	v_fma_f32 v49, v40, s22, -v37
	v_rndne_f32_e32 v50, v37
	v_fmac_f32_e32 v47, 0xb2a5705f, v27
	v_sub_f32_e32 v31, v31, v48
	v_add_f32_e32 v30, v30, v44
	v_fma_f32 v51, v41, s22, -v43
	v_rndne_f32_e32 v52, v43
	v_cvt_i32_f32_e32 v45, v45
	v_fmac_f32_e32 v49, 0xb2a5705f, v40
	v_sub_f32_e32 v37, v37, v50
	v_add_f32_e32 v31, v31, v47
	v_exp_f32_e32 v30, v30
	v_cvt_i32_f32_e32 v48, v48
	v_fmac_f32_e32 v51, 0xb2a5705f, v41
	v_sub_f32_e32 v43, v43, v52
	v_add_f32_e32 v37, v37, v49
	v_exp_f32_e32 v31, v31
	v_cvt_i32_f32_e32 v50, v50
	v_add_f32_e32 v43, v43, v51
	v_exp_f32_e32 v37, v37
	v_cvt_i32_f32_e32 v52, v52
	v_exp_f32_e32 v43, v43
	v_ldexp_f32 v30, v30, v45
	v_cmp_nlt_f32_e32 vcc, s6, v26
	v_ldexp_f32 v31, v31, v48
	v_ldexp_f32 v37, v37, v50
	v_cndmask_b32_e32 v30, 0, v30, vcc
	v_cmp_nlt_f32_e32 vcc, s6, v27
	v_ldexp_f32 v43, v43, v52
	v_lshlrev_b32_e32 v42, 16, v32
	v_cndmask_b32_e32 v31, 0, v31, vcc
	v_cmp_nlt_f32_e32 vcc, s6, v40
	v_mul_f32_e32 v46, 0xbfb8aa3b, v42
	s_nop 0
	v_cndmask_b32_e32 v37, 0, v37, vcc
	v_cmp_nlt_f32_e32 vcc, s6, v41
	s_nop 1
	v_cndmask_b32_e32 v43, 0, v43, vcc
	v_cmp_ngt_f32_e32 vcc, s7, v26
	s_nop 1
	v_cndmask_b32_e32 v30, v1, v30, vcc
	v_cmp_ngt_f32_e32 vcc, s7, v27
	v_add_f32_e32 v30, 1.0, v30
	v_rcp_f32_e32 v30, v30
	v_cndmask_b32_e32 v31, v1, v31, vcc
	v_add_f32_e32 v31, 1.0, v31
	v_rcp_f32_e32 v31, v31
	v_cmp_ngt_f32_e32 vcc, s7, v40
	v_pk_mul_f32 v[26:27], v[30:31], v[26:27]
	s_nop 0
	v_cndmask_b32_e32 v37, v1, v37, vcc
	v_add_f32_e32 v37, 1.0, v37
	v_rcp_f32_e32 v44, v37
	v_fma_f32 v37, v42, s22, -v46
	;;#ASMSTART
	v_pk_mul_f32 v[30:31], v[26:27], v[34:35]
	;;#ASMEND
	v_rndne_f32_e32 v26, v46
	v_cmp_ngt_f32_e32 vcc, s7, v41
	v_fmac_f32_e32 v37, 0xb2a5705f, v42
	v_sub_f32_e32 v27, v46, v26
	v_cndmask_b32_e32 v43, v1, v43, vcc
	v_add_f32_e32 v27, v27, v37
	v_add_f32_e32 v43, 1.0, v43
	v_exp_f32_e32 v34, v27
	v_cvt_i32_f32_e32 v37, v26
	v_rcp_f32_e32 v45, v43
	v_and_b32_e32 v43, 0xffff0000, v32
	v_cmp_nlt_f32_e32 vcc, s6, v42
	v_ldexp_f32 v32, v34, v37
	v_mul_f32_e32 v34, 0xbfb8aa3b, v43
	v_pk_mul_f32 v[40:41], v[44:45], v[40:41]
	v_fma_f32 v37, v43, s22, -v34
	;;#ASMSTART
	v_pk_mul_f32 v[26:27], v[40:41], v[38:39]
	;;#ASMEND
	v_rndne_f32_e32 v38, v34
	v_fmac_f32_e32 v37, 0xb2a5705f, v43
	v_sub_f32_e32 v34, v34, v38
	v_add_f32_e32 v34, v34, v37
	v_exp_f32_e32 v34, v34
	v_cvt_i32_f32_e32 v37, v38
	v_cndmask_b32_e32 v32, 0, v32, vcc
	v_cmp_ngt_f32_e32 vcc, s7, v42
	v_lshlrev_b32_e32 v40, 16, v33
	v_and_b32_e32 v41, 0xffff0000, v33
	v_cndmask_b32_e32 v32, v1, v32, vcc
	v_add_f32_e32 v32, 1.0, v32
	v_rcp_f32_e32 v38, v32
	v_ldexp_f32 v32, v34, v37
	v_cmp_nlt_f32_e32 vcc, s6, v43
	v_and_b32_e32 v35, 0xffff0000, v28
	s_nop 0
	v_cndmask_b32_e32 v32, 0, v32, vcc
	v_cmp_ngt_f32_e32 vcc, s7, v43
	s_nop 1
	v_cndmask_b32_e32 v32, v1, v32, vcc
	v_add_f32_e32 v32, 1.0, v32
	v_rcp_f32_e32 v39, v32
	v_mul_f32_e32 v32, 0xbfb8aa3b, v40
	v_fma_f32 v34, v40, s22, -v32
	v_rndne_f32_e32 v37, v32
	v_fmac_f32_e32 v34, 0xb2a5705f, v40
	v_sub_f32_e32 v32, v32, v37
	v_add_f32_e32 v32, v32, v34
	v_exp_f32_e32 v32, v32
	v_cvt_i32_f32_e32 v37, v37
	v_lshlrev_b32_e32 v34, 16, v28
	v_cmp_nlt_f32_e32 vcc, s6, v40
	v_pk_mul_f32 v[38:39], v[38:39], v[42:43]
	v_ldexp_f32 v28, v32, v37
	v_mul_f32_e32 v32, 0xbfb8aa3b, v41
	v_fma_f32 v33, v41, s22, -v32
	v_rndne_f32_e32 v37, v32
	v_fmac_f32_e32 v33, 0xb2a5705f, v41
	v_sub_f32_e32 v32, v32, v37
	v_add_f32_e32 v32, v32, v33
	v_exp_f32_e32 v32, v32
	v_cvt_i32_f32_e32 v33, v37
	v_cndmask_b32_e32 v28, 0, v28, vcc
	v_cmp_ngt_f32_e32 vcc, s7, v40
	s_nop 1
	v_cndmask_b32_e32 v28, v1, v28, vcc
	v_add_f32_e32 v28, 1.0, v28
	v_rcp_f32_e32 v42, v28
	v_ldexp_f32 v28, v32, v33
	v_cmp_nlt_f32_e32 vcc, s6, v41
	;;#ASMSTART
	v_pk_mul_f32 v[32:33], v[38:39], v[34:35]
	;;#ASMEND
	s_waitcnt vmcnt(2)
	v_lshlrev_b32_e32 v38, 16, v22
	v_mul_f32_e32 v37, 0xbfb8aa3b, v38
	v_cndmask_b32_e32 v28, 0, v28, vcc
	v_cmp_ngt_f32_e32 vcc, s7, v41
	v_and_b32_e32 v35, 0xffff0000, v29
	v_lshlrev_b32_e32 v34, 16, v29
	v_cndmask_b32_e32 v28, v1, v28, vcc
	v_add_f32_e32 v28, 1.0, v28
	v_rcp_f32_e32 v43, v28
	v_fma_f32 v39, v38, s22, -v37
	v_fmac_f32_e32 v39, 0xb2a5705f, v38
	v_cmp_nlt_f32_e32 vcc, s6, v38
	v_pk_mul_f32 v[28:29], v[42:43], v[40:41]
	v_rndne_f32_e32 v40, v37
	v_sub_f32_e32 v37, v37, v40
	v_add_f32_e32 v37, v37, v39
	v_exp_f32_e32 v37, v37
	v_cvt_i32_f32_e32 v40, v40
	v_and_b32_e32 v39, 0xffff0000, v22
	;;#ASMSTART
	v_pk_mul_f32 v[28:29], v[28:29], v[34:35]
	;;#ASMEND
	v_mul_f32_e32 v34, 0xbfb8aa3b, v39
	v_ldexp_f32 v22, v37, v40
	v_fma_f32 v37, v39, s22, -v34
	v_rndne_f32_e32 v40, v34
	v_fmac_f32_e32 v37, 0xb2a5705f, v39
	v_sub_f32_e32 v34, v34, v40
	v_add_f32_e32 v34, v34, v37
	v_exp_f32_e32 v34, v34
	v_cvt_i32_f32_e32 v37, v40
	v_cndmask_b32_e32 v22, 0, v22, vcc
	v_cmp_ngt_f32_e32 vcc, s7, v38
	v_lshlrev_b32_e32 v42, 16, v23
	v_and_b32_e32 v43, 0xffff0000, v23
	v_cndmask_b32_e32 v22, v1, v22, vcc
	v_add_f32_e32 v22, 1.0, v22
	v_rcp_f32_e32 v40, v22
	v_ldexp_f32 v22, v34, v37
	v_cmp_nlt_f32_e32 vcc, s6, v39
	v_and_b32_e32 v35, 0xffff0000, v18
	s_nop 0
	v_cndmask_b32_e32 v22, 0, v22, vcc
	v_cmp_ngt_f32_e32 vcc, s7, v39
	s_nop 1
	v_cndmask_b32_e32 v22, v1, v22, vcc
	v_add_f32_e32 v22, 1.0, v22
	v_rcp_f32_e32 v41, v22
	v_mul_f32_e32 v22, 0xbfb8aa3b, v42
	v_fma_f32 v34, v42, s22, -v22
	v_rndne_f32_e32 v37, v22
	v_fmac_f32_e32 v34, 0xb2a5705f, v42
	v_sub_f32_e32 v22, v22, v37
	v_add_f32_e32 v22, v22, v34
	v_exp_f32_e32 v22, v22
	v_cvt_i32_f32_e32 v37, v37
	v_lshlrev_b32_e32 v34, 16, v18
	v_cmp_nlt_f32_e32 vcc, s6, v42
	v_pk_mul_f32 v[38:39], v[40:41], v[38:39]
	v_ldexp_f32 v18, v22, v37
	v_mul_f32_e32 v22, 0xbfb8aa3b, v43
	v_fma_f32 v23, v43, s22, -v22
	v_rndne_f32_e32 v37, v22
	v_fmac_f32_e32 v23, 0xb2a5705f, v43
	v_sub_f32_e32 v22, v22, v37
	v_add_f32_e32 v22, v22, v23
	v_exp_f32_e32 v22, v22
	v_cvt_i32_f32_e32 v23, v37
	v_cndmask_b32_e32 v18, 0, v18, vcc
	v_cmp_ngt_f32_e32 vcc, s7, v42
	s_nop 1
	v_cndmask_b32_e32 v18, v1, v18, vcc
	v_add_f32_e32 v18, 1.0, v18
	v_rcp_f32_e32 v40, v18
	v_ldexp_f32 v18, v22, v23
	v_cmp_nlt_f32_e32 vcc, s6, v43
	;;#ASMSTART
	v_pk_mul_f32 v[22:23], v[38:39], v[34:35]
	;;#ASMEND
	v_lshlrev_b32_e32 v38, 16, v24
	v_mul_f32_e32 v37, 0xbfb8aa3b, v38
	v_cndmask_b32_e32 v18, 0, v18, vcc
	v_cmp_ngt_f32_e32 vcc, s7, v43
	v_and_b32_e32 v35, 0xffff0000, v19
	v_lshlrev_b32_e32 v34, 16, v19
	v_cndmask_b32_e32 v18, v1, v18, vcc
	v_add_f32_e32 v18, 1.0, v18
	v_rcp_f32_e32 v41, v18
	v_fma_f32 v39, v38, s22, -v37
	v_fmac_f32_e32 v39, 0xb2a5705f, v38
	v_cmp_nlt_f32_e32 vcc, s6, v38
	v_pk_mul_f32 v[18:19], v[40:41], v[42:43]
	v_rndne_f32_e32 v40, v37
	v_sub_f32_e32 v37, v37, v40
	v_add_f32_e32 v37, v37, v39
	v_exp_f32_e32 v37, v37
	v_cvt_i32_f32_e32 v40, v40
	v_and_b32_e32 v39, 0xffff0000, v24
	;;#ASMSTART
	v_pk_mul_f32 v[18:19], v[18:19], v[34:35]
	;;#ASMEND
	v_mul_f32_e32 v34, 0xbfb8aa3b, v39
	v_ldexp_f32 v24, v37, v40
	v_fma_f32 v37, v39, s22, -v34
	v_rndne_f32_e32 v40, v34
	v_fmac_f32_e32 v37, 0xb2a5705f, v39
	v_sub_f32_e32 v34, v34, v40
	v_add_f32_e32 v34, v34, v37
	v_exp_f32_e32 v34, v34
	v_cvt_i32_f32_e32 v37, v40
	v_cndmask_b32_e32 v24, 0, v24, vcc
	v_cmp_ngt_f32_e32 vcc, s7, v38
	v_lshlrev_b32_e32 v42, 16, v25
	v_and_b32_e32 v43, 0xffff0000, v25
	v_cndmask_b32_e32 v24, v1, v24, vcc
	v_add_f32_e32 v24, 1.0, v24
	v_rcp_f32_e32 v40, v24
	v_ldexp_f32 v24, v34, v37
	v_cmp_nlt_f32_e32 vcc, s6, v39
	v_and_b32_e32 v35, 0xffff0000, v20
	s_nop 0
	v_cndmask_b32_e32 v24, 0, v24, vcc
	v_cmp_ngt_f32_e32 vcc, s7, v39
	s_nop 1
	v_cndmask_b32_e32 v24, v1, v24, vcc
	v_add_f32_e32 v24, 1.0, v24
	v_rcp_f32_e32 v41, v24
	v_mul_f32_e32 v24, 0xbfb8aa3b, v42
	v_fma_f32 v34, v42, s22, -v24
	v_rndne_f32_e32 v37, v24
	v_fmac_f32_e32 v34, 0xb2a5705f, v42
	v_sub_f32_e32 v24, v24, v37
	v_add_f32_e32 v24, v24, v34
	v_exp_f32_e32 v24, v24
	v_cvt_i32_f32_e32 v37, v37
	v_lshlrev_b32_e32 v34, 16, v20
	v_cmp_nlt_f32_e32 vcc, s6, v42
	v_pk_mul_f32 v[38:39], v[40:41], v[38:39]
	v_ldexp_f32 v20, v24, v37
	v_mul_f32_e32 v24, 0xbfb8aa3b, v43
	v_fma_f32 v25, v43, s22, -v24
	v_rndne_f32_e32 v37, v24
	v_fmac_f32_e32 v25, 0xb2a5705f, v43
	v_sub_f32_e32 v24, v24, v37
	v_add_f32_e32 v24, v24, v25
	v_exp_f32_e32 v24, v24
	v_cvt_i32_f32_e32 v25, v37
	v_cndmask_b32_e32 v20, 0, v20, vcc
	v_cmp_ngt_f32_e32 vcc, s7, v42
	s_nop 1
	v_cndmask_b32_e32 v20, v1, v20, vcc
	v_add_f32_e32 v20, 1.0, v20
	v_rcp_f32_e32 v40, v20
	v_ldexp_f32 v20, v24, v25
	v_cmp_nlt_f32_e32 vcc, s6, v43
	;;#ASMSTART
	v_pk_mul_f32 v[24:25], v[38:39], v[34:35]
	;;#ASMEND
	s_waitcnt vmcnt(1)
	v_lshlrev_b32_e32 v38, 16, v14
	v_mul_f32_e32 v37, 0xbfb8aa3b, v38
	v_cndmask_b32_e32 v20, 0, v20, vcc
	v_cmp_ngt_f32_e32 vcc, s7, v43
	v_and_b32_e32 v35, 0xffff0000, v21
	v_lshlrev_b32_e32 v34, 16, v21
	v_cndmask_b32_e32 v20, v1, v20, vcc
	v_add_f32_e32 v20, 1.0, v20
	v_rcp_f32_e32 v41, v20
	v_fma_f32 v39, v38, s22, -v37
	v_fmac_f32_e32 v39, 0xb2a5705f, v38
	v_cmp_nlt_f32_e32 vcc, s6, v38
	v_pk_mul_f32 v[20:21], v[40:41], v[42:43]
	v_rndne_f32_e32 v40, v37
	v_sub_f32_e32 v37, v37, v40
	v_add_f32_e32 v37, v37, v39
	v_exp_f32_e32 v37, v37
	v_cvt_i32_f32_e32 v40, v40
	v_and_b32_e32 v39, 0xffff0000, v14
	;;#ASMSTART
	v_pk_mul_f32 v[20:21], v[20:21], v[34:35]
	;;#ASMEND
	v_mul_f32_e32 v34, 0xbfb8aa3b, v39
	v_ldexp_f32 v14, v37, v40
	v_fma_f32 v37, v39, s22, -v34
	v_rndne_f32_e32 v40, v34
	v_fmac_f32_e32 v37, 0xb2a5705f, v39
	v_sub_f32_e32 v34, v34, v40
	v_add_f32_e32 v34, v34, v37
	v_exp_f32_e32 v34, v34
	v_cvt_i32_f32_e32 v37, v40
	v_cndmask_b32_e32 v14, 0, v14, vcc
	v_cmp_ngt_f32_e32 vcc, s7, v38
	v_lshlrev_b32_e32 v42, 16, v15
	v_and_b32_e32 v43, 0xffff0000, v15
	v_cndmask_b32_e32 v14, v1, v14, vcc
	v_add_f32_e32 v14, 1.0, v14
	v_rcp_f32_e32 v40, v14
	v_ldexp_f32 v14, v34, v37
	v_cmp_nlt_f32_e32 vcc, s6, v39
	v_and_b32_e32 v35, 0xffff0000, v10
	s_nop 0
	v_cndmask_b32_e32 v14, 0, v14, vcc
	v_cmp_ngt_f32_e32 vcc, s7, v39
	s_nop 1
	v_cndmask_b32_e32 v14, v1, v14, vcc
	v_add_f32_e32 v14, 1.0, v14
	v_rcp_f32_e32 v41, v14
	v_mul_f32_e32 v14, 0xbfb8aa3b, v42
	v_fma_f32 v34, v42, s22, -v14
	v_rndne_f32_e32 v37, v14
	v_fmac_f32_e32 v34, 0xb2a5705f, v42
	v_sub_f32_e32 v14, v14, v37
	v_add_f32_e32 v14, v14, v34
	v_exp_f32_e32 v14, v14
	v_cvt_i32_f32_e32 v37, v37
	v_lshlrev_b32_e32 v34, 16, v10
	v_cmp_nlt_f32_e32 vcc, s6, v42
	v_pk_mul_f32 v[38:39], v[40:41], v[38:39]
	v_ldexp_f32 v10, v14, v37
	v_mul_f32_e32 v14, 0xbfb8aa3b, v43
	v_fma_f32 v15, v43, s22, -v14
	v_rndne_f32_e32 v37, v14
	v_fmac_f32_e32 v15, 0xb2a5705f, v43
	v_sub_f32_e32 v14, v14, v37
	v_add_f32_e32 v14, v14, v15
	v_exp_f32_e32 v14, v14
	v_cvt_i32_f32_e32 v15, v37
	v_cndmask_b32_e32 v10, 0, v10, vcc
	v_cmp_ngt_f32_e32 vcc, s7, v42
	s_nop 1
	v_cndmask_b32_e32 v10, v1, v10, vcc
	v_add_f32_e32 v10, 1.0, v10
	v_rcp_f32_e32 v40, v10
	v_ldexp_f32 v10, v14, v15
	v_cmp_nlt_f32_e32 vcc, s6, v43
	;;#ASMSTART
	v_pk_mul_f32 v[14:15], v[38:39], v[34:35]
	;;#ASMEND
	v_lshlrev_b32_e32 v38, 16, v16
	v_mul_f32_e32 v37, 0xbfb8aa3b, v38
	v_cndmask_b32_e32 v10, 0, v10, vcc
	v_cmp_ngt_f32_e32 vcc, s7, v43
	v_and_b32_e32 v35, 0xffff0000, v11
	v_lshlrev_b32_e32 v34, 16, v11
	v_cndmask_b32_e32 v10, v1, v10, vcc
	v_add_f32_e32 v10, 1.0, v10
	v_rcp_f32_e32 v41, v10
	v_fma_f32 v39, v38, s22, -v37
	v_fmac_f32_e32 v39, 0xb2a5705f, v38
	v_cmp_nlt_f32_e32 vcc, s6, v38
	v_pk_mul_f32 v[10:11], v[40:41], v[42:43]
	v_rndne_f32_e32 v40, v37
	v_sub_f32_e32 v37, v37, v40
	v_add_f32_e32 v37, v37, v39
	v_exp_f32_e32 v37, v37
	v_cvt_i32_f32_e32 v40, v40
	v_and_b32_e32 v39, 0xffff0000, v16
	;;#ASMSTART
	v_pk_mul_f32 v[10:11], v[10:11], v[34:35]
	;;#ASMEND
	v_mul_f32_e32 v34, 0xbfb8aa3b, v39
	v_ldexp_f32 v16, v37, v40
	v_fma_f32 v37, v39, s22, -v34
	v_rndne_f32_e32 v40, v34
	v_fmac_f32_e32 v37, 0xb2a5705f, v39
	v_sub_f32_e32 v34, v34, v40
	v_add_f32_e32 v34, v34, v37
	v_exp_f32_e32 v34, v34
	v_cvt_i32_f32_e32 v37, v40
	v_cndmask_b32_e32 v16, 0, v16, vcc
	v_cmp_ngt_f32_e32 vcc, s7, v38
	v_lshlrev_b32_e32 v42, 16, v17
	v_and_b32_e32 v43, 0xffff0000, v17
	v_cndmask_b32_e32 v16, v1, v16, vcc
	v_add_f32_e32 v16, 1.0, v16
	v_rcp_f32_e32 v40, v16
	v_ldexp_f32 v16, v34, v37
	v_cmp_nlt_f32_e32 vcc, s6, v39
	v_and_b32_e32 v35, 0xffff0000, v12
	s_nop 0
	v_cndmask_b32_e32 v16, 0, v16, vcc
	v_cmp_ngt_f32_e32 vcc, s7, v39
	s_nop 1
	v_cndmask_b32_e32 v16, v1, v16, vcc
	v_add_f32_e32 v16, 1.0, v16
	v_rcp_f32_e32 v41, v16
	v_mul_f32_e32 v16, 0xbfb8aa3b, v42
	v_fma_f32 v34, v42, s22, -v16
	v_rndne_f32_e32 v37, v16
	v_fmac_f32_e32 v34, 0xb2a5705f, v42
	v_sub_f32_e32 v16, v16, v37
	v_add_f32_e32 v16, v16, v34
	v_exp_f32_e32 v16, v16
	v_cvt_i32_f32_e32 v37, v37
	v_lshlrev_b32_e32 v34, 16, v12
	v_cmp_nlt_f32_e32 vcc, s6, v42
	v_pk_mul_f32 v[38:39], v[40:41], v[38:39]
	v_ldexp_f32 v12, v16, v37
	v_mul_f32_e32 v16, 0xbfb8aa3b, v43
	v_fma_f32 v17, v43, s22, -v16
	v_rndne_f32_e32 v37, v16
	v_fmac_f32_e32 v17, 0xb2a5705f, v43
	v_sub_f32_e32 v16, v16, v37
	v_add_f32_e32 v16, v16, v17
	v_exp_f32_e32 v16, v16
	v_cvt_i32_f32_e32 v17, v37
	v_cndmask_b32_e32 v12, 0, v12, vcc
	v_cmp_ngt_f32_e32 vcc, s7, v42
	s_nop 1
	v_cndmask_b32_e32 v12, v1, v12, vcc
	v_add_f32_e32 v12, 1.0, v12
	v_rcp_f32_e32 v40, v12
	v_ldexp_f32 v12, v16, v17
	v_cmp_nlt_f32_e32 vcc, s6, v43
	;;#ASMSTART
	v_pk_mul_f32 v[16:17], v[38:39], v[34:35]
	;;#ASMEND
	s_waitcnt vmcnt(0)
	v_lshlrev_b32_e32 v38, 16, v6
	v_mul_f32_e32 v37, 0xbfb8aa3b, v38
	v_cndmask_b32_e32 v12, 0, v12, vcc
	v_cmp_ngt_f32_e32 vcc, s7, v43
	v_and_b32_e32 v35, 0xffff0000, v13
	v_lshlrev_b32_e32 v34, 16, v13
	v_cndmask_b32_e32 v12, v1, v12, vcc
	v_add_f32_e32 v12, 1.0, v12
	v_rcp_f32_e32 v41, v12
	v_fma_f32 v39, v38, s22, -v37
	v_fmac_f32_e32 v39, 0xb2a5705f, v38
	v_cmp_nlt_f32_e32 vcc, s6, v38
	v_pk_mul_f32 v[12:13], v[40:41], v[42:43]
	v_rndne_f32_e32 v40, v37
	v_sub_f32_e32 v37, v37, v40
	v_add_f32_e32 v37, v37, v39
	v_exp_f32_e32 v37, v37
	v_cvt_i32_f32_e32 v40, v40
	v_and_b32_e32 v39, 0xffff0000, v6
	;;#ASMSTART
	v_pk_mul_f32 v[12:13], v[12:13], v[34:35]
	;;#ASMEND
	v_mul_f32_e32 v34, 0xbfb8aa3b, v39
	v_ldexp_f32 v6, v37, v40
	v_fma_f32 v37, v39, s22, -v34
	v_rndne_f32_e32 v40, v34
	v_fmac_f32_e32 v37, 0xb2a5705f, v39
	v_sub_f32_e32 v34, v34, v40
	v_add_f32_e32 v34, v34, v37
	v_exp_f32_e32 v34, v34
	v_cvt_i32_f32_e32 v37, v40
	v_cndmask_b32_e32 v6, 0, v6, vcc
	v_cmp_ngt_f32_e32 vcc, s7, v38
	v_lshlrev_b32_e32 v42, 16, v7
	v_and_b32_e32 v43, 0xffff0000, v7
	v_cndmask_b32_e32 v6, v1, v6, vcc
	v_add_f32_e32 v6, 1.0, v6
	v_rcp_f32_e32 v40, v6
	v_ldexp_f32 v6, v34, v37
	v_cmp_nlt_f32_e32 vcc, s6, v39
	v_and_b32_e32 v35, 0xffff0000, v2
	s_nop 0
	v_cndmask_b32_e32 v6, 0, v6, vcc
	v_cmp_ngt_f32_e32 vcc, s7, v39
	s_nop 1
	v_cndmask_b32_e32 v6, v1, v6, vcc
	v_add_f32_e32 v6, 1.0, v6
	v_rcp_f32_e32 v41, v6
	v_mul_f32_e32 v6, 0xbfb8aa3b, v42
	v_fma_f32 v34, v42, s22, -v6
	v_rndne_f32_e32 v37, v6
	v_fmac_f32_e32 v34, 0xb2a5705f, v42
	v_sub_f32_e32 v6, v6, v37
	v_add_f32_e32 v6, v6, v34
	v_exp_f32_e32 v6, v6
	v_cvt_i32_f32_e32 v37, v37
	v_lshlrev_b32_e32 v34, 16, v2
	v_cmp_nlt_f32_e32 vcc, s6, v42
	v_pk_mul_f32 v[38:39], v[40:41], v[38:39]
	v_ldexp_f32 v2, v6, v37
	v_mul_f32_e32 v6, 0xbfb8aa3b, v43
	v_fma_f32 v7, v43, s22, -v6
	v_rndne_f32_e32 v37, v6
	v_fmac_f32_e32 v7, 0xb2a5705f, v43
	v_sub_f32_e32 v6, v6, v37
	v_add_f32_e32 v6, v6, v7
	v_exp_f32_e32 v6, v6
	v_cvt_i32_f32_e32 v7, v37
	v_cndmask_b32_e32 v2, 0, v2, vcc
	v_cmp_ngt_f32_e32 vcc, s7, v42
	s_nop 1
	v_cndmask_b32_e32 v2, v1, v2, vcc
	v_add_f32_e32 v2, 1.0, v2
	v_rcp_f32_e32 v40, v2
	v_ldexp_f32 v2, v6, v7
	v_cmp_nlt_f32_e32 vcc, s6, v43
	;;#ASMSTART
	v_pk_mul_f32 v[6:7], v[38:39], v[34:35]
	;;#ASMEND
	v_lshlrev_b32_e32 v38, 16, v8
	v_mul_f32_e32 v37, 0xbfb8aa3b, v38
	v_cndmask_b32_e32 v2, 0, v2, vcc
	v_cmp_ngt_f32_e32 vcc, s7, v43
	v_and_b32_e32 v35, 0xffff0000, v3
	v_lshlrev_b32_e32 v34, 16, v3
	v_cndmask_b32_e32 v2, v1, v2, vcc
	v_add_f32_e32 v2, 1.0, v2
	v_rcp_f32_e32 v41, v2
	v_fma_f32 v39, v38, s22, -v37
	v_fmac_f32_e32 v39, 0xb2a5705f, v38
	v_cmp_nlt_f32_e32 vcc, s6, v38
	v_pk_mul_f32 v[2:3], v[40:41], v[42:43]
	v_rndne_f32_e32 v40, v37
	v_sub_f32_e32 v37, v37, v40
	v_add_f32_e32 v37, v37, v39
	v_exp_f32_e32 v37, v37
	v_cvt_i32_f32_e32 v40, v40
	v_and_b32_e32 v39, 0xffff0000, v8
	;;#ASMSTART
	v_pk_mul_f32 v[2:3], v[2:3], v[34:35]
	;;#ASMEND
	v_mul_f32_e32 v34, 0xbfb8aa3b, v39
	v_ldexp_f32 v8, v37, v40
	v_fma_f32 v37, v39, s22, -v34
	v_rndne_f32_e32 v40, v34
	v_fmac_f32_e32 v37, 0xb2a5705f, v39
	v_sub_f32_e32 v34, v34, v40
	v_add_f32_e32 v34, v34, v37
	v_exp_f32_e32 v34, v34
	v_cvt_i32_f32_e32 v37, v40
	v_cndmask_b32_e32 v8, 0, v8, vcc
	v_cmp_ngt_f32_e32 vcc, s7, v38
	v_lshlrev_b32_e32 v42, 16, v9
	v_and_b32_e32 v43, 0xffff0000, v9
	v_cndmask_b32_e32 v8, v1, v8, vcc
	v_add_f32_e32 v8, 1.0, v8
	v_rcp_f32_e32 v40, v8
	v_ldexp_f32 v8, v34, v37
	v_cmp_nlt_f32_e32 vcc, s6, v39
	v_and_b32_e32 v35, 0xffff0000, v4
	s_nop 0
	v_cndmask_b32_e32 v8, 0, v8, vcc
	v_cmp_ngt_f32_e32 vcc, s7, v39
	s_nop 1
	v_cndmask_b32_e32 v8, v1, v8, vcc
	v_add_f32_e32 v8, 1.0, v8
	v_rcp_f32_e32 v41, v8
	v_mul_f32_e32 v8, 0xbfb8aa3b, v42
	v_fma_f32 v34, v42, s22, -v8
	v_rndne_f32_e32 v37, v8
	v_fmac_f32_e32 v34, 0xb2a5705f, v42
	v_sub_f32_e32 v8, v8, v37
	v_add_f32_e32 v8, v8, v34
	v_exp_f32_e32 v8, v8
	v_cvt_i32_f32_e32 v37, v37
	v_lshlrev_b32_e32 v34, 16, v4
	v_cmp_nlt_f32_e32 vcc, s6, v42
	v_pk_mul_f32 v[38:39], v[40:41], v[38:39]
	v_ldexp_f32 v4, v8, v37
	v_mul_f32_e32 v8, 0xbfb8aa3b, v43
	v_fma_f32 v9, v43, s22, -v8
	v_rndne_f32_e32 v37, v8
	v_fmac_f32_e32 v9, 0xb2a5705f, v43
	v_sub_f32_e32 v8, v8, v37
	v_add_f32_e32 v8, v8, v9
	v_exp_f32_e32 v8, v8
	v_cvt_i32_f32_e32 v9, v37
	v_cndmask_b32_e32 v4, 0, v4, vcc
	v_cmp_ngt_f32_e32 vcc, s7, v42
	s_nop 1
	v_cndmask_b32_e32 v4, v1, v4, vcc
	v_add_f32_e32 v4, 1.0, v4
	v_rcp_f32_e32 v40, v4
	v_ldexp_f32 v4, v8, v9
	v_cmp_nlt_f32_e32 vcc, s6, v43
	;;#ASMSTART
	v_pk_mul_f32 v[8:9], v[38:39], v[34:35]
	;;#ASMEND
	v_and_b32_e32 v35, 0xffff0000, v5
	v_lshlrev_b32_e32 v34, 16, v5
	v_cndmask_b32_e32 v4, 0, v4, vcc
	v_cmp_ngt_f32_e32 vcc, s7, v43
	s_ashr_i32 s6, s17, 31
	s_lshr_b32 s6, s6, 27
	v_cndmask_b32_e32 v1, v1, v4, vcc
	v_add_f32_e32 v1, 1.0, v1
	v_rcp_f32_e32 v41, v1
	v_and_b32_e32 v1, 0x7fffffff, v30
	s_add_i32 s6, s17, s6
	s_ashr_i32 s8, s6, 5
	v_pk_mul_f32 v[4:5], v[40:41], v[42:43]
	s_cmp_lt_i32 s8, 16
	;;#ASMSTART
	v_pk_mul_f32 v[4:5], v[4:5], v[34:35]
	;;#ASMEND
	v_and_b32_e32 v34, 0x7fffffff, v31
	v_mov_b32_e32 v35, 0x2edbe6ff
	;;#ASMSTART
	v_max3_f32 v1, v35, v1, v34

	;;#ASMEND
	v_and_b32_e32 v34, 0x7fffffff, v26
	v_and_b32_e32 v35, 0x7fffffff, v27
	;;#ASMSTART
	v_max3_f32 v1, v1, v34, v35

	;;#ASMEND
	v_and_b32_e32 v34, 0x7fffffff, v32
	v_and_b32_e32 v35, 0x7fffffff, v33
	;; [unrolled: 6-line block ×15, first 2 shown]
	;;#ASMSTART
	v_max3_f32 v1, v1, v34, v35

	;;#ASMEND
	s_cbranch_scc1 .LBB540_7
; %bb.2:
	s_cmp_lt_i32 s8, 32
	s_cbranch_scc1 .LBB540_8
; %bb.3:
	s_cmp_lt_i32 s8, 64
	s_cbranch_scc1 .LBB540_9
; %bb.4:
	s_cmp_eq_u32 s8, 64
	v_mov_b32_e32 v34, v1
	s_cbranch_scc0 .LBB540_6
; %bb.5:
	s_nop 0
	v_mov_b32_dpp v34, v1 quad_perm:[1,0,3,2] row_mask:0xf bank_mask:0xf
	v_cmp_gt_f32_e32 vcc, v1, v34
	v_bfrev_b32_e32 v37, 0.5
	s_nop 0
	v_cndmask_b32_e32 v34, v34, v1, vcc
	s_nop 1
	v_mov_b32_dpp v35, v34 quad_perm:[2,3,0,1] row_mask:0xf bank_mask:0xf
	v_cmp_gt_f32_e32 vcc, v34, v35
	s_nop 1
	v_cndmask_b32_e32 v34, v35, v34, vcc
	s_nop 1
	v_mov_b32_dpp v35, v34 row_ror:4 row_mask:0xf bank_mask:0xf
	v_cmp_gt_f32_e32 vcc, v34, v35
	s_nop 1
	v_cndmask_b32_e32 v34, v35, v34, vcc
	s_nop 1
	v_mov_b32_dpp v35, v34 row_ror:8 row_mask:0xf bank_mask:0xf
	v_cmp_gt_f32_e32 vcc, v34, v35
	s_nop 1
	v_cndmask_b32_e32 v34, v35, v34, vcc
	s_nop 1
	v_mov_b32_dpp v35, v34 row_bcast:15 row_mask:0xf bank_mask:0xf
	v_cmp_gt_f32_e32 vcc, v34, v35
	s_nop 1
	v_cndmask_b32_e32 v34, v35, v34, vcc
	s_nop 1
	v_mov_b32_dpp v35, v34 row_bcast:31 row_mask:0xf bank_mask:0xf
	v_cmp_gt_f32_e32 vcc, v34, v35
	s_nop 1
	v_cndmask_b32_e32 v34, v35, v34, vcc
	v_mbcnt_lo_u32_b32 v35, -1, 0
	v_mbcnt_hi_u32_b32 v35, -1, v35
	v_lshl_or_b32 v35, v35, 2, v37
	ds_bpermute_b32 v34, v35, v34
.LBB540_6:
	s_cbranch_execz .LBB540_10
	s_branch .LBB540_12
.LBB540_7:
                                        ; implicit-def: $vgpr34
	s_branch .LBB540_16
.LBB540_8:
                                        ; implicit-def: $vgpr34
	s_branch .LBB540_13
.LBB540_9:
                                        ; implicit-def: $vgpr34
.LBB540_10:
	s_cmp_eq_u32 s8, 32
	s_waitcnt lgkmcnt(0)
	v_mov_b32_e32 v34, v1
	s_cbranch_scc0 .LBB540_12
; %bb.11:
	s_nop 0
	v_mov_b32_dpp v34, v1 quad_perm:[1,0,3,2] row_mask:0xf bank_mask:0xf
	v_cmp_gt_f32_e32 vcc, v1, v34
	v_mov_b32_e32 v37, 0x7c
	s_nop 0
	v_cndmask_b32_e32 v34, v34, v1, vcc
	s_nop 1
	v_mov_b32_dpp v35, v34 quad_perm:[2,3,0,1] row_mask:0xf bank_mask:0xf
	v_cmp_gt_f32_e32 vcc, v34, v35
	s_nop 1
	v_cndmask_b32_e32 v34, v35, v34, vcc
	s_nop 1
	v_mov_b32_dpp v35, v34 row_half_mirror row_mask:0xf bank_mask:0xf
	v_cmp_gt_f32_e32 vcc, v34, v35
	s_nop 1
	v_cndmask_b32_e32 v34, v35, v34, vcc
	s_nop 1
	v_mov_b32_dpp v35, v34 row_mirror row_mask:0xf bank_mask:0xf
	v_cmp_gt_f32_e32 vcc, v34, v35
	s_nop 1
	v_cndmask_b32_e32 v34, v35, v34, vcc
	s_nop 1
	v_mov_b32_dpp v35, v34 row_bcast:15 row_mask:0xa bank_mask:0xf
	v_cmp_gt_f32_e32 vcc, v34, v35
	s_nop 1
	v_cndmask_b32_e32 v34, v35, v34, vcc
	v_mbcnt_lo_u32_b32 v35, -1, 0
	v_mbcnt_hi_u32_b32 v35, -1, v35
	v_lshl_or_b32 v35, v35, 2, v37
	ds_bpermute_b32 v34, v35, v34
.LBB540_12:
	s_cbranch_execnz .LBB540_15
.LBB540_13:
	s_cmp_eq_u32 s8, 16
	s_waitcnt lgkmcnt(0)
	v_mov_b32_e32 v34, v1
	s_cbranch_scc0 .LBB540_15
; %bb.14:
	s_nop 0
	v_mov_b32_dpp v34, v1 quad_perm:[1,0,3,2] row_mask:0xf bank_mask:0xf
	v_cmp_gt_f32_e32 vcc, v1, v34
	s_nop 1
	v_cndmask_b32_e32 v34, v34, v1, vcc
	s_nop 1
	v_mov_b32_dpp v35, v34 quad_perm:[2,3,0,1] row_mask:0xf bank_mask:0xf
	v_cmp_gt_f32_e32 vcc, v34, v35
	s_nop 1
	v_cndmask_b32_e32 v34, v35, v34, vcc
	s_nop 1
	v_mov_b32_dpp v35, v34 row_half_mirror row_mask:0xf bank_mask:0xf
	v_cmp_gt_f32_e32 vcc, v34, v35
	s_nop 1
	v_cndmask_b32_e32 v34, v35, v34, vcc
	s_nop 1
	v_mov_b32_dpp v35, v34 row_mirror row_mask:0xf bank_mask:0xf
	v_cmp_gt_f32_e32 vcc, v34, v35
	s_nop 1
	v_cndmask_b32_e32 v34, v35, v34, vcc
.LBB540_15:
	s_cbranch_execnz .LBB540_29
.LBB540_16:
	s_cmp_lt_i32 s8, 4
	s_cbranch_scc1 .LBB540_20
; %bb.17:
	s_cmp_lt_i32 s8, 8
	s_cbranch_scc1 .LBB540_21
; %bb.18:
	s_cmp_eq_u32 s8, 8
	s_waitcnt lgkmcnt(0)
	v_mov_b32_e32 v34, v1
	s_cbranch_scc0 .LBB540_22
; %bb.19:
	s_nop 0
	v_mov_b32_dpp v34, v1 quad_perm:[1,0,3,2] row_mask:0xf bank_mask:0xf
	v_cmp_gt_f32_e32 vcc, v1, v34
	s_nop 1
	v_cndmask_b32_e32 v34, v34, v1, vcc
	s_nop 1
	v_mov_b32_dpp v35, v34 quad_perm:[2,3,0,1] row_mask:0xf bank_mask:0xf
	v_cmp_gt_f32_e32 vcc, v34, v35
	s_nop 1
	v_cndmask_b32_e32 v34, v35, v34, vcc
	s_nop 1
	v_mov_b32_dpp v35, v34 row_half_mirror row_mask:0xf bank_mask:0xf
	v_cmp_gt_f32_e32 vcc, v34, v35
	s_nop 1
	v_cndmask_b32_e32 v34, v35, v34, vcc
	s_cbranch_execz .LBB540_23
	s_branch .LBB540_25
.LBB540_20:
                                        ; implicit-def: $vgpr34
	s_branch .LBB540_26
.LBB540_21:
                                        ; implicit-def: $vgpr34
	s_branch .LBB540_23
.LBB540_22:
	s_cbranch_execnz .LBB540_25
.LBB540_23:
	s_cmp_eq_u32 s8, 4
	s_waitcnt lgkmcnt(0)
	v_mov_b32_e32 v34, v1
	s_cbranch_scc0 .LBB540_25
; %bb.24:
	s_nop 0
	v_mov_b32_dpp v34, v1 quad_perm:[1,0,3,2] row_mask:0xf bank_mask:0xf
	v_cmp_gt_f32_e32 vcc, v1, v34
	s_nop 1
	v_cndmask_b32_e32 v34, v34, v1, vcc
	s_nop 1
	v_mov_b32_dpp v35, v34 quad_perm:[2,3,0,1] row_mask:0xf bank_mask:0xf
	v_cmp_gt_f32_e32 vcc, v34, v35
	s_nop 1
	v_cndmask_b32_e32 v34, v35, v34, vcc
.LBB540_25:
	s_cbranch_execnz .LBB540_29
.LBB540_26:
	s_cmp_lg_u32 s8, 2
	s_cbranch_scc1 .LBB540_28
; %bb.27:
	s_waitcnt lgkmcnt(0)
	v_mov_b32_dpp v34, v1 quad_perm:[1,0,3,2] row_mask:0xf bank_mask:0xf
	v_cmp_gt_f32_e32 vcc, v1, v34
	s_nop 1
	v_cndmask_b32_e32 v1, v34, v1, vcc
.LBB540_28:
	s_waitcnt lgkmcnt(0)
	v_mov_b32_e32 v34, v1
.LBB540_29:
	s_abs_i32 s6, s8
	v_cvt_f32_u32_e32 v1, s6
	s_sub_i32 s9, 0, s6
	s_waitcnt lgkmcnt(0)
	v_mul_f32_e32 v37, 0x3b888889, v34
	s_ashr_i32 s7, s8, 31
	v_rcp_iflag_f32_e32 v1, v1
	s_nop 0
	v_mul_f32_e32 v1, 0x4f7ffffe, v1
	v_cvt_u32_f32_e32 v1, v1
	v_mul_lo_u32 v34, s9, v1
	v_mul_hi_u32 v34, v1, v34
	v_add_u32_e32 v1, v1, v34
	v_mul_hi_u32 v1, v0, v1
	v_mul_lo_u32 v34, v1, s6
	v_sub_u32_e32 v34, v0, v34
	v_add_u32_e32 v35, 1, v1
	v_cmp_le_u32_e32 vcc, s6, v34
	s_nop 1
	v_cndmask_b32_e32 v1, v1, v35, vcc
	v_subrev_u32_e32 v35, s6, v34
	v_cndmask_b32_e32 v34, v34, v35, vcc
	v_add_u32_e32 v35, 1, v1
	v_cmp_le_u32_e32 vcc, s6, v34
	s_nop 1
	v_cndmask_b32_e32 v1, v1, v35, vcc
	v_xor_b32_e32 v1, s7, v1
	v_subrev_u32_e32 v34, s7, v1
	v_mul_lo_u32 v1, v34, s8
	v_sub_u32_e32 v0, v0, v1
	v_cmp_eq_u32_e32 vcc, 0, v0
	s_and_saveexec_b64 s[6:7], vcc
	s_cbranch_execz .LBB540_35
; %bb.30:
	s_load_dword s8, s[0:1], 0x24
	s_waitcnt lgkmcnt(0)
	s_bitcmp0_b32 s8, 0
	s_cbranch_scc0 .LBB540_32
; %bb.31:
	s_abs_i32 s8, s17
	v_cvt_f32_u32_e32 v0, s8
	s_sub_i32 s11, 0, s8
	s_abs_i32 s10, s18
	s_xor_b32 s9, s18, s17
	v_rcp_iflag_f32_e32 v0, v0
	s_ashr_i32 s9, s9, 31
	v_ashrrev_i32_e32 v35, 31, v34
	v_mov_b32_e32 v1, s2
	v_mul_f32_e32 v0, 0x4f7ffffe, v0
	v_cvt_u32_f32_e32 v0, v0
	s_nop 0
	v_readfirstlane_b32 s12, v0
	s_mul_i32 s11, s11, s12
	s_mul_hi_u32 s11, s12, s11
	s_add_i32 s12, s12, s11
	s_mul_hi_u32 s11, s10, s12
	s_mul_i32 s12, s11, s8
	s_sub_i32 s10, s10, s12
	s_add_i32 s13, s11, 1
	s_sub_i32 s12, s10, s8
	s_cmp_ge_u32 s10, s8
	s_cselect_b32 s11, s13, s11
	s_cselect_b32 s10, s12, s10
	s_add_i32 s12, s11, 1
	s_cmp_ge_u32 s10, s8
	s_cselect_b32 s8, s12, s11
	s_xor_b32 s8, s8, s9
	s_sub_i32 s8, s8, s9
	s_ashr_i32 s9, s8, 31
	s_mul_i32 s10, s9, s2
	v_mad_u64_u32 v[0:1], s[8:9], s8, v1, v[34:35]
	v_add_u32_e32 v1, s10, v1
	s_cbranch_execz .LBB540_33
	s_branch .LBB540_34
.LBB540_32:
                                        ; implicit-def: $vgpr0_vgpr1
.LBB540_33:
	s_load_dword s0, s[0:1], 0x28
	v_mov_b32_e32 v1, 0
	s_waitcnt lgkmcnt(0)
	v_mul_lo_u32 v0, s0, v34
	v_lshl_add_u64 v[0:1], v[0:1], 0, s[2:3]
.LBB540_34:
	v_lshl_add_u64 v[0:1], v[0:1], 2, s[20:21]
	global_store_dword v[0:1], v37, off
.LBB540_35:
	s_or_b64 exec, exec, s[6:7]
	s_add_i32 s0, s16, 3
	s_ashr_i32 s1, s0, 31
	s_lshr_b32 s1, s1, 30
	s_add_i32 s0, s0, s1
	s_and_b32 s6, s0, -4
	s_mul_i32 s0, s19, s2
	s_mul_hi_u32 s1, s18, s2
	s_add_i32 s1, s1, s0
	s_mul_i32 s0, s18, s2
	s_add_u32 s4, s4, s0
	;;#ASMSTART
	v_rcp_f32 v0, v37
	;;#ASMEND
	s_addc_u32 s0, s5, s1
	v_mov_b32_e32 v1, v0
	;;#ASMSTART
	v_pk_mul_f32 v[30:31], v[30:31], v[0:1]
	;;#ASMEND
	v_mov_b32_e32 v34, 0xc3700000
	v_mov_b32_e32 v35, 0x43700000
	;;#ASMSTART
	v_med3_f32 v30, v30, v34, v35
v_med3_f32 v31, v31, v34, v35
v_cvt_pk_fp8_f32 v37, v30, v31
	;;#ASMEND
	;;#ASMSTART
	v_pk_mul_f32 v[26:27], v[26:27], v[0:1]
	;;#ASMEND
	s_and_b32 s5, s0, 0xffff
	;;#ASMSTART
	v_med3_f32 v26, v26, v34, v35
v_med3_f32 v27, v27, v34, v35
v_cvt_pk_fp8_f32 v30, v26, v27
	;;#ASMEND
	s_mov_b32 s0, 0x5040100
	v_perm_b32 v26, v30, v37, s0
	s_mov_b32 s1, 0x1060504
	v_perm_b32 v26, v26, v30, s1
	;;#ASMSTART
	v_pk_mul_f32 v[30:31], v[32:33], v[0:1]
	;;#ASMEND
	s_mov_b32 s2, 0x1000504
	v_mov_b32_e32 v27, v30
	;;#ASMSTART
	v_med3_f32 v27, v27, v34, v35
v_med3_f32 v31, v31, v34, v35
v_cvt_pk_fp8_f32 v30, v27, v31
	;;#ASMEND
	;;#ASMSTART
	v_pk_mul_f32 v[28:29], v[28:29], v[0:1]
	;;#ASMEND
	s_mov_b32 s7, 0x20000
	v_mov_b32_e32 v27, v29
	;;#ASMSTART
	v_med3_f32 v28, v28, v34, v35
v_med3_f32 v27, v27, v34, v35
v_cvt_pk_fp8_f32 v29, v28, v27
	;;#ASMEND
	;;#ASMSTART
	v_pk_mul_f32 v[22:23], v[22:23], v[0:1]
	;;#ASMEND
	s_nop 0
	;;#ASMSTART
	v_med3_f32 v22, v22, v34, v35
v_med3_f32 v23, v23, v34, v35
v_cvt_pk_fp8_f32 v28, v22, v23
	;;#ASMEND
	;;#ASMSTART
	v_pk_mul_f32 v[18:19], v[18:19], v[0:1]
	;;#ASMEND
	v_perm_b32 v27, v30, v29, s2
	;;#ASMSTART
	v_med3_f32 v18, v18, v34, v35
v_med3_f32 v19, v19, v34, v35
v_cvt_pk_fp8_f32 v22, v18, v19
	;;#ASMEND
	s_nop 0
	;;#ASMSTART
	v_pk_mul_f32 v[18:19], v[24:25], v[0:1]
	;;#ASMEND
	v_perm_b32 v28, v28, v22, s2
	;;#ASMSTART
	v_med3_f32 v18, v18, v34, v35
v_med3_f32 v19, v19, v34, v35
v_cvt_pk_fp8_f32 v22, v18, v19
	;;#ASMEND
	s_nop 0
	;;#ASMSTART
	v_pk_mul_f32 v[18:19], v[20:21], v[0:1]
	;;#ASMEND
	s_nop 0
	;;#ASMSTART
	v_med3_f32 v18, v18, v34, v35
v_med3_f32 v19, v19, v34, v35
v_cvt_pk_fp8_f32 v20, v18, v19
	;;#ASMEND
	s_nop 0
	v_perm_b32 v29, v22, v20, s2
	buffer_store_dwordx4 v[26:29], v36, s[4:7], 0 offen
	;;#ASMSTART
	s_nop 0
	;;#ASMEND
	;;#ASMSTART
	v_pk_mul_f32 v[14:15], v[14:15], v[0:1]
	;;#ASMEND
	s_nop 0
	;;#ASMSTART
	v_med3_f32 v14, v14, v34, v35
v_med3_f32 v15, v15, v34, v35
v_cvt_pk_fp8_f32 v18, v14, v15
	;;#ASMEND
	;;#ASMSTART
	v_pk_mul_f32 v[10:11], v[10:11], v[0:1]
	;;#ASMEND
	s_nop 0
	;;#ASMSTART
	v_med3_f32 v10, v10, v34, v35
v_med3_f32 v11, v11, v34, v35
v_cvt_pk_fp8_f32 v14, v10, v11
	;;#ASMEND
	s_nop 0
	v_perm_b32 v10, v14, v18, s0
	v_perm_b32 v10, v10, v14, s1
	;;#ASMSTART
	v_pk_mul_f32 v[14:15], v[16:17], v[0:1]
	;;#ASMEND
	s_nop 0
	v_mov_b32_e32 v11, v14
	;;#ASMSTART
	v_med3_f32 v11, v11, v34, v35
v_med3_f32 v15, v15, v34, v35
v_cvt_pk_fp8_f32 v14, v11, v15
	;;#ASMEND
	;;#ASMSTART
	v_pk_mul_f32 v[12:13], v[12:13], v[0:1]
	;;#ASMEND
	s_nop 0
	v_mov_b32_e32 v11, v13
	;;#ASMSTART
	v_med3_f32 v12, v12, v34, v35
v_med3_f32 v11, v11, v34, v35
v_cvt_pk_fp8_f32 v13, v12, v11
	;;#ASMEND
	;;#ASMSTART
	v_pk_mul_f32 v[6:7], v[6:7], v[0:1]
	;;#ASMEND
	s_nop 0
	;;#ASMSTART
	v_med3_f32 v6, v6, v34, v35
v_med3_f32 v7, v7, v34, v35
v_cvt_pk_fp8_f32 v12, v6, v7
	;;#ASMEND
	;;#ASMSTART
	v_pk_mul_f32 v[2:3], v[2:3], v[0:1]
	;;#ASMEND
	v_perm_b32 v11, v14, v13, s2
	;;#ASMSTART
	v_med3_f32 v2, v2, v34, v35
v_med3_f32 v3, v3, v34, v35
v_cvt_pk_fp8_f32 v6, v2, v3
	;;#ASMEND
	s_nop 0
	;;#ASMSTART
	v_pk_mul_f32 v[2:3], v[8:9], v[0:1]
	;;#ASMEND
	v_perm_b32 v12, v12, v6, s2
	;;#ASMSTART
	v_med3_f32 v2, v2, v34, v35
v_med3_f32 v3, v3, v34, v35
v_cvt_pk_fp8_f32 v6, v2, v3
	;;#ASMEND
	;;#ASMSTART
	v_pk_mul_f32 v[0:1], v[4:5], v[0:1]
	;;#ASMEND
	s_nop 0
	;;#ASMSTART
	v_med3_f32 v0, v0, v34, v35
v_med3_f32 v1, v1, v34, v35
v_cvt_pk_fp8_f32 v2, v0, v1
	;;#ASMEND
	s_nop 0
	v_perm_b32 v13, v6, v2, s2
	buffer_store_dwordx4 v[10:13], v36, s[4:7], 16 offen
	;;#ASMSTART
	s_nop 0
	;;#ASMEND
.LBB540_36:
	s_endpgm
	.section	.rodata,"a",@progbits
	.p2align	6, 0x0
	.amdhsa_kernel _ZN5aiter24act_and_mul_quant_kernelItDB8_TnPFfRKT_EXadL_ZNS_11silu_kernelItEEfS4_EELi256ELi32ELb0EEEvPT0_PS3_Pfiifb
		.amdhsa_group_segment_fixed_size 0
		.amdhsa_private_segment_fixed_size 0
		.amdhsa_kernarg_size 296
		.amdhsa_user_sgpr_count 2
		.amdhsa_user_sgpr_dispatch_ptr 0
		.amdhsa_user_sgpr_queue_ptr 0
		.amdhsa_user_sgpr_kernarg_segment_ptr 1
		.amdhsa_user_sgpr_dispatch_id 0
		.amdhsa_user_sgpr_kernarg_preload_length 0
		.amdhsa_user_sgpr_kernarg_preload_offset 0
		.amdhsa_user_sgpr_private_segment_size 0
		.amdhsa_uses_dynamic_stack 0
		.amdhsa_enable_private_segment 0
		.amdhsa_system_sgpr_workgroup_id_x 1
		.amdhsa_system_sgpr_workgroup_id_y 0
		.amdhsa_system_sgpr_workgroup_id_z 0
		.amdhsa_system_sgpr_workgroup_info 0
		.amdhsa_system_vgpr_workitem_id 0
		.amdhsa_next_free_vgpr 53
		.amdhsa_next_free_sgpr 23
		.amdhsa_accum_offset 56
		.amdhsa_reserve_vcc 1
		.amdhsa_float_round_mode_32 0
		.amdhsa_float_round_mode_16_64 0
		.amdhsa_float_denorm_mode_32 3
		.amdhsa_float_denorm_mode_16_64 3
		.amdhsa_dx10_clamp 1
		.amdhsa_ieee_mode 1
		.amdhsa_fp16_overflow 0
		.amdhsa_tg_split 0
		.amdhsa_exception_fp_ieee_invalid_op 0
		.amdhsa_exception_fp_denorm_src 0
		.amdhsa_exception_fp_ieee_div_zero 0
		.amdhsa_exception_fp_ieee_overflow 0
		.amdhsa_exception_fp_ieee_underflow 0
		.amdhsa_exception_fp_ieee_inexact 0
		.amdhsa_exception_int_div_zero 0
	.end_amdhsa_kernel
	.section	.text._ZN5aiter24act_and_mul_quant_kernelItDB8_TnPFfRKT_EXadL_ZNS_11silu_kernelItEEfS4_EELi256ELi32ELb0EEEvPT0_PS3_Pfiifb,"axG",@progbits,_ZN5aiter24act_and_mul_quant_kernelItDB8_TnPFfRKT_EXadL_ZNS_11silu_kernelItEEfS4_EELi256ELi32ELb0EEEvPT0_PS3_Pfiifb,comdat
.Lfunc_end540:
	.size	_ZN5aiter24act_and_mul_quant_kernelItDB8_TnPFfRKT_EXadL_ZNS_11silu_kernelItEEfS4_EELi256ELi32ELb0EEEvPT0_PS3_Pfiifb, .Lfunc_end540-_ZN5aiter24act_and_mul_quant_kernelItDB8_TnPFfRKT_EXadL_ZNS_11silu_kernelItEEfS4_EELi256ELi32ELb0EEEvPT0_PS3_Pfiifb
                                        ; -- End function
	.section	.AMDGPU.csdata,"",@progbits
; Kernel info:
; codeLenInByte = 5796
; NumSgprs: 29
; NumVgprs: 53
; NumAgprs: 0
; TotalNumVgprs: 53
; ScratchSize: 0
; MemoryBound: 0
; FloatMode: 240
; IeeeMode: 1
; LDSByteSize: 0 bytes/workgroup (compile time only)
; SGPRBlocks: 3
; VGPRBlocks: 6
; NumSGPRsForWavesPerEU: 29
; NumVGPRsForWavesPerEU: 53
; AccumOffset: 56
; Occupancy: 8
; WaveLimiterHint : 0
; COMPUTE_PGM_RSRC2:SCRATCH_EN: 0
; COMPUTE_PGM_RSRC2:USER_SGPR: 2
; COMPUTE_PGM_RSRC2:TRAP_HANDLER: 0
; COMPUTE_PGM_RSRC2:TGID_X_EN: 1
; COMPUTE_PGM_RSRC2:TGID_Y_EN: 0
; COMPUTE_PGM_RSRC2:TGID_Z_EN: 0
; COMPUTE_PGM_RSRC2:TIDIG_COMP_CNT: 0
; COMPUTE_PGM_RSRC3_GFX90A:ACCUM_OFFSET: 13
; COMPUTE_PGM_RSRC3_GFX90A:TG_SPLIT: 0
	.section	.text._ZN5aiter18act_and_mul_kernelIftTnPFfRKT_EXadL_ZNS_11gelu_kernelIfEEfS3_EELi16ELb0ELi0EEEvPT0_PS2_if,"axG",@progbits,_ZN5aiter18act_and_mul_kernelIftTnPFfRKT_EXadL_ZNS_11gelu_kernelIfEEfS3_EELi16ELb0ELi0EEEvPT0_PS2_if,comdat
	.protected	_ZN5aiter18act_and_mul_kernelIftTnPFfRKT_EXadL_ZNS_11gelu_kernelIfEEfS3_EELi16ELb0ELi0EEEvPT0_PS2_if ; -- Begin function _ZN5aiter18act_and_mul_kernelIftTnPFfRKT_EXadL_ZNS_11gelu_kernelIfEEfS3_EELi16ELb0ELi0EEEvPT0_PS2_if
	.globl	_ZN5aiter18act_and_mul_kernelIftTnPFfRKT_EXadL_ZNS_11gelu_kernelIfEEfS3_EELi16ELb0ELi0EEEvPT0_PS2_if
	.p2align	8
	.type	_ZN5aiter18act_and_mul_kernelIftTnPFfRKT_EXadL_ZNS_11gelu_kernelIfEEfS3_EELi16ELb0ELi0EEEvPT0_PS2_if,@function
_ZN5aiter18act_and_mul_kernelIftTnPFfRKT_EXadL_ZNS_11gelu_kernelIfEEfS3_EELi16ELb0ELi0EEEvPT0_PS2_if: ; @_ZN5aiter18act_and_mul_kernelIftTnPFfRKT_EXadL_ZNS_11gelu_kernelIfEEfS3_EELi16ELb0ELi0EEEvPT0_PS2_if
; %bb.0:
	s_load_dword s16, s[0:1], 0x10
	v_lshlrev_b32_e32 v32, 4, v0
	s_waitcnt lgkmcnt(0)
	v_cmp_gt_i32_e32 vcc, s16, v32
	s_and_saveexec_b64 s[4:5], vcc
	s_cbranch_execz .LBB541_67
; %bb.1:
	s_load_dwordx4 s[12:15], s[0:1], 0x0
	s_ashr_i32 s17, s16, 31
	s_mul_hi_u32 s3, s16, s2
	s_mul_i32 s4, s17, s2
	s_add_i32 s3, s3, s4
	s_mul_i32 s2, s16, s2
	s_lshl_b64 s[10:11], s[2:3], 1
	s_lshl_b64 s[2:3], s[2:3], 3
	s_waitcnt lgkmcnt(0)
	s_add_u32 s4, s14, s2
	s_addc_u32 s5, s15, s3
	s_lshl_b64 s[2:3], s[16:17], 2
	s_add_u32 s8, s4, s2
	s_addc_u32 s2, s5, s3
	s_lshl_b32 s6, s16, 2
	s_and_b32 s5, s5, 0xffff
	s_and_b32 s9, s2, 0xffff
	s_add_u32 s12, s12, s10
	s_addc_u32 s2, s13, s11
	s_add_i32 s3, s16, 1
	s_lshr_b32 s10, s3, 31
	s_add_i32 s3, s3, s10
	s_lshl_b32 s3, s3, 1
	s_and_b32 s14, s3, -4
	s_and_b32 s13, s2, 0xffff
	s_mov_b32 s7, 0x20000
	s_add_u32 s0, s0, 24
	s_mov_b32 s15, s7
	v_mov_b32_e32 v33, 0
	s_addc_u32 s1, s1, 0
	s_mov_b64 s[2:3], 0
	s_mov_b32 s19, 0
	s_mov_b32 s22, 0x378e98ab
	;; [unrolled: 1-line block ×10, first 2 shown]
	v_mov_b32_e32 v34, 0x3ba10414
	s_brev_b32 s31, -2
	s_mov_b32 s33, 0x7060302
	s_mov_b32 s10, s6
	;; [unrolled: 1-line block ×3, first 2 shown]
	v_mov_b32_e32 v35, 0xb9c68948
	v_mov_b32_e32 v36, 0x7f800000
                                        ; implicit-def: $vgpr0
                                        ; implicit-def: $vgpr0
	;; [unrolled: 1-line block ×4, first 2 shown]
	s_branch .LBB541_3
.LBB541_2:                              ;   in Loop: Header=BB541_3 Depth=1
	s_or_b64 exec, exec, s[20:21]
	v_bfi_b32 v4, s31, v5, v4
	v_mul_f32_e32 v6, 0.5, v6
	v_add_f32_e32 v4, 1.0, v4
	v_mul_f32_e32 v4, v6, v4
	v_bfi_b32 v6, s31, v13, v12
	v_mul_f32_e32 v5, 0.5, v7
	v_add_f32_e32 v6, 1.0, v6
	v_mul_f32_e32 v5, v5, v6
	;;#ASMSTART
	v_pk_mul_f32 v[6:7], v[4:5], v[2:3]
	;;#ASMEND
	s_load_dword s18, s[0:1], 0xc
	v_lshlrev_b32_e32 v12, 1, v32
	v_perm_b32 v5, v19, v18, s33
	v_perm_b32 v4, v17, v16, s33
	;; [unrolled: 1-line block ×3, first 2 shown]
	s_waitcnt lgkmcnt(0)
	s_and_b32 s18, s18, 0xffff
	s_lshl_b32 s18, s18, 4
	v_lshl_add_u64 v[32:33], s[18:19], 0, v[32:33]
	v_perm_b32 v2, v25, v24, s33
	v_cmp_le_i64_e32 vcc, s[16:17], v[32:33]
	buffer_store_dwordx4 v[2:5], v12, s[12:15], 0 offen
	s_or_b64 s[2:3], vcc, s[2:3]
	s_nop 0
	v_perm_b32 v3, v7, v6, s33
	v_perm_b32 v2, v1, v0, s33
	;; [unrolled: 1-line block ×4, first 2 shown]
	buffer_store_dwordx4 v[0:3], v12, s[12:15], 16 offen
	s_andn2_b64 exec, exec, s[2:3]
	s_cbranch_execz .LBB541_67
.LBB541_3:                              ; =>This Inner Loop Header: Depth=1
	v_lshlrev_b32_e32 v37, 2, v32
	buffer_load_dwordx4 v[28:31], v37, s[4:7], 0 offen
	buffer_load_dwordx4 v[20:23], v37, s[4:7], 16 offen
	;; [unrolled: 1-line block ×8, first 2 shown]
                                        ; implicit-def: $vgpr38
	s_waitcnt vmcnt(7)
	v_mul_f32_e32 v37, 0x3f3504f3, v28
	v_cmp_nlt_f32_e64 s[20:21], |v37|, 1.0
	s_and_saveexec_b64 s[34:35], s[20:21]
	s_xor_b64 s[20:21], exec, s[34:35]
	s_cbranch_execz .LBB541_5
; %bb.4:                                ;   in Loop: Header=BB541_3 Depth=1
	v_fma_f32 v38, |v37|, s22, v35
	v_fma_f32 v38, |v37|, v38, s23
	;; [unrolled: 1-line block ×6, first 2 shown]
	v_fma_f32 v38, |v37|, v38, |v37|
	v_mul_f32_e32 v39, 0xbfb8aa3b, v38
	v_fma_f32 v40, v38, s28, -v39
	v_rndne_f32_e32 v41, v39
	v_fmac_f32_e32 v40, 0xb2a5705f, v38
	v_sub_f32_e32 v39, v39, v41
	v_add_f32_e32 v39, v39, v40
	v_cvt_i32_f32_e32 v40, v41
	v_exp_f32_e32 v39, v39
	v_cmp_nlt_f32_e32 vcc, s29, v38
	v_ldexp_f32 v39, v39, v40
	s_nop 0
	v_cndmask_b32_e32 v39, 0, v39, vcc
	v_cmp_ngt_f32_e32 vcc, s30, v38
	s_nop 1
	v_cndmask_b32_e32 v38, v36, v39, vcc
	v_sub_f32_e32 v38, 1.0, v38
.LBB541_5:                              ;   in Loop: Header=BB541_3 Depth=1
	s_andn2_saveexec_b64 s[20:21], s[20:21]
; %bb.6:                                ;   in Loop: Header=BB541_3 Depth=1
	v_mul_f32_e32 v38, v37, v37
	v_fmamk_f32 v39, v38, 0xba1345e1, v34
	v_fmaak_f32 v39, v38, v39, 0xbcdac9b8
	v_fmaak_f32 v39, v38, v39, 0x3de703be
	;; [unrolled: 1-line block ×4, first 2 shown]
	v_fma_f32 v38, |v37|, v38, |v37|
; %bb.7:                                ;   in Loop: Header=BB541_3 Depth=1
	s_or_b64 exec, exec, s[20:21]
	v_mul_f32_e32 v39, 0x3f3504f3, v29
	v_cmp_nlt_f32_e64 s[20:21], |v39|, 1.0
                                        ; implicit-def: $vgpr40
	s_and_saveexec_b64 s[34:35], s[20:21]
	s_xor_b64 s[20:21], exec, s[34:35]
	s_cbranch_execz .LBB541_9
; %bb.8:                                ;   in Loop: Header=BB541_3 Depth=1
	v_fma_f32 v40, |v39|, s22, v35
	v_fma_f32 v40, |v39|, v40, s23
	v_fma_f32 v40, |v39|, v40, s24
	v_fma_f32 v40, |v39|, v40, s25
	v_fma_f32 v40, |v39|, v40, s26
	v_fma_f32 v40, |v39|, v40, s27
	v_fma_f32 v40, |v39|, v40, |v39|
	v_mul_f32_e32 v41, 0xbfb8aa3b, v40
	v_fma_f32 v42, v40, s28, -v41
	v_rndne_f32_e32 v43, v41
	v_fmac_f32_e32 v42, 0xb2a5705f, v40
	v_sub_f32_e32 v41, v41, v43
	v_add_f32_e32 v41, v41, v42
	v_cvt_i32_f32_e32 v42, v43
	v_exp_f32_e32 v41, v41
	v_cmp_nlt_f32_e32 vcc, s29, v40
	v_ldexp_f32 v41, v41, v42
	s_nop 0
	v_cndmask_b32_e32 v41, 0, v41, vcc
	v_cmp_ngt_f32_e32 vcc, s30, v40
	s_nop 1
	v_cndmask_b32_e32 v40, v36, v41, vcc
	v_sub_f32_e32 v40, 1.0, v40
.LBB541_9:                              ;   in Loop: Header=BB541_3 Depth=1
	s_andn2_saveexec_b64 s[20:21], s[20:21]
; %bb.10:                               ;   in Loop: Header=BB541_3 Depth=1
	v_mul_f32_e32 v40, v39, v39
	v_fmamk_f32 v41, v40, 0xba1345e1, v34
	v_fmaak_f32 v41, v40, v41, 0xbcdac9b8
	v_fmaak_f32 v41, v40, v41, 0x3de703be
	;; [unrolled: 1-line block ×4, first 2 shown]
	v_fma_f32 v40, |v39|, v40, |v39|
; %bb.11:                               ;   in Loop: Header=BB541_3 Depth=1
	s_or_b64 exec, exec, s[20:21]
	v_bfi_b32 v37, s31, v38, v37
	v_mul_f32_e32 v28, 0.5, v28
	v_add_f32_e32 v37, 1.0, v37
	v_mul_f32_e32 v28, v28, v37
	v_bfi_b32 v37, s31, v40, v39
	v_mul_f32_e32 v29, 0.5, v29
	v_add_f32_e32 v37, 1.0, v37
	v_mul_f32_e32 v29, v29, v37
	s_waitcnt vmcnt(3)
	;;#ASMSTART
	v_pk_mul_f32 v[24:25], v[28:29], v[24:25]
	;;#ASMEND
	v_mul_f32_e32 v28, 0x3f3504f3, v30
	v_cmp_nlt_f32_e64 s[20:21], |v28|, 1.0
                                        ; implicit-def: $vgpr29
	s_and_saveexec_b64 s[34:35], s[20:21]
	s_xor_b64 s[20:21], exec, s[34:35]
	s_cbranch_execz .LBB541_13
; %bb.12:                               ;   in Loop: Header=BB541_3 Depth=1
	v_fma_f32 v29, |v28|, s22, v35
	v_fma_f32 v29, |v28|, v29, s23
	;; [unrolled: 1-line block ×6, first 2 shown]
	v_fma_f32 v29, |v28|, v29, |v28|
	v_mul_f32_e32 v37, 0xbfb8aa3b, v29
	v_fma_f32 v38, v29, s28, -v37
	v_rndne_f32_e32 v39, v37
	v_fmac_f32_e32 v38, 0xb2a5705f, v29
	v_sub_f32_e32 v37, v37, v39
	v_add_f32_e32 v37, v37, v38
	v_cvt_i32_f32_e32 v38, v39
	v_exp_f32_e32 v37, v37
	v_cmp_nlt_f32_e32 vcc, s29, v29
	v_ldexp_f32 v37, v37, v38
	s_nop 0
	v_cndmask_b32_e32 v37, 0, v37, vcc
	v_cmp_ngt_f32_e32 vcc, s30, v29
	s_nop 1
	v_cndmask_b32_e32 v29, v36, v37, vcc
	v_sub_f32_e32 v29, 1.0, v29
.LBB541_13:                             ;   in Loop: Header=BB541_3 Depth=1
	s_andn2_saveexec_b64 s[20:21], s[20:21]
; %bb.14:                               ;   in Loop: Header=BB541_3 Depth=1
	v_mul_f32_e32 v29, v28, v28
	v_fmamk_f32 v37, v29, 0xba1345e1, v34
	v_fmaak_f32 v37, v29, v37, 0xbcdac9b8
	v_fmaak_f32 v37, v29, v37, 0x3de703be
	v_fmaak_f32 v37, v29, v37, 0xbec09330
	v_fmaak_f32 v29, v29, v37, 0x3e0375d0
	v_fma_f32 v29, |v28|, v29, |v28|
; %bb.15:                               ;   in Loop: Header=BB541_3 Depth=1
	s_or_b64 exec, exec, s[20:21]
	v_mul_f32_e32 v37, 0x3f3504f3, v31
	v_cmp_nlt_f32_e64 s[20:21], |v37|, 1.0
                                        ; implicit-def: $vgpr38
	s_and_saveexec_b64 s[34:35], s[20:21]
	s_xor_b64 s[20:21], exec, s[34:35]
	s_cbranch_execz .LBB541_17
; %bb.16:                               ;   in Loop: Header=BB541_3 Depth=1
	v_fma_f32 v38, |v37|, s22, v35
	v_fma_f32 v38, |v37|, v38, s23
	;; [unrolled: 1-line block ×6, first 2 shown]
	v_fma_f32 v38, |v37|, v38, |v37|
	v_mul_f32_e32 v39, 0xbfb8aa3b, v38
	v_fma_f32 v40, v38, s28, -v39
	v_rndne_f32_e32 v41, v39
	v_fmac_f32_e32 v40, 0xb2a5705f, v38
	v_sub_f32_e32 v39, v39, v41
	v_add_f32_e32 v39, v39, v40
	v_cvt_i32_f32_e32 v40, v41
	v_exp_f32_e32 v39, v39
	v_cmp_nlt_f32_e32 vcc, s29, v38
	v_ldexp_f32 v39, v39, v40
	s_nop 0
	v_cndmask_b32_e32 v39, 0, v39, vcc
	v_cmp_ngt_f32_e32 vcc, s30, v38
	s_nop 1
	v_cndmask_b32_e32 v38, v36, v39, vcc
	v_sub_f32_e32 v38, 1.0, v38
.LBB541_17:                             ;   in Loop: Header=BB541_3 Depth=1
	s_andn2_saveexec_b64 s[20:21], s[20:21]
; %bb.18:                               ;   in Loop: Header=BB541_3 Depth=1
	v_mul_f32_e32 v38, v37, v37
	v_fmamk_f32 v39, v38, 0xba1345e1, v34
	v_fmaak_f32 v39, v38, v39, 0xbcdac9b8
	v_fmaak_f32 v39, v38, v39, 0x3de703be
	;; [unrolled: 1-line block ×4, first 2 shown]
	v_fma_f32 v38, |v37|, v38, |v37|
; %bb.19:                               ;   in Loop: Header=BB541_3 Depth=1
	s_or_b64 exec, exec, s[20:21]
	v_bfi_b32 v28, s31, v29, v28
	v_mul_f32_e32 v30, 0.5, v30
	v_add_f32_e32 v28, 1.0, v28
	v_mul_f32_e32 v28, v30, v28
	v_bfi_b32 v30, s31, v38, v37
	v_mul_f32_e32 v29, 0.5, v31
	v_add_f32_e32 v30, 1.0, v30
	v_mul_f32_e32 v29, v29, v30
	;;#ASMSTART
	v_pk_mul_f32 v[26:27], v[28:29], v[26:27]
	;;#ASMEND
	v_mul_f32_e32 v28, 0x3f3504f3, v20
	v_cmp_nlt_f32_e64 s[20:21], |v28|, 1.0
                                        ; implicit-def: $vgpr29
	s_and_saveexec_b64 s[34:35], s[20:21]
	s_xor_b64 s[20:21], exec, s[34:35]
	s_cbranch_execz .LBB541_21
; %bb.20:                               ;   in Loop: Header=BB541_3 Depth=1
	v_fma_f32 v29, |v28|, s22, v35
	v_fma_f32 v29, |v28|, v29, s23
	;; [unrolled: 1-line block ×6, first 2 shown]
	v_fma_f32 v29, |v28|, v29, |v28|
	v_mul_f32_e32 v30, 0xbfb8aa3b, v29
	v_fma_f32 v31, v29, s28, -v30
	v_rndne_f32_e32 v37, v30
	v_fmac_f32_e32 v31, 0xb2a5705f, v29
	v_sub_f32_e32 v30, v30, v37
	v_add_f32_e32 v30, v30, v31
	v_cvt_i32_f32_e32 v31, v37
	v_exp_f32_e32 v30, v30
	v_cmp_nlt_f32_e32 vcc, s29, v29
	v_ldexp_f32 v30, v30, v31
	s_nop 0
	v_cndmask_b32_e32 v30, 0, v30, vcc
	v_cmp_ngt_f32_e32 vcc, s30, v29
	s_nop 1
	v_cndmask_b32_e32 v29, v36, v30, vcc
	v_sub_f32_e32 v29, 1.0, v29
.LBB541_21:                             ;   in Loop: Header=BB541_3 Depth=1
	s_andn2_saveexec_b64 s[20:21], s[20:21]
; %bb.22:                               ;   in Loop: Header=BB541_3 Depth=1
	v_mul_f32_e32 v29, v28, v28
	v_fmamk_f32 v30, v29, 0xba1345e1, v34
	v_fmaak_f32 v30, v29, v30, 0xbcdac9b8
	v_fmaak_f32 v30, v29, v30, 0x3de703be
	;; [unrolled: 1-line block ×4, first 2 shown]
	v_fma_f32 v29, |v28|, v29, |v28|
; %bb.23:                               ;   in Loop: Header=BB541_3 Depth=1
	s_or_b64 exec, exec, s[20:21]
	v_mul_f32_e32 v30, 0x3f3504f3, v21
	v_cmp_nlt_f32_e64 s[20:21], |v30|, 1.0
                                        ; implicit-def: $vgpr31
	s_and_saveexec_b64 s[34:35], s[20:21]
	s_xor_b64 s[20:21], exec, s[34:35]
	s_cbranch_execz .LBB541_25
; %bb.24:                               ;   in Loop: Header=BB541_3 Depth=1
	v_fma_f32 v31, |v30|, s22, v35
	v_fma_f32 v31, |v30|, v31, s23
	;; [unrolled: 1-line block ×6, first 2 shown]
	v_fma_f32 v31, |v30|, v31, |v30|
	v_mul_f32_e32 v37, 0xbfb8aa3b, v31
	v_fma_f32 v38, v31, s28, -v37
	v_rndne_f32_e32 v39, v37
	v_fmac_f32_e32 v38, 0xb2a5705f, v31
	v_sub_f32_e32 v37, v37, v39
	v_add_f32_e32 v37, v37, v38
	v_cvt_i32_f32_e32 v38, v39
	v_exp_f32_e32 v37, v37
	v_cmp_nlt_f32_e32 vcc, s29, v31
	v_ldexp_f32 v37, v37, v38
	s_nop 0
	v_cndmask_b32_e32 v37, 0, v37, vcc
	v_cmp_ngt_f32_e32 vcc, s30, v31
	s_nop 1
	v_cndmask_b32_e32 v31, v36, v37, vcc
	v_sub_f32_e32 v31, 1.0, v31
.LBB541_25:                             ;   in Loop: Header=BB541_3 Depth=1
	s_andn2_saveexec_b64 s[20:21], s[20:21]
; %bb.26:                               ;   in Loop: Header=BB541_3 Depth=1
	v_mul_f32_e32 v31, v30, v30
	v_fmamk_f32 v37, v31, 0xba1345e1, v34
	v_fmaak_f32 v37, v31, v37, 0xbcdac9b8
	v_fmaak_f32 v37, v31, v37, 0x3de703be
	;; [unrolled: 1-line block ×4, first 2 shown]
	v_fma_f32 v31, |v30|, v31, |v30|
; %bb.27:                               ;   in Loop: Header=BB541_3 Depth=1
	s_or_b64 exec, exec, s[20:21]
	v_bfi_b32 v28, s31, v29, v28
	v_mul_f32_e32 v20, 0.5, v20
	v_add_f32_e32 v28, 1.0, v28
	v_mul_f32_e32 v20, v20, v28
	v_bfi_b32 v28, s31, v31, v30
	v_mul_f32_e32 v21, 0.5, v21
	v_add_f32_e32 v28, 1.0, v28
	v_mul_f32_e32 v21, v21, v28
	s_waitcnt vmcnt(2)
	;;#ASMSTART
	v_pk_mul_f32 v[16:17], v[20:21], v[16:17]
	;;#ASMEND
	v_mul_f32_e32 v20, 0x3f3504f3, v22
	v_cmp_nlt_f32_e64 s[20:21], |v20|, 1.0
                                        ; implicit-def: $vgpr21
	s_and_saveexec_b64 s[34:35], s[20:21]
	s_xor_b64 s[20:21], exec, s[34:35]
	s_cbranch_execz .LBB541_29
; %bb.28:                               ;   in Loop: Header=BB541_3 Depth=1
	v_fma_f32 v21, |v20|, s22, v35
	v_fma_f32 v21, |v20|, v21, s23
	;; [unrolled: 1-line block ×6, first 2 shown]
	v_fma_f32 v21, |v20|, v21, |v20|
	v_mul_f32_e32 v28, 0xbfb8aa3b, v21
	v_fma_f32 v29, v21, s28, -v28
	v_rndne_f32_e32 v30, v28
	v_fmac_f32_e32 v29, 0xb2a5705f, v21
	v_sub_f32_e32 v28, v28, v30
	v_add_f32_e32 v28, v28, v29
	v_cvt_i32_f32_e32 v29, v30
	v_exp_f32_e32 v28, v28
	v_cmp_nlt_f32_e32 vcc, s29, v21
	v_ldexp_f32 v28, v28, v29
	s_nop 0
	v_cndmask_b32_e32 v28, 0, v28, vcc
	v_cmp_ngt_f32_e32 vcc, s30, v21
	s_nop 1
	v_cndmask_b32_e32 v21, v36, v28, vcc
	v_sub_f32_e32 v21, 1.0, v21
.LBB541_29:                             ;   in Loop: Header=BB541_3 Depth=1
	s_andn2_saveexec_b64 s[20:21], s[20:21]
; %bb.30:                               ;   in Loop: Header=BB541_3 Depth=1
	v_mul_f32_e32 v21, v20, v20
	v_fmamk_f32 v28, v21, 0xba1345e1, v34
	v_fmaak_f32 v28, v21, v28, 0xbcdac9b8
	v_fmaak_f32 v28, v21, v28, 0x3de703be
	;; [unrolled: 1-line block ×4, first 2 shown]
	v_fma_f32 v21, |v20|, v21, |v20|
; %bb.31:                               ;   in Loop: Header=BB541_3 Depth=1
	s_or_b64 exec, exec, s[20:21]
	v_mul_f32_e32 v28, 0x3f3504f3, v23
	v_cmp_nlt_f32_e64 s[20:21], |v28|, 1.0
                                        ; implicit-def: $vgpr29
	s_and_saveexec_b64 s[34:35], s[20:21]
	s_xor_b64 s[20:21], exec, s[34:35]
	s_cbranch_execz .LBB541_33
; %bb.32:                               ;   in Loop: Header=BB541_3 Depth=1
	v_fma_f32 v29, |v28|, s22, v35
	v_fma_f32 v29, |v28|, v29, s23
	;; [unrolled: 1-line block ×6, first 2 shown]
	v_fma_f32 v29, |v28|, v29, |v28|
	v_mul_f32_e32 v30, 0xbfb8aa3b, v29
	v_fma_f32 v31, v29, s28, -v30
	v_rndne_f32_e32 v37, v30
	v_fmac_f32_e32 v31, 0xb2a5705f, v29
	v_sub_f32_e32 v30, v30, v37
	v_add_f32_e32 v30, v30, v31
	v_cvt_i32_f32_e32 v31, v37
	v_exp_f32_e32 v30, v30
	v_cmp_nlt_f32_e32 vcc, s29, v29
	v_ldexp_f32 v30, v30, v31
	s_nop 0
	v_cndmask_b32_e32 v30, 0, v30, vcc
	v_cmp_ngt_f32_e32 vcc, s30, v29
	s_nop 1
	v_cndmask_b32_e32 v29, v36, v30, vcc
	v_sub_f32_e32 v29, 1.0, v29
.LBB541_33:                             ;   in Loop: Header=BB541_3 Depth=1
	s_andn2_saveexec_b64 s[20:21], s[20:21]
; %bb.34:                               ;   in Loop: Header=BB541_3 Depth=1
	v_mul_f32_e32 v29, v28, v28
	v_fmamk_f32 v30, v29, 0xba1345e1, v34
	v_fmaak_f32 v30, v29, v30, 0xbcdac9b8
	v_fmaak_f32 v30, v29, v30, 0x3de703be
	;; [unrolled: 1-line block ×4, first 2 shown]
	v_fma_f32 v29, |v28|, v29, |v28|
; %bb.35:                               ;   in Loop: Header=BB541_3 Depth=1
	s_or_b64 exec, exec, s[20:21]
	v_bfi_b32 v20, s31, v21, v20
	v_mul_f32_e32 v22, 0.5, v22
	v_add_f32_e32 v20, 1.0, v20
	v_mul_f32_e32 v20, v22, v20
	v_bfi_b32 v22, s31, v29, v28
	v_mul_f32_e32 v21, 0.5, v23
	v_add_f32_e32 v22, 1.0, v22
	v_mul_f32_e32 v21, v21, v22
	;;#ASMSTART
	v_pk_mul_f32 v[18:19], v[20:21], v[18:19]
	;;#ASMEND
	v_mul_f32_e32 v20, 0x3f3504f3, v12
	v_cmp_nlt_f32_e64 s[20:21], |v20|, 1.0
                                        ; implicit-def: $vgpr21
	s_and_saveexec_b64 s[34:35], s[20:21]
	s_xor_b64 s[20:21], exec, s[34:35]
	s_cbranch_execz .LBB541_37
; %bb.36:                               ;   in Loop: Header=BB541_3 Depth=1
	v_fma_f32 v21, |v20|, s22, v35
	v_fma_f32 v21, |v20|, v21, s23
	v_fma_f32 v21, |v20|, v21, s24
	v_fma_f32 v21, |v20|, v21, s25
	v_fma_f32 v21, |v20|, v21, s26
	v_fma_f32 v21, |v20|, v21, s27
	v_fma_f32 v21, |v20|, v21, |v20|
	v_mul_f32_e32 v22, 0xbfb8aa3b, v21
	v_fma_f32 v23, v21, s28, -v22
	v_rndne_f32_e32 v28, v22
	v_fmac_f32_e32 v23, 0xb2a5705f, v21
	v_sub_f32_e32 v22, v22, v28
	v_add_f32_e32 v22, v22, v23
	v_cvt_i32_f32_e32 v23, v28
	v_exp_f32_e32 v22, v22
	v_cmp_nlt_f32_e32 vcc, s29, v21
	v_ldexp_f32 v22, v22, v23
	s_nop 0
	v_cndmask_b32_e32 v22, 0, v22, vcc
	v_cmp_ngt_f32_e32 vcc, s30, v21
	s_nop 1
	v_cndmask_b32_e32 v21, v36, v22, vcc
	v_sub_f32_e32 v21, 1.0, v21
.LBB541_37:                             ;   in Loop: Header=BB541_3 Depth=1
	s_andn2_saveexec_b64 s[20:21], s[20:21]
; %bb.38:                               ;   in Loop: Header=BB541_3 Depth=1
	v_mul_f32_e32 v21, v20, v20
	v_fmamk_f32 v22, v21, 0xba1345e1, v34
	v_fmaak_f32 v22, v21, v22, 0xbcdac9b8
	v_fmaak_f32 v22, v21, v22, 0x3de703be
	;; [unrolled: 1-line block ×4, first 2 shown]
	v_fma_f32 v21, |v20|, v21, |v20|
; %bb.39:                               ;   in Loop: Header=BB541_3 Depth=1
	s_or_b64 exec, exec, s[20:21]
	v_mul_f32_e32 v22, 0x3f3504f3, v13
	v_cmp_nlt_f32_e64 s[20:21], |v22|, 1.0
                                        ; implicit-def: $vgpr23
	s_and_saveexec_b64 s[34:35], s[20:21]
	s_xor_b64 s[20:21], exec, s[34:35]
	s_cbranch_execz .LBB541_41
; %bb.40:                               ;   in Loop: Header=BB541_3 Depth=1
	v_fma_f32 v23, |v22|, s22, v35
	v_fma_f32 v23, |v22|, v23, s23
	;; [unrolled: 1-line block ×6, first 2 shown]
	v_fma_f32 v23, |v22|, v23, |v22|
	v_mul_f32_e32 v28, 0xbfb8aa3b, v23
	v_fma_f32 v29, v23, s28, -v28
	v_rndne_f32_e32 v30, v28
	v_fmac_f32_e32 v29, 0xb2a5705f, v23
	v_sub_f32_e32 v28, v28, v30
	v_add_f32_e32 v28, v28, v29
	v_cvt_i32_f32_e32 v29, v30
	v_exp_f32_e32 v28, v28
	v_cmp_nlt_f32_e32 vcc, s29, v23
	v_ldexp_f32 v28, v28, v29
	s_nop 0
	v_cndmask_b32_e32 v28, 0, v28, vcc
	v_cmp_ngt_f32_e32 vcc, s30, v23
	s_nop 1
	v_cndmask_b32_e32 v23, v36, v28, vcc
	v_sub_f32_e32 v23, 1.0, v23
.LBB541_41:                             ;   in Loop: Header=BB541_3 Depth=1
	s_andn2_saveexec_b64 s[20:21], s[20:21]
; %bb.42:                               ;   in Loop: Header=BB541_3 Depth=1
	v_mul_f32_e32 v23, v22, v22
	v_fmamk_f32 v28, v23, 0xba1345e1, v34
	v_fmaak_f32 v28, v23, v28, 0xbcdac9b8
	v_fmaak_f32 v28, v23, v28, 0x3de703be
	;; [unrolled: 1-line block ×4, first 2 shown]
	v_fma_f32 v23, |v22|, v23, |v22|
; %bb.43:                               ;   in Loop: Header=BB541_3 Depth=1
	s_or_b64 exec, exec, s[20:21]
	v_bfi_b32 v20, s31, v21, v20
	v_mul_f32_e32 v12, 0.5, v12
	v_add_f32_e32 v20, 1.0, v20
	v_mul_f32_e32 v12, v12, v20
	v_bfi_b32 v20, s31, v23, v22
	v_mul_f32_e32 v13, 0.5, v13
	v_add_f32_e32 v20, 1.0, v20
	v_mul_f32_e32 v13, v13, v20
	s_waitcnt vmcnt(1)
	;;#ASMSTART
	v_pk_mul_f32 v[8:9], v[12:13], v[8:9]
	;;#ASMEND
	v_mul_f32_e32 v12, 0x3f3504f3, v14
	v_cmp_nlt_f32_e64 s[20:21], |v12|, 1.0
                                        ; implicit-def: $vgpr13
	s_and_saveexec_b64 s[34:35], s[20:21]
	s_xor_b64 s[20:21], exec, s[34:35]
	s_cbranch_execz .LBB541_45
; %bb.44:                               ;   in Loop: Header=BB541_3 Depth=1
	v_fma_f32 v13, |v12|, s22, v35
	v_fma_f32 v13, |v12|, v13, s23
	v_fma_f32 v13, |v12|, v13, s24
	v_fma_f32 v13, |v12|, v13, s25
	v_fma_f32 v13, |v12|, v13, s26
	v_fma_f32 v13, |v12|, v13, s27
	v_fma_f32 v13, |v12|, v13, |v12|
	v_mul_f32_e32 v20, 0xbfb8aa3b, v13
	v_fma_f32 v21, v13, s28, -v20
	v_rndne_f32_e32 v22, v20
	v_fmac_f32_e32 v21, 0xb2a5705f, v13
	v_sub_f32_e32 v20, v20, v22
	v_add_f32_e32 v20, v20, v21
	v_cvt_i32_f32_e32 v21, v22
	v_exp_f32_e32 v20, v20
	v_cmp_nlt_f32_e32 vcc, s29, v13
	v_ldexp_f32 v20, v20, v21
	s_nop 0
	v_cndmask_b32_e32 v20, 0, v20, vcc
	v_cmp_ngt_f32_e32 vcc, s30, v13
	s_nop 1
	v_cndmask_b32_e32 v13, v36, v20, vcc
	v_sub_f32_e32 v13, 1.0, v13
.LBB541_45:                             ;   in Loop: Header=BB541_3 Depth=1
	s_andn2_saveexec_b64 s[20:21], s[20:21]
; %bb.46:                               ;   in Loop: Header=BB541_3 Depth=1
	v_mul_f32_e32 v13, v12, v12
	v_fmamk_f32 v20, v13, 0xba1345e1, v34
	v_fmaak_f32 v20, v13, v20, 0xbcdac9b8
	v_fmaak_f32 v20, v13, v20, 0x3de703be
	;; [unrolled: 1-line block ×4, first 2 shown]
	v_fma_f32 v13, |v12|, v13, |v12|
; %bb.47:                               ;   in Loop: Header=BB541_3 Depth=1
	s_or_b64 exec, exec, s[20:21]
	v_mul_f32_e32 v20, 0x3f3504f3, v15
	v_cmp_nlt_f32_e64 s[20:21], |v20|, 1.0
                                        ; implicit-def: $vgpr21
	s_and_saveexec_b64 s[34:35], s[20:21]
	s_xor_b64 s[20:21], exec, s[34:35]
	s_cbranch_execz .LBB541_49
; %bb.48:                               ;   in Loop: Header=BB541_3 Depth=1
	v_fma_f32 v21, |v20|, s22, v35
	v_fma_f32 v21, |v20|, v21, s23
	;; [unrolled: 1-line block ×6, first 2 shown]
	v_fma_f32 v21, |v20|, v21, |v20|
	v_mul_f32_e32 v22, 0xbfb8aa3b, v21
	v_fma_f32 v23, v21, s28, -v22
	v_rndne_f32_e32 v28, v22
	v_fmac_f32_e32 v23, 0xb2a5705f, v21
	v_sub_f32_e32 v22, v22, v28
	v_add_f32_e32 v22, v22, v23
	v_cvt_i32_f32_e32 v23, v28
	v_exp_f32_e32 v22, v22
	v_cmp_nlt_f32_e32 vcc, s29, v21
	v_ldexp_f32 v22, v22, v23
	s_nop 0
	v_cndmask_b32_e32 v22, 0, v22, vcc
	v_cmp_ngt_f32_e32 vcc, s30, v21
	s_nop 1
	v_cndmask_b32_e32 v21, v36, v22, vcc
	v_sub_f32_e32 v21, 1.0, v21
.LBB541_49:                             ;   in Loop: Header=BB541_3 Depth=1
	s_andn2_saveexec_b64 s[20:21], s[20:21]
; %bb.50:                               ;   in Loop: Header=BB541_3 Depth=1
	v_mul_f32_e32 v21, v20, v20
	v_fmamk_f32 v22, v21, 0xba1345e1, v34
	v_fmaak_f32 v22, v21, v22, 0xbcdac9b8
	v_fmaak_f32 v22, v21, v22, 0x3de703be
	;; [unrolled: 1-line block ×4, first 2 shown]
	v_fma_f32 v21, |v20|, v21, |v20|
; %bb.51:                               ;   in Loop: Header=BB541_3 Depth=1
	s_or_b64 exec, exec, s[20:21]
	v_bfi_b32 v12, s31, v13, v12
	v_mul_f32_e32 v14, 0.5, v14
	v_add_f32_e32 v12, 1.0, v12
	v_mul_f32_e32 v12, v14, v12
	v_bfi_b32 v14, s31, v21, v20
	v_mul_f32_e32 v13, 0.5, v15
	v_add_f32_e32 v14, 1.0, v14
	v_mul_f32_e32 v13, v13, v14
	;;#ASMSTART
	v_pk_mul_f32 v[10:11], v[12:13], v[10:11]
	;;#ASMEND
	v_mul_f32_e32 v12, 0x3f3504f3, v4
	v_cmp_nlt_f32_e64 s[20:21], |v12|, 1.0
                                        ; implicit-def: $vgpr13
	s_and_saveexec_b64 s[34:35], s[20:21]
	s_xor_b64 s[20:21], exec, s[34:35]
	s_cbranch_execz .LBB541_53
; %bb.52:                               ;   in Loop: Header=BB541_3 Depth=1
	v_fma_f32 v13, |v12|, s22, v35
	v_fma_f32 v13, |v12|, v13, s23
	;; [unrolled: 1-line block ×6, first 2 shown]
	v_fma_f32 v13, |v12|, v13, |v12|
	v_mul_f32_e32 v14, 0xbfb8aa3b, v13
	v_fma_f32 v15, v13, s28, -v14
	v_rndne_f32_e32 v20, v14
	v_fmac_f32_e32 v15, 0xb2a5705f, v13
	v_sub_f32_e32 v14, v14, v20
	v_add_f32_e32 v14, v14, v15
	v_cvt_i32_f32_e32 v15, v20
	v_exp_f32_e32 v14, v14
	v_cmp_nlt_f32_e32 vcc, s29, v13
	v_ldexp_f32 v14, v14, v15
	s_nop 0
	v_cndmask_b32_e32 v14, 0, v14, vcc
	v_cmp_ngt_f32_e32 vcc, s30, v13
	s_nop 1
	v_cndmask_b32_e32 v13, v36, v14, vcc
	v_sub_f32_e32 v13, 1.0, v13
.LBB541_53:                             ;   in Loop: Header=BB541_3 Depth=1
	s_andn2_saveexec_b64 s[20:21], s[20:21]
; %bb.54:                               ;   in Loop: Header=BB541_3 Depth=1
	v_mul_f32_e32 v13, v12, v12
	v_fmamk_f32 v14, v13, 0xba1345e1, v34
	v_fmaak_f32 v14, v13, v14, 0xbcdac9b8
	v_fmaak_f32 v14, v13, v14, 0x3de703be
	;; [unrolled: 1-line block ×4, first 2 shown]
	v_fma_f32 v13, |v12|, v13, |v12|
; %bb.55:                               ;   in Loop: Header=BB541_3 Depth=1
	s_or_b64 exec, exec, s[20:21]
	v_mul_f32_e32 v14, 0x3f3504f3, v5
	v_cmp_nlt_f32_e64 s[20:21], |v14|, 1.0
                                        ; implicit-def: $vgpr15
	s_and_saveexec_b64 s[34:35], s[20:21]
	s_xor_b64 s[20:21], exec, s[34:35]
	s_cbranch_execz .LBB541_57
; %bb.56:                               ;   in Loop: Header=BB541_3 Depth=1
	v_fma_f32 v15, |v14|, s22, v35
	v_fma_f32 v15, |v14|, v15, s23
	;; [unrolled: 1-line block ×6, first 2 shown]
	v_fma_f32 v15, |v14|, v15, |v14|
	v_mul_f32_e32 v20, 0xbfb8aa3b, v15
	v_fma_f32 v21, v15, s28, -v20
	v_rndne_f32_e32 v22, v20
	v_fmac_f32_e32 v21, 0xb2a5705f, v15
	v_sub_f32_e32 v20, v20, v22
	v_add_f32_e32 v20, v20, v21
	v_cvt_i32_f32_e32 v21, v22
	v_exp_f32_e32 v20, v20
	v_cmp_nlt_f32_e32 vcc, s29, v15
	v_ldexp_f32 v20, v20, v21
	s_nop 0
	v_cndmask_b32_e32 v20, 0, v20, vcc
	v_cmp_ngt_f32_e32 vcc, s30, v15
	s_nop 1
	v_cndmask_b32_e32 v15, v36, v20, vcc
	v_sub_f32_e32 v15, 1.0, v15
.LBB541_57:                             ;   in Loop: Header=BB541_3 Depth=1
	s_andn2_saveexec_b64 s[20:21], s[20:21]
; %bb.58:                               ;   in Loop: Header=BB541_3 Depth=1
	v_mul_f32_e32 v15, v14, v14
	v_fmamk_f32 v20, v15, 0xba1345e1, v34
	v_fmaak_f32 v20, v15, v20, 0xbcdac9b8
	v_fmaak_f32 v20, v15, v20, 0x3de703be
	;; [unrolled: 1-line block ×4, first 2 shown]
	v_fma_f32 v15, |v14|, v15, |v14|
; %bb.59:                               ;   in Loop: Header=BB541_3 Depth=1
	s_or_b64 exec, exec, s[20:21]
	v_bfi_b32 v12, s31, v13, v12
	v_mul_f32_e32 v4, 0.5, v4
	v_add_f32_e32 v12, 1.0, v12
	v_mul_f32_e32 v4, v4, v12
	v_bfi_b32 v12, s31, v15, v14
	v_mul_f32_e32 v5, 0.5, v5
	v_add_f32_e32 v12, 1.0, v12
	v_mul_f32_e32 v5, v5, v12
	s_waitcnt vmcnt(0)
	;;#ASMSTART
	v_pk_mul_f32 v[0:1], v[4:5], v[0:1]
	;;#ASMEND
	v_mul_f32_e32 v4, 0x3f3504f3, v6
	v_cmp_nlt_f32_e64 s[20:21], |v4|, 1.0
                                        ; implicit-def: $vgpr5
	s_and_saveexec_b64 s[34:35], s[20:21]
	s_xor_b64 s[20:21], exec, s[34:35]
	s_cbranch_execz .LBB541_61
; %bb.60:                               ;   in Loop: Header=BB541_3 Depth=1
	v_fma_f32 v5, |v4|, s22, v35
	v_fma_f32 v5, |v4|, v5, s23
	;; [unrolled: 1-line block ×6, first 2 shown]
	v_fma_f32 v5, |v4|, v5, |v4|
	v_mul_f32_e32 v12, 0xbfb8aa3b, v5
	v_fma_f32 v13, v5, s28, -v12
	v_rndne_f32_e32 v14, v12
	v_fmac_f32_e32 v13, 0xb2a5705f, v5
	v_sub_f32_e32 v12, v12, v14
	v_add_f32_e32 v12, v12, v13
	v_cvt_i32_f32_e32 v13, v14
	v_exp_f32_e32 v12, v12
	v_cmp_nlt_f32_e32 vcc, s29, v5
	v_ldexp_f32 v12, v12, v13
	s_nop 0
	v_cndmask_b32_e32 v12, 0, v12, vcc
	v_cmp_ngt_f32_e32 vcc, s30, v5
	s_nop 1
	v_cndmask_b32_e32 v5, v36, v12, vcc
	v_sub_f32_e32 v5, 1.0, v5
.LBB541_61:                             ;   in Loop: Header=BB541_3 Depth=1
	s_andn2_saveexec_b64 s[20:21], s[20:21]
; %bb.62:                               ;   in Loop: Header=BB541_3 Depth=1
	v_mul_f32_e32 v5, v4, v4
	v_fmamk_f32 v12, v5, 0xba1345e1, v34
	v_fmaak_f32 v12, v5, v12, 0xbcdac9b8
	v_fmaak_f32 v12, v5, v12, 0x3de703be
	v_fmaak_f32 v12, v5, v12, 0xbec09330
	v_fmaak_f32 v5, v5, v12, 0x3e0375d0
	v_fma_f32 v5, |v4|, v5, |v4|
; %bb.63:                               ;   in Loop: Header=BB541_3 Depth=1
	s_or_b64 exec, exec, s[20:21]
	v_mul_f32_e32 v12, 0x3f3504f3, v7
	v_cmp_nlt_f32_e64 s[20:21], |v12|, 1.0
                                        ; implicit-def: $vgpr13
	s_and_saveexec_b64 s[34:35], s[20:21]
	s_xor_b64 s[20:21], exec, s[34:35]
	s_cbranch_execz .LBB541_65
; %bb.64:                               ;   in Loop: Header=BB541_3 Depth=1
	v_fma_f32 v13, |v12|, s22, v35
	v_fma_f32 v13, |v12|, v13, s23
	;; [unrolled: 1-line block ×6, first 2 shown]
	v_fma_f32 v13, |v12|, v13, |v12|
	v_mul_f32_e32 v14, 0xbfb8aa3b, v13
	v_fma_f32 v15, v13, s28, -v14
	v_rndne_f32_e32 v20, v14
	v_fmac_f32_e32 v15, 0xb2a5705f, v13
	v_sub_f32_e32 v14, v14, v20
	v_add_f32_e32 v14, v14, v15
	v_cvt_i32_f32_e32 v15, v20
	v_exp_f32_e32 v14, v14
	v_cmp_nlt_f32_e32 vcc, s29, v13
	v_ldexp_f32 v14, v14, v15
	s_nop 0
	v_cndmask_b32_e32 v14, 0, v14, vcc
	v_cmp_ngt_f32_e32 vcc, s30, v13
	s_nop 1
	v_cndmask_b32_e32 v13, v36, v14, vcc
	v_sub_f32_e32 v13, 1.0, v13
.LBB541_65:                             ;   in Loop: Header=BB541_3 Depth=1
	s_andn2_saveexec_b64 s[20:21], s[20:21]
	s_cbranch_execz .LBB541_2
; %bb.66:                               ;   in Loop: Header=BB541_3 Depth=1
	v_mul_f32_e32 v13, v12, v12
	v_fmamk_f32 v14, v13, 0xba1345e1, v34
	v_fmaak_f32 v14, v13, v14, 0xbcdac9b8
	v_fmaak_f32 v14, v13, v14, 0x3de703be
	;; [unrolled: 1-line block ×4, first 2 shown]
	v_fma_f32 v13, |v12|, v13, |v12|
	s_branch .LBB541_2
.LBB541_67:
	s_endpgm
	.section	.rodata,"a",@progbits
	.p2align	6, 0x0
	.amdhsa_kernel _ZN5aiter18act_and_mul_kernelIftTnPFfRKT_EXadL_ZNS_11gelu_kernelIfEEfS3_EELi16ELb0ELi0EEEvPT0_PS2_if
		.amdhsa_group_segment_fixed_size 0
		.amdhsa_private_segment_fixed_size 0
		.amdhsa_kernarg_size 280
		.amdhsa_user_sgpr_count 2
		.amdhsa_user_sgpr_dispatch_ptr 0
		.amdhsa_user_sgpr_queue_ptr 0
		.amdhsa_user_sgpr_kernarg_segment_ptr 1
		.amdhsa_user_sgpr_dispatch_id 0
		.amdhsa_user_sgpr_kernarg_preload_length 0
		.amdhsa_user_sgpr_kernarg_preload_offset 0
		.amdhsa_user_sgpr_private_segment_size 0
		.amdhsa_uses_dynamic_stack 0
		.amdhsa_enable_private_segment 0
		.amdhsa_system_sgpr_workgroup_id_x 1
		.amdhsa_system_sgpr_workgroup_id_y 0
		.amdhsa_system_sgpr_workgroup_id_z 0
		.amdhsa_system_sgpr_workgroup_info 0
		.amdhsa_system_vgpr_workitem_id 0
		.amdhsa_next_free_vgpr 44
		.amdhsa_next_free_sgpr 36
		.amdhsa_accum_offset 44
		.amdhsa_reserve_vcc 1
		.amdhsa_float_round_mode_32 0
		.amdhsa_float_round_mode_16_64 0
		.amdhsa_float_denorm_mode_32 3
		.amdhsa_float_denorm_mode_16_64 3
		.amdhsa_dx10_clamp 1
		.amdhsa_ieee_mode 1
		.amdhsa_fp16_overflow 0
		.amdhsa_tg_split 0
		.amdhsa_exception_fp_ieee_invalid_op 0
		.amdhsa_exception_fp_denorm_src 0
		.amdhsa_exception_fp_ieee_div_zero 0
		.amdhsa_exception_fp_ieee_overflow 0
		.amdhsa_exception_fp_ieee_underflow 0
		.amdhsa_exception_fp_ieee_inexact 0
		.amdhsa_exception_int_div_zero 0
	.end_amdhsa_kernel
	.section	.text._ZN5aiter18act_and_mul_kernelIftTnPFfRKT_EXadL_ZNS_11gelu_kernelIfEEfS3_EELi16ELb0ELi0EEEvPT0_PS2_if,"axG",@progbits,_ZN5aiter18act_and_mul_kernelIftTnPFfRKT_EXadL_ZNS_11gelu_kernelIfEEfS3_EELi16ELb0ELi0EEEvPT0_PS2_if,comdat
.Lfunc_end541:
	.size	_ZN5aiter18act_and_mul_kernelIftTnPFfRKT_EXadL_ZNS_11gelu_kernelIfEEfS3_EELi16ELb0ELi0EEEvPT0_PS2_if, .Lfunc_end541-_ZN5aiter18act_and_mul_kernelIftTnPFfRKT_EXadL_ZNS_11gelu_kernelIfEEfS3_EELi16ELb0ELi0EEEvPT0_PS2_if
                                        ; -- End function
	.section	.AMDGPU.csdata,"",@progbits
; Kernel info:
; codeLenInByte = 4500
; NumSgprs: 42
; NumVgprs: 44
; NumAgprs: 0
; TotalNumVgprs: 44
; ScratchSize: 0
; MemoryBound: 0
; FloatMode: 240
; IeeeMode: 1
; LDSByteSize: 0 bytes/workgroup (compile time only)
; SGPRBlocks: 5
; VGPRBlocks: 5
; NumSGPRsForWavesPerEU: 42
; NumVGPRsForWavesPerEU: 44
; AccumOffset: 44
; Occupancy: 8
; WaveLimiterHint : 0
; COMPUTE_PGM_RSRC2:SCRATCH_EN: 0
; COMPUTE_PGM_RSRC2:USER_SGPR: 2
; COMPUTE_PGM_RSRC2:TRAP_HANDLER: 0
; COMPUTE_PGM_RSRC2:TGID_X_EN: 1
; COMPUTE_PGM_RSRC2:TGID_Y_EN: 0
; COMPUTE_PGM_RSRC2:TGID_Z_EN: 0
; COMPUTE_PGM_RSRC2:TIDIG_COMP_CNT: 0
; COMPUTE_PGM_RSRC3_GFX90A:ACCUM_OFFSET: 10
; COMPUTE_PGM_RSRC3_GFX90A:TG_SPLIT: 0
	.section	.text._ZN5aiter18act_and_mul_kernelIftTnPFfRKT_EXadL_ZNS_11gelu_kernelIfEEfS3_EELi8ELb0ELi0EEEvPT0_PS2_if,"axG",@progbits,_ZN5aiter18act_and_mul_kernelIftTnPFfRKT_EXadL_ZNS_11gelu_kernelIfEEfS3_EELi8ELb0ELi0EEEvPT0_PS2_if,comdat
	.protected	_ZN5aiter18act_and_mul_kernelIftTnPFfRKT_EXadL_ZNS_11gelu_kernelIfEEfS3_EELi8ELb0ELi0EEEvPT0_PS2_if ; -- Begin function _ZN5aiter18act_and_mul_kernelIftTnPFfRKT_EXadL_ZNS_11gelu_kernelIfEEfS3_EELi8ELb0ELi0EEEvPT0_PS2_if
	.globl	_ZN5aiter18act_and_mul_kernelIftTnPFfRKT_EXadL_ZNS_11gelu_kernelIfEEfS3_EELi8ELb0ELi0EEEvPT0_PS2_if
	.p2align	8
	.type	_ZN5aiter18act_and_mul_kernelIftTnPFfRKT_EXadL_ZNS_11gelu_kernelIfEEfS3_EELi8ELb0ELi0EEEvPT0_PS2_if,@function
_ZN5aiter18act_and_mul_kernelIftTnPFfRKT_EXadL_ZNS_11gelu_kernelIfEEfS3_EELi8ELb0ELi0EEEvPT0_PS2_if: ; @_ZN5aiter18act_and_mul_kernelIftTnPFfRKT_EXadL_ZNS_11gelu_kernelIfEEfS3_EELi8ELb0ELi0EEEvPT0_PS2_if
; %bb.0:
	s_load_dword s16, s[0:1], 0x10
	v_lshlrev_b32_e32 v16, 3, v0
	s_waitcnt lgkmcnt(0)
	v_cmp_gt_i32_e32 vcc, s16, v16
	s_and_saveexec_b64 s[4:5], vcc
	s_cbranch_execz .LBB542_35
; %bb.1:
	s_load_dwordx4 s[12:15], s[0:1], 0x0
	s_ashr_i32 s17, s16, 31
	s_mul_hi_u32 s3, s16, s2
	s_mul_i32 s4, s17, s2
	s_add_i32 s3, s3, s4
	s_mul_i32 s2, s16, s2
	s_lshl_b64 s[10:11], s[2:3], 1
	s_lshl_b64 s[2:3], s[2:3], 3
	s_waitcnt lgkmcnt(0)
	s_add_u32 s4, s14, s2
	s_addc_u32 s5, s15, s3
	s_lshl_b64 s[2:3], s[16:17], 2
	s_add_u32 s8, s4, s2
	s_addc_u32 s2, s5, s3
	s_lshl_b32 s6, s16, 2
	s_and_b32 s5, s5, 0xffff
	s_and_b32 s9, s2, 0xffff
	s_add_u32 s12, s12, s10
	s_addc_u32 s2, s13, s11
	s_add_i32 s3, s16, 1
	s_lshr_b32 s10, s3, 31
	s_add_i32 s3, s3, s10
	s_lshl_b32 s3, s3, 1
	s_and_b32 s14, s3, -4
	s_and_b32 s13, s2, 0xffff
	s_mov_b32 s7, 0x20000
	s_add_u32 s0, s0, 24
	s_mov_b32 s15, s7
	v_mov_b32_e32 v17, 0
	s_addc_u32 s1, s1, 0
	s_mov_b64 s[2:3], 0
	s_mov_b32 s19, 0
	s_mov_b32 s10, s6
	s_mov_b32 s11, s7
	s_mov_b32 s22, 0x378e98ab
	s_mov_b32 s23, 0x3b7cd369
	s_mov_b32 s24, 0xbcc618b2
	s_mov_b32 s25, 0x3dda74e4
	s_mov_b32 s26, 0x3f228afd
	s_mov_b32 s27, 0x3e03c728
	s_mov_b32 s28, 0xbfb8aa3b
	s_mov_b32 s29, 0x42ce8ed0
	s_mov_b32 s30, 0xc2b17218
	v_mov_b32_e32 v18, 0x3ba10414
	s_brev_b32 s31, -2
	s_mov_b32 s33, 0x7060302
	v_mov_b32_e32 v19, 0xb9c68948
	v_mov_b32_e32 v20, 0x7f800000
                                        ; implicit-def: $vgpr0
                                        ; implicit-def: $vgpr0
	;; [unrolled: 1-line block ×4, first 2 shown]
	s_branch .LBB542_3
.LBB542_2:                              ;   in Loop: Header=BB542_3 Depth=1
	s_or_b64 exec, exec, s[20:21]
	v_bfi_b32 v4, s31, v5, v4
	v_mul_f32_e32 v6, 0.5, v6
	v_add_f32_e32 v4, 1.0, v4
	v_mul_f32_e32 v4, v6, v4
	v_bfi_b32 v6, s31, v13, v12
	v_mul_f32_e32 v5, 0.5, v7
	v_add_f32_e32 v6, 1.0, v6
	v_mul_f32_e32 v5, v5, v6
	;;#ASMSTART
	v_pk_mul_f32 v[2:3], v[4:5], v[2:3]
	;;#ASMEND
	s_load_dword s18, s[0:1], 0xc
	v_lshlrev_b32_e32 v4, 1, v16
	v_perm_b32 v3, v3, v2, s33
	v_perm_b32 v2, v1, v0, s33
	;; [unrolled: 1-line block ×3, first 2 shown]
	s_waitcnt lgkmcnt(0)
	s_and_b32 s18, s18, 0xffff
	s_lshl_b32 s18, s18, 3
	v_lshl_add_u64 v[16:17], s[18:19], 0, v[16:17]
	v_cmp_le_i64_e32 vcc, s[16:17], v[16:17]
	v_perm_b32 v0, v9, v8, s33
	s_or_b64 s[2:3], vcc, s[2:3]
	buffer_store_dwordx4 v[0:3], v4, s[12:15], 0 offen
	s_andn2_b64 exec, exec, s[2:3]
	s_cbranch_execz .LBB542_35
.LBB542_3:                              ; =>This Inner Loop Header: Depth=1
	v_lshlrev_b32_e32 v21, 2, v16
	buffer_load_dwordx4 v[12:15], v21, s[4:7], 0 offen
	buffer_load_dwordx4 v[4:7], v21, s[4:7], 16 offen
	;; [unrolled: 1-line block ×4, first 2 shown]
                                        ; implicit-def: $vgpr22
	s_waitcnt vmcnt(3)
	v_mul_f32_e32 v21, 0x3f3504f3, v12
	v_cmp_nlt_f32_e64 s[20:21], |v21|, 1.0
	s_and_saveexec_b64 s[34:35], s[20:21]
	s_xor_b64 s[20:21], exec, s[34:35]
	s_cbranch_execz .LBB542_5
; %bb.4:                                ;   in Loop: Header=BB542_3 Depth=1
	v_fma_f32 v22, |v21|, s22, v19
	v_fma_f32 v22, |v21|, v22, s23
	;; [unrolled: 1-line block ×6, first 2 shown]
	v_fma_f32 v22, |v21|, v22, |v21|
	v_mul_f32_e32 v23, 0xbfb8aa3b, v22
	v_fma_f32 v24, v22, s28, -v23
	v_rndne_f32_e32 v25, v23
	v_fmac_f32_e32 v24, 0xb2a5705f, v22
	v_sub_f32_e32 v23, v23, v25
	v_add_f32_e32 v23, v23, v24
	v_cvt_i32_f32_e32 v24, v25
	v_exp_f32_e32 v23, v23
	v_cmp_nlt_f32_e32 vcc, s29, v22
	v_ldexp_f32 v23, v23, v24
	s_nop 0
	v_cndmask_b32_e32 v23, 0, v23, vcc
	v_cmp_ngt_f32_e32 vcc, s30, v22
	s_nop 1
	v_cndmask_b32_e32 v22, v20, v23, vcc
	v_sub_f32_e32 v22, 1.0, v22
.LBB542_5:                              ;   in Loop: Header=BB542_3 Depth=1
	s_andn2_saveexec_b64 s[20:21], s[20:21]
; %bb.6:                                ;   in Loop: Header=BB542_3 Depth=1
	v_mul_f32_e32 v22, v21, v21
	v_fmamk_f32 v23, v22, 0xba1345e1, v18
	v_fmaak_f32 v23, v22, v23, 0xbcdac9b8
	v_fmaak_f32 v23, v22, v23, 0x3de703be
	;; [unrolled: 1-line block ×4, first 2 shown]
	v_fma_f32 v22, |v21|, v22, |v21|
; %bb.7:                                ;   in Loop: Header=BB542_3 Depth=1
	s_or_b64 exec, exec, s[20:21]
	v_mul_f32_e32 v23, 0x3f3504f3, v13
	v_cmp_nlt_f32_e64 s[20:21], |v23|, 1.0
                                        ; implicit-def: $vgpr24
	s_and_saveexec_b64 s[34:35], s[20:21]
	s_xor_b64 s[20:21], exec, s[34:35]
	s_cbranch_execz .LBB542_9
; %bb.8:                                ;   in Loop: Header=BB542_3 Depth=1
	v_fma_f32 v24, |v23|, s22, v19
	v_fma_f32 v24, |v23|, v24, s23
	;; [unrolled: 1-line block ×6, first 2 shown]
	v_fma_f32 v24, |v23|, v24, |v23|
	v_mul_f32_e32 v25, 0xbfb8aa3b, v24
	v_fma_f32 v26, v24, s28, -v25
	v_rndne_f32_e32 v27, v25
	v_fmac_f32_e32 v26, 0xb2a5705f, v24
	v_sub_f32_e32 v25, v25, v27
	v_add_f32_e32 v25, v25, v26
	v_cvt_i32_f32_e32 v26, v27
	v_exp_f32_e32 v25, v25
	v_cmp_nlt_f32_e32 vcc, s29, v24
	v_ldexp_f32 v25, v25, v26
	s_nop 0
	v_cndmask_b32_e32 v25, 0, v25, vcc
	v_cmp_ngt_f32_e32 vcc, s30, v24
	s_nop 1
	v_cndmask_b32_e32 v24, v20, v25, vcc
	v_sub_f32_e32 v24, 1.0, v24
.LBB542_9:                              ;   in Loop: Header=BB542_3 Depth=1
	s_andn2_saveexec_b64 s[20:21], s[20:21]
; %bb.10:                               ;   in Loop: Header=BB542_3 Depth=1
	v_mul_f32_e32 v24, v23, v23
	v_fmamk_f32 v25, v24, 0xba1345e1, v18
	v_fmaak_f32 v25, v24, v25, 0xbcdac9b8
	v_fmaak_f32 v25, v24, v25, 0x3de703be
	;; [unrolled: 1-line block ×4, first 2 shown]
	v_fma_f32 v24, |v23|, v24, |v23|
; %bb.11:                               ;   in Loop: Header=BB542_3 Depth=1
	s_or_b64 exec, exec, s[20:21]
	v_bfi_b32 v21, s31, v22, v21
	v_mul_f32_e32 v12, 0.5, v12
	v_add_f32_e32 v21, 1.0, v21
	v_mul_f32_e32 v12, v12, v21
	v_bfi_b32 v21, s31, v24, v23
	v_mul_f32_e32 v13, 0.5, v13
	v_add_f32_e32 v21, 1.0, v21
	v_mul_f32_e32 v13, v13, v21
	s_waitcnt vmcnt(1)
	;;#ASMSTART
	v_pk_mul_f32 v[8:9], v[12:13], v[8:9]
	;;#ASMEND
	v_mul_f32_e32 v12, 0x3f3504f3, v14
	v_cmp_nlt_f32_e64 s[20:21], |v12|, 1.0
                                        ; implicit-def: $vgpr13
	s_and_saveexec_b64 s[34:35], s[20:21]
	s_xor_b64 s[20:21], exec, s[34:35]
	s_cbranch_execz .LBB542_13
; %bb.12:                               ;   in Loop: Header=BB542_3 Depth=1
	v_fma_f32 v13, |v12|, s22, v19
	v_fma_f32 v13, |v12|, v13, s23
	;; [unrolled: 1-line block ×6, first 2 shown]
	v_fma_f32 v13, |v12|, v13, |v12|
	v_mul_f32_e32 v21, 0xbfb8aa3b, v13
	v_fma_f32 v22, v13, s28, -v21
	v_rndne_f32_e32 v23, v21
	v_fmac_f32_e32 v22, 0xb2a5705f, v13
	v_sub_f32_e32 v21, v21, v23
	v_add_f32_e32 v21, v21, v22
	v_cvt_i32_f32_e32 v22, v23
	v_exp_f32_e32 v21, v21
	v_cmp_nlt_f32_e32 vcc, s29, v13
	v_ldexp_f32 v21, v21, v22
	s_nop 0
	v_cndmask_b32_e32 v21, 0, v21, vcc
	v_cmp_ngt_f32_e32 vcc, s30, v13
	s_nop 1
	v_cndmask_b32_e32 v13, v20, v21, vcc
	v_sub_f32_e32 v13, 1.0, v13
.LBB542_13:                             ;   in Loop: Header=BB542_3 Depth=1
	s_andn2_saveexec_b64 s[20:21], s[20:21]
; %bb.14:                               ;   in Loop: Header=BB542_3 Depth=1
	v_mul_f32_e32 v13, v12, v12
	v_fmamk_f32 v21, v13, 0xba1345e1, v18
	v_fmaak_f32 v21, v13, v21, 0xbcdac9b8
	v_fmaak_f32 v21, v13, v21, 0x3de703be
	;; [unrolled: 1-line block ×4, first 2 shown]
	v_fma_f32 v13, |v12|, v13, |v12|
; %bb.15:                               ;   in Loop: Header=BB542_3 Depth=1
	s_or_b64 exec, exec, s[20:21]
	v_mul_f32_e32 v21, 0x3f3504f3, v15
	v_cmp_nlt_f32_e64 s[20:21], |v21|, 1.0
                                        ; implicit-def: $vgpr22
	s_and_saveexec_b64 s[34:35], s[20:21]
	s_xor_b64 s[20:21], exec, s[34:35]
	s_cbranch_execz .LBB542_17
; %bb.16:                               ;   in Loop: Header=BB542_3 Depth=1
	v_fma_f32 v22, |v21|, s22, v19
	v_fma_f32 v22, |v21|, v22, s23
	;; [unrolled: 1-line block ×6, first 2 shown]
	v_fma_f32 v22, |v21|, v22, |v21|
	v_mul_f32_e32 v23, 0xbfb8aa3b, v22
	v_fma_f32 v24, v22, s28, -v23
	v_rndne_f32_e32 v25, v23
	v_fmac_f32_e32 v24, 0xb2a5705f, v22
	v_sub_f32_e32 v23, v23, v25
	v_add_f32_e32 v23, v23, v24
	v_cvt_i32_f32_e32 v24, v25
	v_exp_f32_e32 v23, v23
	v_cmp_nlt_f32_e32 vcc, s29, v22
	v_ldexp_f32 v23, v23, v24
	s_nop 0
	v_cndmask_b32_e32 v23, 0, v23, vcc
	v_cmp_ngt_f32_e32 vcc, s30, v22
	s_nop 1
	v_cndmask_b32_e32 v22, v20, v23, vcc
	v_sub_f32_e32 v22, 1.0, v22
.LBB542_17:                             ;   in Loop: Header=BB542_3 Depth=1
	s_andn2_saveexec_b64 s[20:21], s[20:21]
; %bb.18:                               ;   in Loop: Header=BB542_3 Depth=1
	v_mul_f32_e32 v22, v21, v21
	v_fmamk_f32 v23, v22, 0xba1345e1, v18
	v_fmaak_f32 v23, v22, v23, 0xbcdac9b8
	v_fmaak_f32 v23, v22, v23, 0x3de703be
	;; [unrolled: 1-line block ×4, first 2 shown]
	v_fma_f32 v22, |v21|, v22, |v21|
; %bb.19:                               ;   in Loop: Header=BB542_3 Depth=1
	s_or_b64 exec, exec, s[20:21]
	v_bfi_b32 v12, s31, v13, v12
	v_mul_f32_e32 v14, 0.5, v14
	v_add_f32_e32 v12, 1.0, v12
	v_mul_f32_e32 v12, v14, v12
	v_bfi_b32 v14, s31, v22, v21
	v_mul_f32_e32 v13, 0.5, v15
	v_add_f32_e32 v14, 1.0, v14
	v_mul_f32_e32 v13, v13, v14
	;;#ASMSTART
	v_pk_mul_f32 v[10:11], v[12:13], v[10:11]
	;;#ASMEND
	v_mul_f32_e32 v12, 0x3f3504f3, v4
	v_cmp_nlt_f32_e64 s[20:21], |v12|, 1.0
                                        ; implicit-def: $vgpr13
	s_and_saveexec_b64 s[34:35], s[20:21]
	s_xor_b64 s[20:21], exec, s[34:35]
	s_cbranch_execz .LBB542_21
; %bb.20:                               ;   in Loop: Header=BB542_3 Depth=1
	v_fma_f32 v13, |v12|, s22, v19
	v_fma_f32 v13, |v12|, v13, s23
	;; [unrolled: 1-line block ×6, first 2 shown]
	v_fma_f32 v13, |v12|, v13, |v12|
	v_mul_f32_e32 v14, 0xbfb8aa3b, v13
	v_fma_f32 v15, v13, s28, -v14
	v_rndne_f32_e32 v21, v14
	v_fmac_f32_e32 v15, 0xb2a5705f, v13
	v_sub_f32_e32 v14, v14, v21
	v_add_f32_e32 v14, v14, v15
	v_cvt_i32_f32_e32 v15, v21
	v_exp_f32_e32 v14, v14
	v_cmp_nlt_f32_e32 vcc, s29, v13
	v_ldexp_f32 v14, v14, v15
	s_nop 0
	v_cndmask_b32_e32 v14, 0, v14, vcc
	v_cmp_ngt_f32_e32 vcc, s30, v13
	s_nop 1
	v_cndmask_b32_e32 v13, v20, v14, vcc
	v_sub_f32_e32 v13, 1.0, v13
.LBB542_21:                             ;   in Loop: Header=BB542_3 Depth=1
	s_andn2_saveexec_b64 s[20:21], s[20:21]
; %bb.22:                               ;   in Loop: Header=BB542_3 Depth=1
	v_mul_f32_e32 v13, v12, v12
	v_fmamk_f32 v14, v13, 0xba1345e1, v18
	v_fmaak_f32 v14, v13, v14, 0xbcdac9b8
	v_fmaak_f32 v14, v13, v14, 0x3de703be
	;; [unrolled: 1-line block ×4, first 2 shown]
	v_fma_f32 v13, |v12|, v13, |v12|
; %bb.23:                               ;   in Loop: Header=BB542_3 Depth=1
	s_or_b64 exec, exec, s[20:21]
	v_mul_f32_e32 v14, 0x3f3504f3, v5
	v_cmp_nlt_f32_e64 s[20:21], |v14|, 1.0
                                        ; implicit-def: $vgpr15
	s_and_saveexec_b64 s[34:35], s[20:21]
	s_xor_b64 s[20:21], exec, s[34:35]
	s_cbranch_execz .LBB542_25
; %bb.24:                               ;   in Loop: Header=BB542_3 Depth=1
	v_fma_f32 v15, |v14|, s22, v19
	v_fma_f32 v15, |v14|, v15, s23
	;; [unrolled: 1-line block ×6, first 2 shown]
	v_fma_f32 v15, |v14|, v15, |v14|
	v_mul_f32_e32 v21, 0xbfb8aa3b, v15
	v_fma_f32 v22, v15, s28, -v21
	v_rndne_f32_e32 v23, v21
	v_fmac_f32_e32 v22, 0xb2a5705f, v15
	v_sub_f32_e32 v21, v21, v23
	v_add_f32_e32 v21, v21, v22
	v_cvt_i32_f32_e32 v22, v23
	v_exp_f32_e32 v21, v21
	v_cmp_nlt_f32_e32 vcc, s29, v15
	v_ldexp_f32 v21, v21, v22
	s_nop 0
	v_cndmask_b32_e32 v21, 0, v21, vcc
	v_cmp_ngt_f32_e32 vcc, s30, v15
	s_nop 1
	v_cndmask_b32_e32 v15, v20, v21, vcc
	v_sub_f32_e32 v15, 1.0, v15
.LBB542_25:                             ;   in Loop: Header=BB542_3 Depth=1
	s_andn2_saveexec_b64 s[20:21], s[20:21]
; %bb.26:                               ;   in Loop: Header=BB542_3 Depth=1
	v_mul_f32_e32 v15, v14, v14
	v_fmamk_f32 v21, v15, 0xba1345e1, v18
	v_fmaak_f32 v21, v15, v21, 0xbcdac9b8
	v_fmaak_f32 v21, v15, v21, 0x3de703be
	;; [unrolled: 1-line block ×4, first 2 shown]
	v_fma_f32 v15, |v14|, v15, |v14|
; %bb.27:                               ;   in Loop: Header=BB542_3 Depth=1
	s_or_b64 exec, exec, s[20:21]
	v_bfi_b32 v12, s31, v13, v12
	v_mul_f32_e32 v4, 0.5, v4
	v_add_f32_e32 v12, 1.0, v12
	v_mul_f32_e32 v4, v4, v12
	v_bfi_b32 v12, s31, v15, v14
	v_mul_f32_e32 v5, 0.5, v5
	v_add_f32_e32 v12, 1.0, v12
	v_mul_f32_e32 v5, v5, v12
	s_waitcnt vmcnt(0)
	;;#ASMSTART
	v_pk_mul_f32 v[0:1], v[4:5], v[0:1]
	;;#ASMEND
	v_mul_f32_e32 v4, 0x3f3504f3, v6
	v_cmp_nlt_f32_e64 s[20:21], |v4|, 1.0
                                        ; implicit-def: $vgpr5
	s_and_saveexec_b64 s[34:35], s[20:21]
	s_xor_b64 s[20:21], exec, s[34:35]
	s_cbranch_execz .LBB542_29
; %bb.28:                               ;   in Loop: Header=BB542_3 Depth=1
	v_fma_f32 v5, |v4|, s22, v19
	v_fma_f32 v5, |v4|, v5, s23
	;; [unrolled: 1-line block ×6, first 2 shown]
	v_fma_f32 v5, |v4|, v5, |v4|
	v_mul_f32_e32 v12, 0xbfb8aa3b, v5
	v_fma_f32 v13, v5, s28, -v12
	v_rndne_f32_e32 v14, v12
	v_fmac_f32_e32 v13, 0xb2a5705f, v5
	v_sub_f32_e32 v12, v12, v14
	v_add_f32_e32 v12, v12, v13
	v_cvt_i32_f32_e32 v13, v14
	v_exp_f32_e32 v12, v12
	v_cmp_nlt_f32_e32 vcc, s29, v5
	v_ldexp_f32 v12, v12, v13
	s_nop 0
	v_cndmask_b32_e32 v12, 0, v12, vcc
	v_cmp_ngt_f32_e32 vcc, s30, v5
	s_nop 1
	v_cndmask_b32_e32 v5, v20, v12, vcc
	v_sub_f32_e32 v5, 1.0, v5
.LBB542_29:                             ;   in Loop: Header=BB542_3 Depth=1
	s_andn2_saveexec_b64 s[20:21], s[20:21]
; %bb.30:                               ;   in Loop: Header=BB542_3 Depth=1
	v_mul_f32_e32 v5, v4, v4
	v_fmamk_f32 v12, v5, 0xba1345e1, v18
	v_fmaak_f32 v12, v5, v12, 0xbcdac9b8
	v_fmaak_f32 v12, v5, v12, 0x3de703be
	;; [unrolled: 1-line block ×4, first 2 shown]
	v_fma_f32 v5, |v4|, v5, |v4|
; %bb.31:                               ;   in Loop: Header=BB542_3 Depth=1
	s_or_b64 exec, exec, s[20:21]
	v_mul_f32_e32 v12, 0x3f3504f3, v7
	v_cmp_nlt_f32_e64 s[20:21], |v12|, 1.0
                                        ; implicit-def: $vgpr13
	s_and_saveexec_b64 s[34:35], s[20:21]
	s_xor_b64 s[20:21], exec, s[34:35]
	s_cbranch_execz .LBB542_33
; %bb.32:                               ;   in Loop: Header=BB542_3 Depth=1
	v_fma_f32 v13, |v12|, s22, v19
	v_fma_f32 v13, |v12|, v13, s23
	;; [unrolled: 1-line block ×6, first 2 shown]
	v_fma_f32 v13, |v12|, v13, |v12|
	v_mul_f32_e32 v14, 0xbfb8aa3b, v13
	v_fma_f32 v15, v13, s28, -v14
	v_rndne_f32_e32 v21, v14
	v_fmac_f32_e32 v15, 0xb2a5705f, v13
	v_sub_f32_e32 v14, v14, v21
	v_add_f32_e32 v14, v14, v15
	v_cvt_i32_f32_e32 v15, v21
	v_exp_f32_e32 v14, v14
	v_cmp_nlt_f32_e32 vcc, s29, v13
	v_ldexp_f32 v14, v14, v15
	s_nop 0
	v_cndmask_b32_e32 v14, 0, v14, vcc
	v_cmp_ngt_f32_e32 vcc, s30, v13
	s_nop 1
	v_cndmask_b32_e32 v13, v20, v14, vcc
	v_sub_f32_e32 v13, 1.0, v13
.LBB542_33:                             ;   in Loop: Header=BB542_3 Depth=1
	s_andn2_saveexec_b64 s[20:21], s[20:21]
	s_cbranch_execz .LBB542_2
; %bb.34:                               ;   in Loop: Header=BB542_3 Depth=1
	v_mul_f32_e32 v13, v12, v12
	v_fmamk_f32 v14, v13, 0xba1345e1, v18
	v_fmaak_f32 v14, v13, v14, 0xbcdac9b8
	v_fmaak_f32 v14, v13, v14, 0x3de703be
	;; [unrolled: 1-line block ×4, first 2 shown]
	v_fma_f32 v13, |v12|, v13, |v12|
	s_branch .LBB542_2
.LBB542_35:
	s_endpgm
	.section	.rodata,"a",@progbits
	.p2align	6, 0x0
	.amdhsa_kernel _ZN5aiter18act_and_mul_kernelIftTnPFfRKT_EXadL_ZNS_11gelu_kernelIfEEfS3_EELi8ELb0ELi0EEEvPT0_PS2_if
		.amdhsa_group_segment_fixed_size 0
		.amdhsa_private_segment_fixed_size 0
		.amdhsa_kernarg_size 280
		.amdhsa_user_sgpr_count 2
		.amdhsa_user_sgpr_dispatch_ptr 0
		.amdhsa_user_sgpr_queue_ptr 0
		.amdhsa_user_sgpr_kernarg_segment_ptr 1
		.amdhsa_user_sgpr_dispatch_id 0
		.amdhsa_user_sgpr_kernarg_preload_length 0
		.amdhsa_user_sgpr_kernarg_preload_offset 0
		.amdhsa_user_sgpr_private_segment_size 0
		.amdhsa_uses_dynamic_stack 0
		.amdhsa_enable_private_segment 0
		.amdhsa_system_sgpr_workgroup_id_x 1
		.amdhsa_system_sgpr_workgroup_id_y 0
		.amdhsa_system_sgpr_workgroup_id_z 0
		.amdhsa_system_sgpr_workgroup_info 0
		.amdhsa_system_vgpr_workitem_id 0
		.amdhsa_next_free_vgpr 28
		.amdhsa_next_free_sgpr 36
		.amdhsa_accum_offset 28
		.amdhsa_reserve_vcc 1
		.amdhsa_float_round_mode_32 0
		.amdhsa_float_round_mode_16_64 0
		.amdhsa_float_denorm_mode_32 3
		.amdhsa_float_denorm_mode_16_64 3
		.amdhsa_dx10_clamp 1
		.amdhsa_ieee_mode 1
		.amdhsa_fp16_overflow 0
		.amdhsa_tg_split 0
		.amdhsa_exception_fp_ieee_invalid_op 0
		.amdhsa_exception_fp_denorm_src 0
		.amdhsa_exception_fp_ieee_div_zero 0
		.amdhsa_exception_fp_ieee_overflow 0
		.amdhsa_exception_fp_ieee_underflow 0
		.amdhsa_exception_fp_ieee_inexact 0
		.amdhsa_exception_int_div_zero 0
	.end_amdhsa_kernel
	.section	.text._ZN5aiter18act_and_mul_kernelIftTnPFfRKT_EXadL_ZNS_11gelu_kernelIfEEfS3_EELi8ELb0ELi0EEEvPT0_PS2_if,"axG",@progbits,_ZN5aiter18act_and_mul_kernelIftTnPFfRKT_EXadL_ZNS_11gelu_kernelIfEEfS3_EELi8ELb0ELi0EEEvPT0_PS2_if,comdat
.Lfunc_end542:
	.size	_ZN5aiter18act_and_mul_kernelIftTnPFfRKT_EXadL_ZNS_11gelu_kernelIfEEfS3_EELi8ELb0ELi0EEEvPT0_PS2_if, .Lfunc_end542-_ZN5aiter18act_and_mul_kernelIftTnPFfRKT_EXadL_ZNS_11gelu_kernelIfEEfS3_EELi8ELb0ELi0EEEvPT0_PS2_if
                                        ; -- End function
	.section	.AMDGPU.csdata,"",@progbits
; Kernel info:
; codeLenInByte = 2432
; NumSgprs: 42
; NumVgprs: 28
; NumAgprs: 0
; TotalNumVgprs: 28
; ScratchSize: 0
; MemoryBound: 0
; FloatMode: 240
; IeeeMode: 1
; LDSByteSize: 0 bytes/workgroup (compile time only)
; SGPRBlocks: 5
; VGPRBlocks: 3
; NumSGPRsForWavesPerEU: 42
; NumVGPRsForWavesPerEU: 28
; AccumOffset: 28
; Occupancy: 8
; WaveLimiterHint : 0
; COMPUTE_PGM_RSRC2:SCRATCH_EN: 0
; COMPUTE_PGM_RSRC2:USER_SGPR: 2
; COMPUTE_PGM_RSRC2:TRAP_HANDLER: 0
; COMPUTE_PGM_RSRC2:TGID_X_EN: 1
; COMPUTE_PGM_RSRC2:TGID_Y_EN: 0
; COMPUTE_PGM_RSRC2:TGID_Z_EN: 0
; COMPUTE_PGM_RSRC2:TIDIG_COMP_CNT: 0
; COMPUTE_PGM_RSRC3_GFX90A:ACCUM_OFFSET: 6
; COMPUTE_PGM_RSRC3_GFX90A:TG_SPLIT: 0
	.section	.text._ZN5aiter18act_and_mul_kernelIftTnPFfRKT_EXadL_ZNS_11gelu_kernelIfEEfS3_EELi4ELb0ELi0EEEvPT0_PS2_if,"axG",@progbits,_ZN5aiter18act_and_mul_kernelIftTnPFfRKT_EXadL_ZNS_11gelu_kernelIfEEfS3_EELi4ELb0ELi0EEEvPT0_PS2_if,comdat
	.protected	_ZN5aiter18act_and_mul_kernelIftTnPFfRKT_EXadL_ZNS_11gelu_kernelIfEEfS3_EELi4ELb0ELi0EEEvPT0_PS2_if ; -- Begin function _ZN5aiter18act_and_mul_kernelIftTnPFfRKT_EXadL_ZNS_11gelu_kernelIfEEfS3_EELi4ELb0ELi0EEEvPT0_PS2_if
	.globl	_ZN5aiter18act_and_mul_kernelIftTnPFfRKT_EXadL_ZNS_11gelu_kernelIfEEfS3_EELi4ELb0ELi0EEEvPT0_PS2_if
	.p2align	8
	.type	_ZN5aiter18act_and_mul_kernelIftTnPFfRKT_EXadL_ZNS_11gelu_kernelIfEEfS3_EELi4ELb0ELi0EEEvPT0_PS2_if,@function
_ZN5aiter18act_and_mul_kernelIftTnPFfRKT_EXadL_ZNS_11gelu_kernelIfEEfS3_EELi4ELb0ELi0EEEvPT0_PS2_if: ; @_ZN5aiter18act_and_mul_kernelIftTnPFfRKT_EXadL_ZNS_11gelu_kernelIfEEfS3_EELi4ELb0ELi0EEEvPT0_PS2_if
; %bb.0:
	s_load_dword s16, s[0:1], 0x10
	v_lshlrev_b32_e32 v8, 2, v0
	s_waitcnt lgkmcnt(0)
	v_cmp_gt_i32_e32 vcc, s16, v8
	s_and_saveexec_b64 s[4:5], vcc
	s_cbranch_execz .LBB543_19
; %bb.1:
	s_load_dwordx4 s[12:15], s[0:1], 0x0
	s_ashr_i32 s17, s16, 31
	s_mul_hi_u32 s3, s16, s2
	s_mul_i32 s4, s17, s2
	s_add_i32 s3, s3, s4
	s_mul_i32 s2, s16, s2
	s_lshl_b64 s[10:11], s[2:3], 1
	s_lshl_b64 s[2:3], s[2:3], 3
	s_waitcnt lgkmcnt(0)
	s_add_u32 s4, s14, s2
	s_addc_u32 s5, s15, s3
	s_lshl_b64 s[2:3], s[16:17], 2
	s_add_u32 s8, s4, s2
	s_addc_u32 s2, s5, s3
	s_lshl_b32 s6, s16, 2
	s_and_b32 s5, s5, 0xffff
	s_and_b32 s9, s2, 0xffff
	s_add_u32 s12, s12, s10
	s_addc_u32 s2, s13, s11
	s_add_i32 s3, s16, 1
	s_lshr_b32 s10, s3, 31
	s_add_i32 s3, s3, s10
	s_lshl_b32 s3, s3, 1
	s_and_b32 s14, s3, -4
	s_and_b32 s13, s2, 0xffff
	s_mov_b32 s7, 0x20000
	s_add_u32 s0, s0, 24
	s_mov_b32 s15, s7
	v_mov_b32_e32 v9, 0
	s_addc_u32 s1, s1, 0
	s_mov_b64 s[2:3], 0
	s_mov_b32 s19, 0
	s_mov_b32 s10, s6
	;; [unrolled: 1-line block ×12, first 2 shown]
	v_mov_b32_e32 v10, 0x3ba10414
	s_brev_b32 s31, -2
	s_mov_b32 s33, 0x7060302
	v_mov_b32_e32 v11, 0xb9c68948
	v_mov_b32_e32 v12, 0x7f800000
                                        ; implicit-def: $vgpr0
                                        ; implicit-def: $vgpr0
	;; [unrolled: 1-line block ×4, first 2 shown]
	s_branch .LBB543_3
.LBB543_2:                              ;   in Loop: Header=BB543_3 Depth=1
	s_or_b64 exec, exec, s[20:21]
	v_bfi_b32 v4, s31, v5, v4
	v_mul_f32_e32 v6, 0.5, v6
	v_add_f32_e32 v4, 1.0, v4
	v_mul_f32_e32 v4, v6, v4
	v_bfi_b32 v6, s31, v14, v13
	v_mul_f32_e32 v5, 0.5, v7
	v_add_f32_e32 v6, 1.0, v6
	v_mul_f32_e32 v5, v5, v6
	;;#ASMSTART
	v_pk_mul_f32 v[2:3], v[4:5], v[2:3]
	;;#ASMEND
	s_load_dword s18, s[0:1], 0xc
	v_perm_b32 v3, v3, v2, s33
	v_perm_b32 v2, v1, v0, s33
	v_lshlrev_b32_e32 v0, 1, v8
	buffer_store_dwordx2 v[2:3], v0, s[12:15], 0 offen
	s_waitcnt lgkmcnt(0)
	s_and_b32 s18, s18, 0xffff
	s_lshl_b32 s18, s18, 2
	v_lshl_add_u64 v[8:9], s[18:19], 0, v[8:9]
	v_cmp_le_i64_e32 vcc, s[16:17], v[8:9]
	s_or_b64 s[2:3], vcc, s[2:3]
	s_andn2_b64 exec, exec, s[2:3]
	s_cbranch_execz .LBB543_19
.LBB543_3:                              ; =>This Inner Loop Header: Depth=1
	v_lshlrev_b32_e32 v13, 2, v8
	buffer_load_dwordx4 v[4:7], v13, s[4:7], 0 offen
	buffer_load_dwordx4 v[0:3], v13, s[8:11], 0 offen
                                        ; implicit-def: $vgpr14
	s_waitcnt vmcnt(1)
	v_mul_f32_e32 v13, 0x3f3504f3, v4
	v_cmp_nlt_f32_e64 s[20:21], |v13|, 1.0
	s_and_saveexec_b64 s[34:35], s[20:21]
	s_xor_b64 s[20:21], exec, s[34:35]
	s_cbranch_execz .LBB543_5
; %bb.4:                                ;   in Loop: Header=BB543_3 Depth=1
	v_fma_f32 v14, |v13|, s22, v11
	v_fma_f32 v14, |v13|, v14, s23
	;; [unrolled: 1-line block ×6, first 2 shown]
	v_fma_f32 v14, |v13|, v14, |v13|
	v_mul_f32_e32 v15, 0xbfb8aa3b, v14
	v_fma_f32 v16, v14, s28, -v15
	v_rndne_f32_e32 v17, v15
	v_fmac_f32_e32 v16, 0xb2a5705f, v14
	v_sub_f32_e32 v15, v15, v17
	v_add_f32_e32 v15, v15, v16
	v_cvt_i32_f32_e32 v16, v17
	v_exp_f32_e32 v15, v15
	v_cmp_nlt_f32_e32 vcc, s29, v14
	v_ldexp_f32 v15, v15, v16
	s_nop 0
	v_cndmask_b32_e32 v15, 0, v15, vcc
	v_cmp_ngt_f32_e32 vcc, s30, v14
	s_nop 1
	v_cndmask_b32_e32 v14, v12, v15, vcc
	v_sub_f32_e32 v14, 1.0, v14
.LBB543_5:                              ;   in Loop: Header=BB543_3 Depth=1
	s_andn2_saveexec_b64 s[20:21], s[20:21]
; %bb.6:                                ;   in Loop: Header=BB543_3 Depth=1
	v_mul_f32_e32 v14, v13, v13
	v_fmamk_f32 v15, v14, 0xba1345e1, v10
	v_fmaak_f32 v15, v14, v15, 0xbcdac9b8
	v_fmaak_f32 v15, v14, v15, 0x3de703be
	;; [unrolled: 1-line block ×4, first 2 shown]
	v_fma_f32 v14, |v13|, v14, |v13|
; %bb.7:                                ;   in Loop: Header=BB543_3 Depth=1
	s_or_b64 exec, exec, s[20:21]
	v_mul_f32_e32 v15, 0x3f3504f3, v5
	v_cmp_nlt_f32_e64 s[20:21], |v15|, 1.0
                                        ; implicit-def: $vgpr16
	s_and_saveexec_b64 s[34:35], s[20:21]
	s_xor_b64 s[20:21], exec, s[34:35]
	s_cbranch_execz .LBB543_9
; %bb.8:                                ;   in Loop: Header=BB543_3 Depth=1
	v_fma_f32 v16, |v15|, s22, v11
	v_fma_f32 v16, |v15|, v16, s23
	;; [unrolled: 1-line block ×6, first 2 shown]
	v_fma_f32 v16, |v15|, v16, |v15|
	v_mul_f32_e32 v17, 0xbfb8aa3b, v16
	v_fma_f32 v18, v16, s28, -v17
	v_rndne_f32_e32 v19, v17
	v_fmac_f32_e32 v18, 0xb2a5705f, v16
	v_sub_f32_e32 v17, v17, v19
	v_add_f32_e32 v17, v17, v18
	v_cvt_i32_f32_e32 v18, v19
	v_exp_f32_e32 v17, v17
	v_cmp_nlt_f32_e32 vcc, s29, v16
	v_ldexp_f32 v17, v17, v18
	s_nop 0
	v_cndmask_b32_e32 v17, 0, v17, vcc
	v_cmp_ngt_f32_e32 vcc, s30, v16
	s_nop 1
	v_cndmask_b32_e32 v16, v12, v17, vcc
	v_sub_f32_e32 v16, 1.0, v16
.LBB543_9:                              ;   in Loop: Header=BB543_3 Depth=1
	s_andn2_saveexec_b64 s[20:21], s[20:21]
; %bb.10:                               ;   in Loop: Header=BB543_3 Depth=1
	v_mul_f32_e32 v16, v15, v15
	v_fmamk_f32 v17, v16, 0xba1345e1, v10
	v_fmaak_f32 v17, v16, v17, 0xbcdac9b8
	v_fmaak_f32 v17, v16, v17, 0x3de703be
	;; [unrolled: 1-line block ×4, first 2 shown]
	v_fma_f32 v16, |v15|, v16, |v15|
; %bb.11:                               ;   in Loop: Header=BB543_3 Depth=1
	s_or_b64 exec, exec, s[20:21]
	v_bfi_b32 v13, s31, v14, v13
	v_mul_f32_e32 v4, 0.5, v4
	v_add_f32_e32 v13, 1.0, v13
	v_mul_f32_e32 v4, v4, v13
	v_bfi_b32 v13, s31, v16, v15
	v_mul_f32_e32 v5, 0.5, v5
	v_add_f32_e32 v13, 1.0, v13
	v_mul_f32_e32 v5, v5, v13
	s_waitcnt vmcnt(0)
	;;#ASMSTART
	v_pk_mul_f32 v[0:1], v[4:5], v[0:1]
	;;#ASMEND
	v_mul_f32_e32 v4, 0x3f3504f3, v6
	v_cmp_nlt_f32_e64 s[20:21], |v4|, 1.0
                                        ; implicit-def: $vgpr5
	s_and_saveexec_b64 s[34:35], s[20:21]
	s_xor_b64 s[20:21], exec, s[34:35]
	s_cbranch_execz .LBB543_13
; %bb.12:                               ;   in Loop: Header=BB543_3 Depth=1
	v_fma_f32 v5, |v4|, s22, v11
	v_fma_f32 v5, |v4|, v5, s23
	;; [unrolled: 1-line block ×6, first 2 shown]
	v_fma_f32 v5, |v4|, v5, |v4|
	v_mul_f32_e32 v13, 0xbfb8aa3b, v5
	v_fma_f32 v14, v5, s28, -v13
	v_rndne_f32_e32 v15, v13
	v_fmac_f32_e32 v14, 0xb2a5705f, v5
	v_sub_f32_e32 v13, v13, v15
	v_add_f32_e32 v13, v13, v14
	v_cvt_i32_f32_e32 v14, v15
	v_exp_f32_e32 v13, v13
	v_cmp_nlt_f32_e32 vcc, s29, v5
	v_ldexp_f32 v13, v13, v14
	s_nop 0
	v_cndmask_b32_e32 v13, 0, v13, vcc
	v_cmp_ngt_f32_e32 vcc, s30, v5
	s_nop 1
	v_cndmask_b32_e32 v5, v12, v13, vcc
	v_sub_f32_e32 v5, 1.0, v5
.LBB543_13:                             ;   in Loop: Header=BB543_3 Depth=1
	s_andn2_saveexec_b64 s[20:21], s[20:21]
; %bb.14:                               ;   in Loop: Header=BB543_3 Depth=1
	v_mul_f32_e32 v5, v4, v4
	v_fmamk_f32 v13, v5, 0xba1345e1, v10
	v_fmaak_f32 v13, v5, v13, 0xbcdac9b8
	v_fmaak_f32 v13, v5, v13, 0x3de703be
	;; [unrolled: 1-line block ×4, first 2 shown]
	v_fma_f32 v5, |v4|, v5, |v4|
; %bb.15:                               ;   in Loop: Header=BB543_3 Depth=1
	s_or_b64 exec, exec, s[20:21]
	v_mul_f32_e32 v13, 0x3f3504f3, v7
	v_cmp_nlt_f32_e64 s[20:21], |v13|, 1.0
                                        ; implicit-def: $vgpr14
	s_and_saveexec_b64 s[34:35], s[20:21]
	s_xor_b64 s[20:21], exec, s[34:35]
	s_cbranch_execz .LBB543_17
; %bb.16:                               ;   in Loop: Header=BB543_3 Depth=1
	v_fma_f32 v14, |v13|, s22, v11
	v_fma_f32 v14, |v13|, v14, s23
	;; [unrolled: 1-line block ×6, first 2 shown]
	v_fma_f32 v14, |v13|, v14, |v13|
	v_mul_f32_e32 v15, 0xbfb8aa3b, v14
	v_fma_f32 v16, v14, s28, -v15
	v_rndne_f32_e32 v17, v15
	v_fmac_f32_e32 v16, 0xb2a5705f, v14
	v_sub_f32_e32 v15, v15, v17
	v_add_f32_e32 v15, v15, v16
	v_cvt_i32_f32_e32 v16, v17
	v_exp_f32_e32 v15, v15
	v_cmp_nlt_f32_e32 vcc, s29, v14
	v_ldexp_f32 v15, v15, v16
	s_nop 0
	v_cndmask_b32_e32 v15, 0, v15, vcc
	v_cmp_ngt_f32_e32 vcc, s30, v14
	s_nop 1
	v_cndmask_b32_e32 v14, v12, v15, vcc
	v_sub_f32_e32 v14, 1.0, v14
.LBB543_17:                             ;   in Loop: Header=BB543_3 Depth=1
	s_andn2_saveexec_b64 s[20:21], s[20:21]
	s_cbranch_execz .LBB543_2
; %bb.18:                               ;   in Loop: Header=BB543_3 Depth=1
	v_mul_f32_e32 v14, v13, v13
	v_fmamk_f32 v15, v14, 0xba1345e1, v10
	v_fmaak_f32 v15, v14, v15, 0xbcdac9b8
	v_fmaak_f32 v15, v14, v15, 0x3de703be
	;; [unrolled: 1-line block ×4, first 2 shown]
	v_fma_f32 v14, |v13|, v14, |v13|
	s_branch .LBB543_2
.LBB543_19:
	s_endpgm
	.section	.rodata,"a",@progbits
	.p2align	6, 0x0
	.amdhsa_kernel _ZN5aiter18act_and_mul_kernelIftTnPFfRKT_EXadL_ZNS_11gelu_kernelIfEEfS3_EELi4ELb0ELi0EEEvPT0_PS2_if
		.amdhsa_group_segment_fixed_size 0
		.amdhsa_private_segment_fixed_size 0
		.amdhsa_kernarg_size 280
		.amdhsa_user_sgpr_count 2
		.amdhsa_user_sgpr_dispatch_ptr 0
		.amdhsa_user_sgpr_queue_ptr 0
		.amdhsa_user_sgpr_kernarg_segment_ptr 1
		.amdhsa_user_sgpr_dispatch_id 0
		.amdhsa_user_sgpr_kernarg_preload_length 0
		.amdhsa_user_sgpr_kernarg_preload_offset 0
		.amdhsa_user_sgpr_private_segment_size 0
		.amdhsa_uses_dynamic_stack 0
		.amdhsa_enable_private_segment 0
		.amdhsa_system_sgpr_workgroup_id_x 1
		.amdhsa_system_sgpr_workgroup_id_y 0
		.amdhsa_system_sgpr_workgroup_id_z 0
		.amdhsa_system_sgpr_workgroup_info 0
		.amdhsa_system_vgpr_workitem_id 0
		.amdhsa_next_free_vgpr 20
		.amdhsa_next_free_sgpr 36
		.amdhsa_accum_offset 20
		.amdhsa_reserve_vcc 1
		.amdhsa_float_round_mode_32 0
		.amdhsa_float_round_mode_16_64 0
		.amdhsa_float_denorm_mode_32 3
		.amdhsa_float_denorm_mode_16_64 3
		.amdhsa_dx10_clamp 1
		.amdhsa_ieee_mode 1
		.amdhsa_fp16_overflow 0
		.amdhsa_tg_split 0
		.amdhsa_exception_fp_ieee_invalid_op 0
		.amdhsa_exception_fp_denorm_src 0
		.amdhsa_exception_fp_ieee_div_zero 0
		.amdhsa_exception_fp_ieee_overflow 0
		.amdhsa_exception_fp_ieee_underflow 0
		.amdhsa_exception_fp_ieee_inexact 0
		.amdhsa_exception_int_div_zero 0
	.end_amdhsa_kernel
	.section	.text._ZN5aiter18act_and_mul_kernelIftTnPFfRKT_EXadL_ZNS_11gelu_kernelIfEEfS3_EELi4ELb0ELi0EEEvPT0_PS2_if,"axG",@progbits,_ZN5aiter18act_and_mul_kernelIftTnPFfRKT_EXadL_ZNS_11gelu_kernelIfEEfS3_EELi4ELb0ELi0EEEvPT0_PS2_if,comdat
.Lfunc_end543:
	.size	_ZN5aiter18act_and_mul_kernelIftTnPFfRKT_EXadL_ZNS_11gelu_kernelIfEEfS3_EELi4ELb0ELi0EEEvPT0_PS2_if, .Lfunc_end543-_ZN5aiter18act_and_mul_kernelIftTnPFfRKT_EXadL_ZNS_11gelu_kernelIfEEfS3_EELi4ELb0ELi0EEEvPT0_PS2_if
                                        ; -- End function
	.section	.AMDGPU.csdata,"",@progbits
; Kernel info:
; codeLenInByte = 1404
; NumSgprs: 42
; NumVgprs: 20
; NumAgprs: 0
; TotalNumVgprs: 20
; ScratchSize: 0
; MemoryBound: 0
; FloatMode: 240
; IeeeMode: 1
; LDSByteSize: 0 bytes/workgroup (compile time only)
; SGPRBlocks: 5
; VGPRBlocks: 2
; NumSGPRsForWavesPerEU: 42
; NumVGPRsForWavesPerEU: 20
; AccumOffset: 20
; Occupancy: 8
; WaveLimiterHint : 0
; COMPUTE_PGM_RSRC2:SCRATCH_EN: 0
; COMPUTE_PGM_RSRC2:USER_SGPR: 2
; COMPUTE_PGM_RSRC2:TRAP_HANDLER: 0
; COMPUTE_PGM_RSRC2:TGID_X_EN: 1
; COMPUTE_PGM_RSRC2:TGID_Y_EN: 0
; COMPUTE_PGM_RSRC2:TGID_Z_EN: 0
; COMPUTE_PGM_RSRC2:TIDIG_COMP_CNT: 0
; COMPUTE_PGM_RSRC3_GFX90A:ACCUM_OFFSET: 4
; COMPUTE_PGM_RSRC3_GFX90A:TG_SPLIT: 0
	.section	.text._ZN5aiter18act_and_mul_kernelIftTnPFfRKT_EXadL_ZNS_11gelu_kernelIfEEfS3_EELi2ELb0ELi0EEEvPT0_PS2_if,"axG",@progbits,_ZN5aiter18act_and_mul_kernelIftTnPFfRKT_EXadL_ZNS_11gelu_kernelIfEEfS3_EELi2ELb0ELi0EEEvPT0_PS2_if,comdat
	.protected	_ZN5aiter18act_and_mul_kernelIftTnPFfRKT_EXadL_ZNS_11gelu_kernelIfEEfS3_EELi2ELb0ELi0EEEvPT0_PS2_if ; -- Begin function _ZN5aiter18act_and_mul_kernelIftTnPFfRKT_EXadL_ZNS_11gelu_kernelIfEEfS3_EELi2ELb0ELi0EEEvPT0_PS2_if
	.globl	_ZN5aiter18act_and_mul_kernelIftTnPFfRKT_EXadL_ZNS_11gelu_kernelIfEEfS3_EELi2ELb0ELi0EEEvPT0_PS2_if
	.p2align	8
	.type	_ZN5aiter18act_and_mul_kernelIftTnPFfRKT_EXadL_ZNS_11gelu_kernelIfEEfS3_EELi2ELb0ELi0EEEvPT0_PS2_if,@function
_ZN5aiter18act_and_mul_kernelIftTnPFfRKT_EXadL_ZNS_11gelu_kernelIfEEfS3_EELi2ELb0ELi0EEEvPT0_PS2_if: ; @_ZN5aiter18act_and_mul_kernelIftTnPFfRKT_EXadL_ZNS_11gelu_kernelIfEEfS3_EELi2ELb0ELi0EEEvPT0_PS2_if
; %bb.0:
	s_load_dword s16, s[0:1], 0x10
	v_lshlrev_b32_e32 v0, 1, v0
	s_waitcnt lgkmcnt(0)
	v_cmp_gt_i32_e32 vcc, s16, v0
	s_and_saveexec_b64 s[4:5], vcc
	s_cbranch_execz .LBB544_7
; %bb.1:
	s_load_dwordx4 s[12:15], s[0:1], 0x0
	s_ashr_i32 s17, s16, 31
	s_mul_hi_u32 s3, s16, s2
	s_mul_i32 s4, s17, s2
	s_add_i32 s3, s3, s4
	s_mul_i32 s2, s16, s2
	s_lshl_b64 s[10:11], s[2:3], 1
	s_lshl_b64 s[2:3], s[2:3], 3
	s_waitcnt lgkmcnt(0)
	s_add_u32 s4, s14, s2
	s_addc_u32 s5, s15, s3
	s_lshl_b64 s[2:3], s[16:17], 2
	s_add_u32 s8, s4, s2
	s_addc_u32 s2, s5, s3
	s_lshl_b32 s6, s16, 2
	s_and_b32 s5, s5, 0xffff
	s_and_b32 s9, s2, 0xffff
	s_add_u32 s12, s12, s10
	s_addc_u32 s2, s13, s11
	s_add_i32 s3, s16, 1
	s_lshr_b32 s10, s3, 31
	s_add_i32 s3, s3, s10
	s_lshl_b32 s3, s3, 1
	s_and_b32 s14, s3, -4
	s_and_b32 s13, s2, 0xffff
	s_mov_b32 s7, 0x20000
	s_add_u32 s0, s0, 24
	s_mov_b32 s15, s7
	v_mov_b32_e32 v1, 0
	s_addc_u32 s1, s1, 0
	s_mov_b64 s[2:3], 0
	s_mov_b32 s19, 0
	s_mov_b32 s10, s6
	;; [unrolled: 1-line block ×13, first 2 shown]
	v_mov_b32_e32 v10, 0x3ba10414
	v_mov_b32_e32 v11, 0xb9c68948
	;; [unrolled: 1-line block ×3, first 2 shown]
	s_brev_b32 s33, -2
	s_mov_b32 s34, 0x7060302
                                        ; implicit-def: $vgpr2
                                        ; implicit-def: $vgpr2
	;; [unrolled: 1-line block ×4, first 2 shown]
	s_branch .LBB544_3
.LBB544_2:                              ;   in Loop: Header=BB544_3 Depth=1
	s_or_b64 exec, exec, s[22:23]
	v_fma_f32 v8, |v5|, s21, v11
	v_fma_f32 v8, |v5|, v8, s24
	;; [unrolled: 1-line block ×6, first 2 shown]
	v_fma_f32 v8, |v5|, v8, |v5|
	v_mul_f32_e32 v14, 0xbfb8aa3b, v8
	v_fma_f32 v15, v8, s29, -v14
	v_rndne_f32_e32 v16, v14
	v_fmac_f32_e32 v15, 0xb2a5705f, v8
	v_sub_f32_e32 v14, v14, v16
	v_add_f32_e32 v14, v14, v15
	v_exp_f32_e32 v14, v14
	v_cvt_i32_f32_e32 v15, v16
	v_cmp_nlt_f32_e32 vcc, s30, v8
	v_bfi_b32 v4, s33, v13, v4
	v_mul_f32_e32 v7, 0.5, v7
	v_ldexp_f32 v14, v14, v15
	v_cndmask_b32_e32 v14, 0, v14, vcc
	v_cmp_ngt_f32_e32 vcc, s31, v8
	v_mul_f32_e32 v6, 0.5, v6
	s_nop 0
	v_cndmask_b32_e32 v8, v12, v14, vcc
	v_fmamk_f32 v14, v9, 0xba1345e1, v10
	v_fmaak_f32 v14, v9, v14, 0xbcdac9b8
	v_fmaak_f32 v14, v9, v14, 0x3de703be
	;; [unrolled: 1-line block ×4, first 2 shown]
	v_sub_f32_e32 v8, 1.0, v8
	v_fma_f32 v9, |v5|, v9, |v5|
	v_cmp_lt_f32_e64 vcc, |v5|, 1.0
	s_nop 1
	v_cndmask_b32_e32 v8, v8, v9, vcc
	v_bfi_b32 v5, s33, v8, v5
	v_pk_add_f32 v[4:5], v[4:5], 1.0 op_sel_hi:[1,0]
	s_nop 0
	v_pk_mul_f32 v[4:5], v[6:7], v[4:5]
	s_waitcnt vmcnt(0)
	;;#ASMSTART
	v_pk_mul_f32 v[2:3], v[4:5], v[2:3]
	;;#ASMEND
	s_load_dword s18, s[0:1], 0xc
	v_perm_b32 v2, v3, v2, s34
	v_lshlrev_b32_e32 v3, 1, v0
	buffer_store_dword v2, v3, s[12:15], 0 offen
	s_waitcnt lgkmcnt(0)
	s_and_b32 s18, s18, 0xffff
	s_lshl_b32 s18, s18, 1
	v_lshl_add_u64 v[0:1], s[18:19], 0, v[0:1]
	v_cmp_le_i64_e32 vcc, s[16:17], v[0:1]
	s_or_b64 s[2:3], vcc, s[2:3]
	s_andn2_b64 exec, exec, s[2:3]
	s_cbranch_execz .LBB544_7
.LBB544_3:                              ; =>This Inner Loop Header: Depth=1
	v_lshlrev_b32_e32 v4, 2, v0
	buffer_load_dwordx2 v[6:7], v4, s[4:7], 0 offen
	buffer_load_dwordx2 v[2:3], v4, s[8:11], 0 offen
                                        ; implicit-def: $vgpr13
	s_waitcnt vmcnt(1)
	v_pk_mul_f32 v[4:5], v[6:7], s[20:21] op_sel_hi:[1,0]
	s_nop 0
	v_cmp_nlt_f32_e64 s[22:23], |v4|, 1.0
	s_and_saveexec_b64 s[36:37], s[22:23]
	s_xor_b64 s[22:23], exec, s[36:37]
	s_cbranch_execz .LBB544_5
; %bb.4:                                ;   in Loop: Header=BB544_3 Depth=1
	v_fma_f32 v8, |v4|, s21, v11
	v_fma_f32 v8, |v4|, v8, s24
	v_fma_f32 v8, |v4|, v8, s25
	v_fma_f32 v8, |v4|, v8, s26
	v_fma_f32 v8, |v4|, v8, s27
	v_fma_f32 v8, |v4|, v8, s28
	v_fma_f32 v8, |v4|, v8, |v4|
	v_mul_f32_e32 v9, 0xbfb8aa3b, v8
	v_fma_f32 v13, v8, s29, -v9
	v_rndne_f32_e32 v14, v9
	v_fmac_f32_e32 v13, 0xb2a5705f, v8
	v_sub_f32_e32 v9, v9, v14
	v_add_f32_e32 v9, v9, v13
	v_cvt_i32_f32_e32 v13, v14
	v_exp_f32_e32 v9, v9
	v_cmp_nlt_f32_e32 vcc, s30, v8
	v_ldexp_f32 v9, v9, v13
	s_nop 0
	v_cndmask_b32_e32 v9, 0, v9, vcc
	v_cmp_ngt_f32_e32 vcc, s31, v8
	s_nop 1
	v_cndmask_b32_e32 v8, v12, v9, vcc
	v_sub_f32_e32 v13, 1.0, v8
.LBB544_5:                              ;   in Loop: Header=BB544_3 Depth=1
	s_or_saveexec_b64 s[22:23], s[22:23]
	v_pk_mul_f32 v[8:9], v[4:5], v[4:5]
	s_xor_b64 exec, exec, s[22:23]
	s_cbranch_execz .LBB544_2
; %bb.6:                                ;   in Loop: Header=BB544_3 Depth=1
	v_fmamk_f32 v13, v8, 0xba1345e1, v10
	v_fmaak_f32 v13, v8, v13, 0xbcdac9b8
	v_fmaak_f32 v13, v8, v13, 0x3de703be
	;; [unrolled: 1-line block ×4, first 2 shown]
	v_fma_f32 v13, |v4|, v8, |v4|
	s_branch .LBB544_2
.LBB544_7:
	s_endpgm
	.section	.rodata,"a",@progbits
	.p2align	6, 0x0
	.amdhsa_kernel _ZN5aiter18act_and_mul_kernelIftTnPFfRKT_EXadL_ZNS_11gelu_kernelIfEEfS3_EELi2ELb0ELi0EEEvPT0_PS2_if
		.amdhsa_group_segment_fixed_size 0
		.amdhsa_private_segment_fixed_size 0
		.amdhsa_kernarg_size 280
		.amdhsa_user_sgpr_count 2
		.amdhsa_user_sgpr_dispatch_ptr 0
		.amdhsa_user_sgpr_queue_ptr 0
		.amdhsa_user_sgpr_kernarg_segment_ptr 1
		.amdhsa_user_sgpr_dispatch_id 0
		.amdhsa_user_sgpr_kernarg_preload_length 0
		.amdhsa_user_sgpr_kernarg_preload_offset 0
		.amdhsa_user_sgpr_private_segment_size 0
		.amdhsa_uses_dynamic_stack 0
		.amdhsa_enable_private_segment 0
		.amdhsa_system_sgpr_workgroup_id_x 1
		.amdhsa_system_sgpr_workgroup_id_y 0
		.amdhsa_system_sgpr_workgroup_id_z 0
		.amdhsa_system_sgpr_workgroup_info 0
		.amdhsa_system_vgpr_workitem_id 0
		.amdhsa_next_free_vgpr 17
		.amdhsa_next_free_sgpr 38
		.amdhsa_accum_offset 20
		.amdhsa_reserve_vcc 1
		.amdhsa_float_round_mode_32 0
		.amdhsa_float_round_mode_16_64 0
		.amdhsa_float_denorm_mode_32 3
		.amdhsa_float_denorm_mode_16_64 3
		.amdhsa_dx10_clamp 1
		.amdhsa_ieee_mode 1
		.amdhsa_fp16_overflow 0
		.amdhsa_tg_split 0
		.amdhsa_exception_fp_ieee_invalid_op 0
		.amdhsa_exception_fp_denorm_src 0
		.amdhsa_exception_fp_ieee_div_zero 0
		.amdhsa_exception_fp_ieee_overflow 0
		.amdhsa_exception_fp_ieee_underflow 0
		.amdhsa_exception_fp_ieee_inexact 0
		.amdhsa_exception_int_div_zero 0
	.end_amdhsa_kernel
	.section	.text._ZN5aiter18act_and_mul_kernelIftTnPFfRKT_EXadL_ZNS_11gelu_kernelIfEEfS3_EELi2ELb0ELi0EEEvPT0_PS2_if,"axG",@progbits,_ZN5aiter18act_and_mul_kernelIftTnPFfRKT_EXadL_ZNS_11gelu_kernelIfEEfS3_EELi2ELb0ELi0EEEvPT0_PS2_if,comdat
.Lfunc_end544:
	.size	_ZN5aiter18act_and_mul_kernelIftTnPFfRKT_EXadL_ZNS_11gelu_kernelIfEEfS3_EELi2ELb0ELi0EEEvPT0_PS2_if, .Lfunc_end544-_ZN5aiter18act_and_mul_kernelIftTnPFfRKT_EXadL_ZNS_11gelu_kernelIfEEfS3_EELi2ELb0ELi0EEEvPT0_PS2_if
                                        ; -- End function
	.section	.AMDGPU.csdata,"",@progbits
; Kernel info:
; codeLenInByte = 896
; NumSgprs: 44
; NumVgprs: 17
; NumAgprs: 0
; TotalNumVgprs: 17
; ScratchSize: 0
; MemoryBound: 0
; FloatMode: 240
; IeeeMode: 1
; LDSByteSize: 0 bytes/workgroup (compile time only)
; SGPRBlocks: 5
; VGPRBlocks: 2
; NumSGPRsForWavesPerEU: 44
; NumVGPRsForWavesPerEU: 17
; AccumOffset: 20
; Occupancy: 8
; WaveLimiterHint : 0
; COMPUTE_PGM_RSRC2:SCRATCH_EN: 0
; COMPUTE_PGM_RSRC2:USER_SGPR: 2
; COMPUTE_PGM_RSRC2:TRAP_HANDLER: 0
; COMPUTE_PGM_RSRC2:TGID_X_EN: 1
; COMPUTE_PGM_RSRC2:TGID_Y_EN: 0
; COMPUTE_PGM_RSRC2:TGID_Z_EN: 0
; COMPUTE_PGM_RSRC2:TIDIG_COMP_CNT: 0
; COMPUTE_PGM_RSRC3_GFX90A:ACCUM_OFFSET: 4
; COMPUTE_PGM_RSRC3_GFX90A:TG_SPLIT: 0
	.section	.text._ZN5aiter18act_and_mul_kernelIftTnPFfRKT_EXadL_ZNS_11gelu_kernelIfEEfS3_EELi1ELb0ELi0EEEvPT0_PS2_if,"axG",@progbits,_ZN5aiter18act_and_mul_kernelIftTnPFfRKT_EXadL_ZNS_11gelu_kernelIfEEfS3_EELi1ELb0ELi0EEEvPT0_PS2_if,comdat
	.protected	_ZN5aiter18act_and_mul_kernelIftTnPFfRKT_EXadL_ZNS_11gelu_kernelIfEEfS3_EELi1ELb0ELi0EEEvPT0_PS2_if ; -- Begin function _ZN5aiter18act_and_mul_kernelIftTnPFfRKT_EXadL_ZNS_11gelu_kernelIfEEfS3_EELi1ELb0ELi0EEEvPT0_PS2_if
	.globl	_ZN5aiter18act_and_mul_kernelIftTnPFfRKT_EXadL_ZNS_11gelu_kernelIfEEfS3_EELi1ELb0ELi0EEEvPT0_PS2_if
	.p2align	8
	.type	_ZN5aiter18act_and_mul_kernelIftTnPFfRKT_EXadL_ZNS_11gelu_kernelIfEEfS3_EELi1ELb0ELi0EEEvPT0_PS2_if,@function
_ZN5aiter18act_and_mul_kernelIftTnPFfRKT_EXadL_ZNS_11gelu_kernelIfEEfS3_EELi1ELb0ELi0EEEvPT0_PS2_if: ; @_ZN5aiter18act_and_mul_kernelIftTnPFfRKT_EXadL_ZNS_11gelu_kernelIfEEfS3_EELi1ELb0ELi0EEEvPT0_PS2_if
; %bb.0:
	s_load_dword s12, s[0:1], 0x10
	s_waitcnt lgkmcnt(0)
	v_cmp_gt_i32_e32 vcc, s12, v0
	s_and_saveexec_b64 s[4:5], vcc
	s_cbranch_execz .LBB545_7
; %bb.1:
	s_load_dwordx4 s[8:11], s[0:1], 0x0
	s_load_dword s14, s[0:1], 0x24
	s_ashr_i32 s13, s12, 31
	s_mul_hi_u32 s3, s12, s2
	s_mul_i32 s4, s13, s2
	s_add_i32 s3, s3, s4
	s_mul_i32 s2, s12, s2
	s_lshl_b64 s[6:7], s[2:3], 1
	s_lshl_b64 s[2:3], s[2:3], 3
	s_waitcnt lgkmcnt(0)
	s_add_u32 s0, s10, s2
	s_addc_u32 s1, s11, s3
	s_lshl_b64 s[2:3], s[12:13], 2
	s_add_u32 s4, s0, s2
	s_addc_u32 s5, s1, s3
	s_lshl_b32 s2, s12, 2
	s_and_b32 s1, s1, 0xffff
	s_and_b32 s5, s5, 0xffff
	s_add_u32 s8, s8, s6
	s_addc_u32 s6, s9, s7
	s_add_i32 s7, s12, 1
	s_lshr_b32 s9, s7, 31
	s_add_i32 s7, s7, s9
	s_mov_b32 s3, 0x20000
	s_lshl_b32 s7, s7, 1
	s_and_b32 s14, s14, 0xffff
                                        ; implicit-def: $vgpr5
                                        ; implicit-def: $vgpr5
	;; [unrolled: 1-line block ×4, first 2 shown]
	s_and_b32 s10, s7, -4
	s_and_b32 s9, s6, 0xffff
	s_mov_b32 s11, s3
	s_mov_b32 s15, 0
	v_mov_b32_e32 v1, 0
	v_lshlrev_b32_e32 v2, 1, v0
	s_lshl_b32 s20, s14, 1
	v_lshlrev_b32_e32 v3, 2, v0
	s_lshl_b32 s21, s14, 2
	s_mov_b64 s[16:17], 0
	s_mov_b32 s6, s2
	s_mov_b32 s7, s3
	s_mov_b32 s22, 0x378e98ab
	s_mov_b32 s23, 0x3b7cd369
	s_mov_b32 s24, 0xbcc618b2
	s_mov_b32 s25, 0x3dda74e4
	s_mov_b32 s26, 0x3f228afd
	s_mov_b32 s27, 0x3e03c728
	s_mov_b32 s28, 0xbfb8aa3b
	s_mov_b32 s29, 0x42ce8ed0
	s_mov_b32 s30, 0xc2b17218
	v_mov_b32_e32 v4, 0x3ba10414
	s_brev_b32 s31, -2
	v_mov_b32_e32 v5, 0xb9c68948
	v_mov_b32_e32 v6, 0x7f800000
	s_branch .LBB545_3
.LBB545_2:                              ;   in Loop: Header=BB545_3 Depth=1
	s_or_b64 exec, exec, s[18:19]
	v_bfi_b32 v9, s31, v10, v9
	v_mul_f32_e32 v8, 0.5, v8
	v_add_f32_e32 v9, 1.0, v9
	v_mul_f32_e32 v8, v8, v9
	s_waitcnt vmcnt(0)
	v_mul_f32_e32 v7, v8, v7
	v_lshl_add_u64 v[0:1], v[0:1], 0, s[14:15]
	v_lshrrev_b32_e32 v7, 16, v7
	v_cmp_le_i64_e32 vcc, s[12:13], v[0:1]
	buffer_store_short v7, v2, s[8:11], 0 offen
	v_add_u32_e32 v2, s20, v2
	s_or_b64 s[16:17], vcc, s[16:17]
	v_add_u32_e32 v3, s21, v3
	s_andn2_b64 exec, exec, s[16:17]
	s_cbranch_execz .LBB545_7
.LBB545_3:                              ; =>This Inner Loop Header: Depth=1
	buffer_load_dword v8, v3, s[0:3], 0 offen
	buffer_load_dword v7, v3, s[4:7], 0 offen
                                        ; implicit-def: $vgpr10
	s_waitcnt vmcnt(1)
	v_mul_f32_e32 v9, 0x3f3504f3, v8
	v_cmp_nlt_f32_e64 s[18:19], |v9|, 1.0
	s_and_saveexec_b64 s[34:35], s[18:19]
	s_xor_b64 s[18:19], exec, s[34:35]
	s_cbranch_execz .LBB545_5
; %bb.4:                                ;   in Loop: Header=BB545_3 Depth=1
	v_fma_f32 v10, |v9|, s22, v5
	v_fma_f32 v10, |v9|, v10, s23
	;; [unrolled: 1-line block ×6, first 2 shown]
	v_fma_f32 v10, |v9|, v10, |v9|
	v_mul_f32_e32 v11, 0xbfb8aa3b, v10
	v_fma_f32 v12, v10, s28, -v11
	v_rndne_f32_e32 v13, v11
	v_fmac_f32_e32 v12, 0xb2a5705f, v10
	v_sub_f32_e32 v11, v11, v13
	v_add_f32_e32 v11, v11, v12
	v_cvt_i32_f32_e32 v12, v13
	v_exp_f32_e32 v11, v11
	v_cmp_nlt_f32_e32 vcc, s29, v10
	v_ldexp_f32 v11, v11, v12
	s_nop 0
	v_cndmask_b32_e32 v11, 0, v11, vcc
	v_cmp_ngt_f32_e32 vcc, s30, v10
	s_nop 1
	v_cndmask_b32_e32 v10, v6, v11, vcc
	v_sub_f32_e32 v10, 1.0, v10
.LBB545_5:                              ;   in Loop: Header=BB545_3 Depth=1
	s_andn2_saveexec_b64 s[18:19], s[18:19]
	s_cbranch_execz .LBB545_2
; %bb.6:                                ;   in Loop: Header=BB545_3 Depth=1
	v_mul_f32_e32 v10, v9, v9
	v_fmamk_f32 v11, v10, 0xba1345e1, v4
	v_fmaak_f32 v11, v10, v11, 0xbcdac9b8
	v_fmaak_f32 v11, v10, v11, 0x3de703be
	;; [unrolled: 1-line block ×4, first 2 shown]
	v_fma_f32 v10, |v9|, v10, |v9|
	s_branch .LBB545_2
.LBB545_7:
	s_endpgm
	.section	.rodata,"a",@progbits
	.p2align	6, 0x0
	.amdhsa_kernel _ZN5aiter18act_and_mul_kernelIftTnPFfRKT_EXadL_ZNS_11gelu_kernelIfEEfS3_EELi1ELb0ELi0EEEvPT0_PS2_if
		.amdhsa_group_segment_fixed_size 0
		.amdhsa_private_segment_fixed_size 0
		.amdhsa_kernarg_size 280
		.amdhsa_user_sgpr_count 2
		.amdhsa_user_sgpr_dispatch_ptr 0
		.amdhsa_user_sgpr_queue_ptr 0
		.amdhsa_user_sgpr_kernarg_segment_ptr 1
		.amdhsa_user_sgpr_dispatch_id 0
		.amdhsa_user_sgpr_kernarg_preload_length 0
		.amdhsa_user_sgpr_kernarg_preload_offset 0
		.amdhsa_user_sgpr_private_segment_size 0
		.amdhsa_uses_dynamic_stack 0
		.amdhsa_enable_private_segment 0
		.amdhsa_system_sgpr_workgroup_id_x 1
		.amdhsa_system_sgpr_workgroup_id_y 0
		.amdhsa_system_sgpr_workgroup_id_z 0
		.amdhsa_system_sgpr_workgroup_info 0
		.amdhsa_system_vgpr_workitem_id 0
		.amdhsa_next_free_vgpr 14
		.amdhsa_next_free_sgpr 36
		.amdhsa_accum_offset 16
		.amdhsa_reserve_vcc 1
		.amdhsa_float_round_mode_32 0
		.amdhsa_float_round_mode_16_64 0
		.amdhsa_float_denorm_mode_32 3
		.amdhsa_float_denorm_mode_16_64 3
		.amdhsa_dx10_clamp 1
		.amdhsa_ieee_mode 1
		.amdhsa_fp16_overflow 0
		.amdhsa_tg_split 0
		.amdhsa_exception_fp_ieee_invalid_op 0
		.amdhsa_exception_fp_denorm_src 0
		.amdhsa_exception_fp_ieee_div_zero 0
		.amdhsa_exception_fp_ieee_overflow 0
		.amdhsa_exception_fp_ieee_underflow 0
		.amdhsa_exception_fp_ieee_inexact 0
		.amdhsa_exception_int_div_zero 0
	.end_amdhsa_kernel
	.section	.text._ZN5aiter18act_and_mul_kernelIftTnPFfRKT_EXadL_ZNS_11gelu_kernelIfEEfS3_EELi1ELb0ELi0EEEvPT0_PS2_if,"axG",@progbits,_ZN5aiter18act_and_mul_kernelIftTnPFfRKT_EXadL_ZNS_11gelu_kernelIfEEfS3_EELi1ELb0ELi0EEEvPT0_PS2_if,comdat
.Lfunc_end545:
	.size	_ZN5aiter18act_and_mul_kernelIftTnPFfRKT_EXadL_ZNS_11gelu_kernelIfEEfS3_EELi1ELb0ELi0EEEvPT0_PS2_if, .Lfunc_end545-_ZN5aiter18act_and_mul_kernelIftTnPFfRKT_EXadL_ZNS_11gelu_kernelIfEEfS3_EELi1ELb0ELi0EEEvPT0_PS2_if
                                        ; -- End function
	.section	.AMDGPU.csdata,"",@progbits
; Kernel info:
; codeLenInByte = 636
; NumSgprs: 42
; NumVgprs: 14
; NumAgprs: 0
; TotalNumVgprs: 14
; ScratchSize: 0
; MemoryBound: 0
; FloatMode: 240
; IeeeMode: 1
; LDSByteSize: 0 bytes/workgroup (compile time only)
; SGPRBlocks: 5
; VGPRBlocks: 1
; NumSGPRsForWavesPerEU: 42
; NumVGPRsForWavesPerEU: 14
; AccumOffset: 16
; Occupancy: 8
; WaveLimiterHint : 0
; COMPUTE_PGM_RSRC2:SCRATCH_EN: 0
; COMPUTE_PGM_RSRC2:USER_SGPR: 2
; COMPUTE_PGM_RSRC2:TRAP_HANDLER: 0
; COMPUTE_PGM_RSRC2:TGID_X_EN: 1
; COMPUTE_PGM_RSRC2:TGID_Y_EN: 0
; COMPUTE_PGM_RSRC2:TGID_Z_EN: 0
; COMPUTE_PGM_RSRC2:TIDIG_COMP_CNT: 0
; COMPUTE_PGM_RSRC3_GFX90A:ACCUM_OFFSET: 3
; COMPUTE_PGM_RSRC3_GFX90A:TG_SPLIT: 0
	.section	.text._ZN5aiter18act_and_mul_kernelIfDF16_TnPFfRKT_EXadL_ZNS_11gelu_kernelIfEEfS3_EELi16ELb0ELi0EEEvPT0_PS2_if,"axG",@progbits,_ZN5aiter18act_and_mul_kernelIfDF16_TnPFfRKT_EXadL_ZNS_11gelu_kernelIfEEfS3_EELi16ELb0ELi0EEEvPT0_PS2_if,comdat
	.protected	_ZN5aiter18act_and_mul_kernelIfDF16_TnPFfRKT_EXadL_ZNS_11gelu_kernelIfEEfS3_EELi16ELb0ELi0EEEvPT0_PS2_if ; -- Begin function _ZN5aiter18act_and_mul_kernelIfDF16_TnPFfRKT_EXadL_ZNS_11gelu_kernelIfEEfS3_EELi16ELb0ELi0EEEvPT0_PS2_if
	.globl	_ZN5aiter18act_and_mul_kernelIfDF16_TnPFfRKT_EXadL_ZNS_11gelu_kernelIfEEfS3_EELi16ELb0ELi0EEEvPT0_PS2_if
	.p2align	8
	.type	_ZN5aiter18act_and_mul_kernelIfDF16_TnPFfRKT_EXadL_ZNS_11gelu_kernelIfEEfS3_EELi16ELb0ELi0EEEvPT0_PS2_if,@function
_ZN5aiter18act_and_mul_kernelIfDF16_TnPFfRKT_EXadL_ZNS_11gelu_kernelIfEEfS3_EELi16ELb0ELi0EEEvPT0_PS2_if: ; @_ZN5aiter18act_and_mul_kernelIfDF16_TnPFfRKT_EXadL_ZNS_11gelu_kernelIfEEfS3_EELi16ELb0ELi0EEEvPT0_PS2_if
; %bb.0:
	s_load_dword s16, s[0:1], 0x10
	v_lshlrev_b32_e32 v32, 4, v0
	s_waitcnt lgkmcnt(0)
	v_cmp_gt_i32_e32 vcc, s16, v32
	s_and_saveexec_b64 s[4:5], vcc
	s_cbranch_execz .LBB546_67
; %bb.1:
	s_load_dwordx4 s[12:15], s[0:1], 0x0
	s_ashr_i32 s17, s16, 31
	s_mul_hi_u32 s3, s16, s2
	s_mul_i32 s4, s17, s2
	s_add_i32 s3, s3, s4
	s_mul_i32 s2, s16, s2
	s_lshl_b64 s[10:11], s[2:3], 1
	s_lshl_b64 s[2:3], s[2:3], 3
	s_waitcnt lgkmcnt(0)
	s_add_u32 s4, s14, s2
	s_addc_u32 s5, s15, s3
	s_lshl_b64 s[2:3], s[16:17], 2
	s_add_u32 s8, s4, s2
	s_addc_u32 s2, s5, s3
	s_lshl_b32 s6, s16, 2
	s_and_b32 s5, s5, 0xffff
	s_and_b32 s9, s2, 0xffff
	s_add_u32 s12, s12, s10
	s_addc_u32 s2, s13, s11
	s_add_i32 s3, s16, 1
	s_lshr_b32 s10, s3, 31
	s_add_i32 s3, s3, s10
	s_lshl_b32 s3, s3, 1
	s_and_b32 s14, s3, -4
	s_and_b32 s13, s2, 0xffff
	s_mov_b32 s7, 0x20000
	s_add_u32 s0, s0, 24
	s_mov_b32 s15, s7
	v_mov_b32_e32 v33, 0
	s_addc_u32 s1, s1, 0
	s_mov_b64 s[2:3], 0
	s_mov_b32 s19, 0
	s_mov_b32 s22, 0x378e98ab
	;; [unrolled: 1-line block ×10, first 2 shown]
	v_mov_b32_e32 v34, 0x3ba10414
	s_brev_b32 s31, -2
	s_mov_b32 s10, s6
	s_mov_b32 s11, s7
	v_mov_b32_e32 v35, 0xb9c68948
	v_mov_b32_e32 v36, 0x7f800000
                                        ; implicit-def: $vgpr0
                                        ; implicit-def: $vgpr0
	;; [unrolled: 1-line block ×4, first 2 shown]
	s_branch .LBB546_3
.LBB546_2:                              ;   in Loop: Header=BB546_3 Depth=1
	s_or_b64 exec, exec, s[20:21]
	v_bfi_b32 v4, s31, v5, v4
	v_mul_f32_e32 v6, 0.5, v6
	v_add_f32_e32 v4, 1.0, v4
	v_cvt_f16_f32_e32 v14, v1
	v_bfi_b32 v1, s31, v13, v12
	v_mul_f32_e32 v4, v6, v4
	v_cvt_f16_f32_e32 v6, v8
	v_cvt_f16_f32_e32 v8, v9
	;; [unrolled: 1-line block ×5, first 2 shown]
	v_mul_f32_e32 v0, 0.5, v7
	v_add_f32_e32 v1, 1.0, v1
	v_mul_f32_e32 v5, v0, v1
	;;#ASMSTART
	v_pk_mul_f32 v[0:1], v[4:5], v[2:3]
	;;#ASMEND
	s_load_dword s18, s[0:1], 0xc
	v_cvt_f16_f32_e32 v15, v24
	v_cvt_f16_f32_e32 v20, v25
	;; [unrolled: 1-line block ×10, first 2 shown]
	s_waitcnt lgkmcnt(0)
	s_and_b32 s18, s18, 0xffff
	s_lshl_b32 s18, s18, 4
	v_lshlrev_b32_e32 v7, 1, v32
	v_lshl_add_u64 v[32:33], s[18:19], 0, v[32:33]
	v_pack_b32_f16 v3, v18, v19
	v_pack_b32_f16 v2, v16, v17
	;; [unrolled: 1-line block ×4, first 2 shown]
	v_cmp_le_i64_e32 vcc, s[16:17], v[32:33]
	buffer_store_dwordx4 v[0:3], v7, s[12:15], 0 offen
	s_or_b64 s[2:3], vcc, s[2:3]
	s_nop 0
	v_pack_b32_f16 v3, v4, v5
	v_pack_b32_f16 v2, v11, v14
	;; [unrolled: 1-line block ×4, first 2 shown]
	buffer_store_dwordx4 v[0:3], v7, s[12:15], 16 offen
	s_andn2_b64 exec, exec, s[2:3]
	s_cbranch_execz .LBB546_67
.LBB546_3:                              ; =>This Inner Loop Header: Depth=1
	v_lshlrev_b32_e32 v37, 2, v32
	buffer_load_dwordx4 v[28:31], v37, s[4:7], 0 offen
	buffer_load_dwordx4 v[20:23], v37, s[4:7], 16 offen
	;; [unrolled: 1-line block ×8, first 2 shown]
                                        ; implicit-def: $vgpr38
	s_waitcnt vmcnt(7)
	v_mul_f32_e32 v37, 0x3f3504f3, v28
	v_cmp_nlt_f32_e64 s[20:21], |v37|, 1.0
	s_and_saveexec_b64 s[34:35], s[20:21]
	s_xor_b64 s[20:21], exec, s[34:35]
	s_cbranch_execz .LBB546_5
; %bb.4:                                ;   in Loop: Header=BB546_3 Depth=1
	v_fma_f32 v38, |v37|, s22, v35
	v_fma_f32 v38, |v37|, v38, s23
	;; [unrolled: 1-line block ×6, first 2 shown]
	v_fma_f32 v38, |v37|, v38, |v37|
	v_mul_f32_e32 v39, 0xbfb8aa3b, v38
	v_fma_f32 v40, v38, s28, -v39
	v_rndne_f32_e32 v41, v39
	v_fmac_f32_e32 v40, 0xb2a5705f, v38
	v_sub_f32_e32 v39, v39, v41
	v_add_f32_e32 v39, v39, v40
	v_cvt_i32_f32_e32 v40, v41
	v_exp_f32_e32 v39, v39
	v_cmp_nlt_f32_e32 vcc, s29, v38
	v_ldexp_f32 v39, v39, v40
	s_nop 0
	v_cndmask_b32_e32 v39, 0, v39, vcc
	v_cmp_ngt_f32_e32 vcc, s30, v38
	s_nop 1
	v_cndmask_b32_e32 v38, v36, v39, vcc
	v_sub_f32_e32 v38, 1.0, v38
.LBB546_5:                              ;   in Loop: Header=BB546_3 Depth=1
	s_andn2_saveexec_b64 s[20:21], s[20:21]
; %bb.6:                                ;   in Loop: Header=BB546_3 Depth=1
	v_mul_f32_e32 v38, v37, v37
	v_fmamk_f32 v39, v38, 0xba1345e1, v34
	v_fmaak_f32 v39, v38, v39, 0xbcdac9b8
	v_fmaak_f32 v39, v38, v39, 0x3de703be
	;; [unrolled: 1-line block ×4, first 2 shown]
	v_fma_f32 v38, |v37|, v38, |v37|
; %bb.7:                                ;   in Loop: Header=BB546_3 Depth=1
	s_or_b64 exec, exec, s[20:21]
	v_mul_f32_e32 v39, 0x3f3504f3, v29
	v_cmp_nlt_f32_e64 s[20:21], |v39|, 1.0
                                        ; implicit-def: $vgpr40
	s_and_saveexec_b64 s[34:35], s[20:21]
	s_xor_b64 s[20:21], exec, s[34:35]
	s_cbranch_execz .LBB546_9
; %bb.8:                                ;   in Loop: Header=BB546_3 Depth=1
	v_fma_f32 v40, |v39|, s22, v35
	v_fma_f32 v40, |v39|, v40, s23
	;; [unrolled: 1-line block ×6, first 2 shown]
	v_fma_f32 v40, |v39|, v40, |v39|
	v_mul_f32_e32 v41, 0xbfb8aa3b, v40
	v_fma_f32 v42, v40, s28, -v41
	v_rndne_f32_e32 v43, v41
	v_fmac_f32_e32 v42, 0xb2a5705f, v40
	v_sub_f32_e32 v41, v41, v43
	v_add_f32_e32 v41, v41, v42
	v_cvt_i32_f32_e32 v42, v43
	v_exp_f32_e32 v41, v41
	v_cmp_nlt_f32_e32 vcc, s29, v40
	v_ldexp_f32 v41, v41, v42
	s_nop 0
	v_cndmask_b32_e32 v41, 0, v41, vcc
	v_cmp_ngt_f32_e32 vcc, s30, v40
	s_nop 1
	v_cndmask_b32_e32 v40, v36, v41, vcc
	v_sub_f32_e32 v40, 1.0, v40
.LBB546_9:                              ;   in Loop: Header=BB546_3 Depth=1
	s_andn2_saveexec_b64 s[20:21], s[20:21]
; %bb.10:                               ;   in Loop: Header=BB546_3 Depth=1
	v_mul_f32_e32 v40, v39, v39
	v_fmamk_f32 v41, v40, 0xba1345e1, v34
	v_fmaak_f32 v41, v40, v41, 0xbcdac9b8
	v_fmaak_f32 v41, v40, v41, 0x3de703be
	;; [unrolled: 1-line block ×4, first 2 shown]
	v_fma_f32 v40, |v39|, v40, |v39|
; %bb.11:                               ;   in Loop: Header=BB546_3 Depth=1
	s_or_b64 exec, exec, s[20:21]
	v_bfi_b32 v37, s31, v38, v37
	v_mul_f32_e32 v28, 0.5, v28
	v_add_f32_e32 v37, 1.0, v37
	v_mul_f32_e32 v28, v28, v37
	v_bfi_b32 v37, s31, v40, v39
	v_mul_f32_e32 v29, 0.5, v29
	v_add_f32_e32 v37, 1.0, v37
	v_mul_f32_e32 v29, v29, v37
	s_waitcnt vmcnt(3)
	;;#ASMSTART
	v_pk_mul_f32 v[24:25], v[28:29], v[24:25]
	;;#ASMEND
	v_mul_f32_e32 v28, 0x3f3504f3, v30
	v_cmp_nlt_f32_e64 s[20:21], |v28|, 1.0
                                        ; implicit-def: $vgpr29
	s_and_saveexec_b64 s[34:35], s[20:21]
	s_xor_b64 s[20:21], exec, s[34:35]
	s_cbranch_execz .LBB546_13
; %bb.12:                               ;   in Loop: Header=BB546_3 Depth=1
	v_fma_f32 v29, |v28|, s22, v35
	v_fma_f32 v29, |v28|, v29, s23
	;; [unrolled: 1-line block ×6, first 2 shown]
	v_fma_f32 v29, |v28|, v29, |v28|
	v_mul_f32_e32 v37, 0xbfb8aa3b, v29
	v_fma_f32 v38, v29, s28, -v37
	v_rndne_f32_e32 v39, v37
	v_fmac_f32_e32 v38, 0xb2a5705f, v29
	v_sub_f32_e32 v37, v37, v39
	v_add_f32_e32 v37, v37, v38
	v_cvt_i32_f32_e32 v38, v39
	v_exp_f32_e32 v37, v37
	v_cmp_nlt_f32_e32 vcc, s29, v29
	v_ldexp_f32 v37, v37, v38
	s_nop 0
	v_cndmask_b32_e32 v37, 0, v37, vcc
	v_cmp_ngt_f32_e32 vcc, s30, v29
	s_nop 1
	v_cndmask_b32_e32 v29, v36, v37, vcc
	v_sub_f32_e32 v29, 1.0, v29
.LBB546_13:                             ;   in Loop: Header=BB546_3 Depth=1
	s_andn2_saveexec_b64 s[20:21], s[20:21]
; %bb.14:                               ;   in Loop: Header=BB546_3 Depth=1
	v_mul_f32_e32 v29, v28, v28
	v_fmamk_f32 v37, v29, 0xba1345e1, v34
	v_fmaak_f32 v37, v29, v37, 0xbcdac9b8
	v_fmaak_f32 v37, v29, v37, 0x3de703be
	;; [unrolled: 1-line block ×4, first 2 shown]
	v_fma_f32 v29, |v28|, v29, |v28|
; %bb.15:                               ;   in Loop: Header=BB546_3 Depth=1
	s_or_b64 exec, exec, s[20:21]
	v_mul_f32_e32 v37, 0x3f3504f3, v31
	v_cmp_nlt_f32_e64 s[20:21], |v37|, 1.0
                                        ; implicit-def: $vgpr38
	s_and_saveexec_b64 s[34:35], s[20:21]
	s_xor_b64 s[20:21], exec, s[34:35]
	s_cbranch_execz .LBB546_17
; %bb.16:                               ;   in Loop: Header=BB546_3 Depth=1
	v_fma_f32 v38, |v37|, s22, v35
	v_fma_f32 v38, |v37|, v38, s23
	;; [unrolled: 1-line block ×6, first 2 shown]
	v_fma_f32 v38, |v37|, v38, |v37|
	v_mul_f32_e32 v39, 0xbfb8aa3b, v38
	v_fma_f32 v40, v38, s28, -v39
	v_rndne_f32_e32 v41, v39
	v_fmac_f32_e32 v40, 0xb2a5705f, v38
	v_sub_f32_e32 v39, v39, v41
	v_add_f32_e32 v39, v39, v40
	v_cvt_i32_f32_e32 v40, v41
	v_exp_f32_e32 v39, v39
	v_cmp_nlt_f32_e32 vcc, s29, v38
	v_ldexp_f32 v39, v39, v40
	s_nop 0
	v_cndmask_b32_e32 v39, 0, v39, vcc
	v_cmp_ngt_f32_e32 vcc, s30, v38
	s_nop 1
	v_cndmask_b32_e32 v38, v36, v39, vcc
	v_sub_f32_e32 v38, 1.0, v38
.LBB546_17:                             ;   in Loop: Header=BB546_3 Depth=1
	s_andn2_saveexec_b64 s[20:21], s[20:21]
; %bb.18:                               ;   in Loop: Header=BB546_3 Depth=1
	v_mul_f32_e32 v38, v37, v37
	v_fmamk_f32 v39, v38, 0xba1345e1, v34
	v_fmaak_f32 v39, v38, v39, 0xbcdac9b8
	v_fmaak_f32 v39, v38, v39, 0x3de703be
	;; [unrolled: 1-line block ×4, first 2 shown]
	v_fma_f32 v38, |v37|, v38, |v37|
; %bb.19:                               ;   in Loop: Header=BB546_3 Depth=1
	s_or_b64 exec, exec, s[20:21]
	v_bfi_b32 v28, s31, v29, v28
	v_mul_f32_e32 v30, 0.5, v30
	v_add_f32_e32 v28, 1.0, v28
	v_mul_f32_e32 v28, v30, v28
	v_bfi_b32 v30, s31, v38, v37
	v_mul_f32_e32 v29, 0.5, v31
	v_add_f32_e32 v30, 1.0, v30
	v_mul_f32_e32 v29, v29, v30
	;;#ASMSTART
	v_pk_mul_f32 v[26:27], v[28:29], v[26:27]
	;;#ASMEND
	v_mul_f32_e32 v28, 0x3f3504f3, v20
	v_cmp_nlt_f32_e64 s[20:21], |v28|, 1.0
                                        ; implicit-def: $vgpr29
	s_and_saveexec_b64 s[34:35], s[20:21]
	s_xor_b64 s[20:21], exec, s[34:35]
	s_cbranch_execz .LBB546_21
; %bb.20:                               ;   in Loop: Header=BB546_3 Depth=1
	v_fma_f32 v29, |v28|, s22, v35
	v_fma_f32 v29, |v28|, v29, s23
	;; [unrolled: 1-line block ×6, first 2 shown]
	v_fma_f32 v29, |v28|, v29, |v28|
	v_mul_f32_e32 v30, 0xbfb8aa3b, v29
	v_fma_f32 v31, v29, s28, -v30
	v_rndne_f32_e32 v37, v30
	v_fmac_f32_e32 v31, 0xb2a5705f, v29
	v_sub_f32_e32 v30, v30, v37
	v_add_f32_e32 v30, v30, v31
	v_cvt_i32_f32_e32 v31, v37
	v_exp_f32_e32 v30, v30
	v_cmp_nlt_f32_e32 vcc, s29, v29
	v_ldexp_f32 v30, v30, v31
	s_nop 0
	v_cndmask_b32_e32 v30, 0, v30, vcc
	v_cmp_ngt_f32_e32 vcc, s30, v29
	s_nop 1
	v_cndmask_b32_e32 v29, v36, v30, vcc
	v_sub_f32_e32 v29, 1.0, v29
.LBB546_21:                             ;   in Loop: Header=BB546_3 Depth=1
	s_andn2_saveexec_b64 s[20:21], s[20:21]
; %bb.22:                               ;   in Loop: Header=BB546_3 Depth=1
	v_mul_f32_e32 v29, v28, v28
	v_fmamk_f32 v30, v29, 0xba1345e1, v34
	v_fmaak_f32 v30, v29, v30, 0xbcdac9b8
	v_fmaak_f32 v30, v29, v30, 0x3de703be
	;; [unrolled: 1-line block ×4, first 2 shown]
	v_fma_f32 v29, |v28|, v29, |v28|
; %bb.23:                               ;   in Loop: Header=BB546_3 Depth=1
	s_or_b64 exec, exec, s[20:21]
	v_mul_f32_e32 v30, 0x3f3504f3, v21
	v_cmp_nlt_f32_e64 s[20:21], |v30|, 1.0
                                        ; implicit-def: $vgpr31
	s_and_saveexec_b64 s[34:35], s[20:21]
	s_xor_b64 s[20:21], exec, s[34:35]
	s_cbranch_execz .LBB546_25
; %bb.24:                               ;   in Loop: Header=BB546_3 Depth=1
	v_fma_f32 v31, |v30|, s22, v35
	v_fma_f32 v31, |v30|, v31, s23
	v_fma_f32 v31, |v30|, v31, s24
	v_fma_f32 v31, |v30|, v31, s25
	v_fma_f32 v31, |v30|, v31, s26
	v_fma_f32 v31, |v30|, v31, s27
	v_fma_f32 v31, |v30|, v31, |v30|
	v_mul_f32_e32 v37, 0xbfb8aa3b, v31
	v_fma_f32 v38, v31, s28, -v37
	v_rndne_f32_e32 v39, v37
	v_fmac_f32_e32 v38, 0xb2a5705f, v31
	v_sub_f32_e32 v37, v37, v39
	v_add_f32_e32 v37, v37, v38
	v_cvt_i32_f32_e32 v38, v39
	v_exp_f32_e32 v37, v37
	v_cmp_nlt_f32_e32 vcc, s29, v31
	v_ldexp_f32 v37, v37, v38
	s_nop 0
	v_cndmask_b32_e32 v37, 0, v37, vcc
	v_cmp_ngt_f32_e32 vcc, s30, v31
	s_nop 1
	v_cndmask_b32_e32 v31, v36, v37, vcc
	v_sub_f32_e32 v31, 1.0, v31
.LBB546_25:                             ;   in Loop: Header=BB546_3 Depth=1
	s_andn2_saveexec_b64 s[20:21], s[20:21]
; %bb.26:                               ;   in Loop: Header=BB546_3 Depth=1
	v_mul_f32_e32 v31, v30, v30
	v_fmamk_f32 v37, v31, 0xba1345e1, v34
	v_fmaak_f32 v37, v31, v37, 0xbcdac9b8
	v_fmaak_f32 v37, v31, v37, 0x3de703be
	;; [unrolled: 1-line block ×4, first 2 shown]
	v_fma_f32 v31, |v30|, v31, |v30|
; %bb.27:                               ;   in Loop: Header=BB546_3 Depth=1
	s_or_b64 exec, exec, s[20:21]
	v_bfi_b32 v28, s31, v29, v28
	v_mul_f32_e32 v20, 0.5, v20
	v_add_f32_e32 v28, 1.0, v28
	v_mul_f32_e32 v20, v20, v28
	v_bfi_b32 v28, s31, v31, v30
	v_mul_f32_e32 v21, 0.5, v21
	v_add_f32_e32 v28, 1.0, v28
	v_mul_f32_e32 v21, v21, v28
	s_waitcnt vmcnt(2)
	;;#ASMSTART
	v_pk_mul_f32 v[16:17], v[20:21], v[16:17]
	;;#ASMEND
	v_mul_f32_e32 v20, 0x3f3504f3, v22
	v_cmp_nlt_f32_e64 s[20:21], |v20|, 1.0
                                        ; implicit-def: $vgpr21
	s_and_saveexec_b64 s[34:35], s[20:21]
	s_xor_b64 s[20:21], exec, s[34:35]
	s_cbranch_execz .LBB546_29
; %bb.28:                               ;   in Loop: Header=BB546_3 Depth=1
	v_fma_f32 v21, |v20|, s22, v35
	v_fma_f32 v21, |v20|, v21, s23
	;; [unrolled: 1-line block ×6, first 2 shown]
	v_fma_f32 v21, |v20|, v21, |v20|
	v_mul_f32_e32 v28, 0xbfb8aa3b, v21
	v_fma_f32 v29, v21, s28, -v28
	v_rndne_f32_e32 v30, v28
	v_fmac_f32_e32 v29, 0xb2a5705f, v21
	v_sub_f32_e32 v28, v28, v30
	v_add_f32_e32 v28, v28, v29
	v_cvt_i32_f32_e32 v29, v30
	v_exp_f32_e32 v28, v28
	v_cmp_nlt_f32_e32 vcc, s29, v21
	v_ldexp_f32 v28, v28, v29
	s_nop 0
	v_cndmask_b32_e32 v28, 0, v28, vcc
	v_cmp_ngt_f32_e32 vcc, s30, v21
	s_nop 1
	v_cndmask_b32_e32 v21, v36, v28, vcc
	v_sub_f32_e32 v21, 1.0, v21
.LBB546_29:                             ;   in Loop: Header=BB546_3 Depth=1
	s_andn2_saveexec_b64 s[20:21], s[20:21]
; %bb.30:                               ;   in Loop: Header=BB546_3 Depth=1
	v_mul_f32_e32 v21, v20, v20
	v_fmamk_f32 v28, v21, 0xba1345e1, v34
	v_fmaak_f32 v28, v21, v28, 0xbcdac9b8
	v_fmaak_f32 v28, v21, v28, 0x3de703be
	;; [unrolled: 1-line block ×4, first 2 shown]
	v_fma_f32 v21, |v20|, v21, |v20|
; %bb.31:                               ;   in Loop: Header=BB546_3 Depth=1
	s_or_b64 exec, exec, s[20:21]
	v_mul_f32_e32 v28, 0x3f3504f3, v23
	v_cmp_nlt_f32_e64 s[20:21], |v28|, 1.0
                                        ; implicit-def: $vgpr29
	s_and_saveexec_b64 s[34:35], s[20:21]
	s_xor_b64 s[20:21], exec, s[34:35]
	s_cbranch_execz .LBB546_33
; %bb.32:                               ;   in Loop: Header=BB546_3 Depth=1
	v_fma_f32 v29, |v28|, s22, v35
	v_fma_f32 v29, |v28|, v29, s23
	;; [unrolled: 1-line block ×6, first 2 shown]
	v_fma_f32 v29, |v28|, v29, |v28|
	v_mul_f32_e32 v30, 0xbfb8aa3b, v29
	v_fma_f32 v31, v29, s28, -v30
	v_rndne_f32_e32 v37, v30
	v_fmac_f32_e32 v31, 0xb2a5705f, v29
	v_sub_f32_e32 v30, v30, v37
	v_add_f32_e32 v30, v30, v31
	v_cvt_i32_f32_e32 v31, v37
	v_exp_f32_e32 v30, v30
	v_cmp_nlt_f32_e32 vcc, s29, v29
	v_ldexp_f32 v30, v30, v31
	s_nop 0
	v_cndmask_b32_e32 v30, 0, v30, vcc
	v_cmp_ngt_f32_e32 vcc, s30, v29
	s_nop 1
	v_cndmask_b32_e32 v29, v36, v30, vcc
	v_sub_f32_e32 v29, 1.0, v29
.LBB546_33:                             ;   in Loop: Header=BB546_3 Depth=1
	s_andn2_saveexec_b64 s[20:21], s[20:21]
; %bb.34:                               ;   in Loop: Header=BB546_3 Depth=1
	v_mul_f32_e32 v29, v28, v28
	v_fmamk_f32 v30, v29, 0xba1345e1, v34
	v_fmaak_f32 v30, v29, v30, 0xbcdac9b8
	v_fmaak_f32 v30, v29, v30, 0x3de703be
	;; [unrolled: 1-line block ×4, first 2 shown]
	v_fma_f32 v29, |v28|, v29, |v28|
; %bb.35:                               ;   in Loop: Header=BB546_3 Depth=1
	s_or_b64 exec, exec, s[20:21]
	v_bfi_b32 v20, s31, v21, v20
	v_mul_f32_e32 v22, 0.5, v22
	v_add_f32_e32 v20, 1.0, v20
	v_mul_f32_e32 v20, v22, v20
	v_bfi_b32 v22, s31, v29, v28
	v_mul_f32_e32 v21, 0.5, v23
	v_add_f32_e32 v22, 1.0, v22
	v_mul_f32_e32 v21, v21, v22
	;;#ASMSTART
	v_pk_mul_f32 v[18:19], v[20:21], v[18:19]
	;;#ASMEND
	v_mul_f32_e32 v20, 0x3f3504f3, v12
	v_cmp_nlt_f32_e64 s[20:21], |v20|, 1.0
                                        ; implicit-def: $vgpr21
	s_and_saveexec_b64 s[34:35], s[20:21]
	s_xor_b64 s[20:21], exec, s[34:35]
	s_cbranch_execz .LBB546_37
; %bb.36:                               ;   in Loop: Header=BB546_3 Depth=1
	v_fma_f32 v21, |v20|, s22, v35
	v_fma_f32 v21, |v20|, v21, s23
	;; [unrolled: 1-line block ×6, first 2 shown]
	v_fma_f32 v21, |v20|, v21, |v20|
	v_mul_f32_e32 v22, 0xbfb8aa3b, v21
	v_fma_f32 v23, v21, s28, -v22
	v_rndne_f32_e32 v28, v22
	v_fmac_f32_e32 v23, 0xb2a5705f, v21
	v_sub_f32_e32 v22, v22, v28
	v_add_f32_e32 v22, v22, v23
	v_cvt_i32_f32_e32 v23, v28
	v_exp_f32_e32 v22, v22
	v_cmp_nlt_f32_e32 vcc, s29, v21
	v_ldexp_f32 v22, v22, v23
	s_nop 0
	v_cndmask_b32_e32 v22, 0, v22, vcc
	v_cmp_ngt_f32_e32 vcc, s30, v21
	s_nop 1
	v_cndmask_b32_e32 v21, v36, v22, vcc
	v_sub_f32_e32 v21, 1.0, v21
.LBB546_37:                             ;   in Loop: Header=BB546_3 Depth=1
	s_andn2_saveexec_b64 s[20:21], s[20:21]
; %bb.38:                               ;   in Loop: Header=BB546_3 Depth=1
	v_mul_f32_e32 v21, v20, v20
	v_fmamk_f32 v22, v21, 0xba1345e1, v34
	v_fmaak_f32 v22, v21, v22, 0xbcdac9b8
	v_fmaak_f32 v22, v21, v22, 0x3de703be
	;; [unrolled: 1-line block ×4, first 2 shown]
	v_fma_f32 v21, |v20|, v21, |v20|
; %bb.39:                               ;   in Loop: Header=BB546_3 Depth=1
	s_or_b64 exec, exec, s[20:21]
	v_mul_f32_e32 v22, 0x3f3504f3, v13
	v_cmp_nlt_f32_e64 s[20:21], |v22|, 1.0
                                        ; implicit-def: $vgpr23
	s_and_saveexec_b64 s[34:35], s[20:21]
	s_xor_b64 s[20:21], exec, s[34:35]
	s_cbranch_execz .LBB546_41
; %bb.40:                               ;   in Loop: Header=BB546_3 Depth=1
	v_fma_f32 v23, |v22|, s22, v35
	v_fma_f32 v23, |v22|, v23, s23
	;; [unrolled: 1-line block ×6, first 2 shown]
	v_fma_f32 v23, |v22|, v23, |v22|
	v_mul_f32_e32 v28, 0xbfb8aa3b, v23
	v_fma_f32 v29, v23, s28, -v28
	v_rndne_f32_e32 v30, v28
	v_fmac_f32_e32 v29, 0xb2a5705f, v23
	v_sub_f32_e32 v28, v28, v30
	v_add_f32_e32 v28, v28, v29
	v_cvt_i32_f32_e32 v29, v30
	v_exp_f32_e32 v28, v28
	v_cmp_nlt_f32_e32 vcc, s29, v23
	v_ldexp_f32 v28, v28, v29
	s_nop 0
	v_cndmask_b32_e32 v28, 0, v28, vcc
	v_cmp_ngt_f32_e32 vcc, s30, v23
	s_nop 1
	v_cndmask_b32_e32 v23, v36, v28, vcc
	v_sub_f32_e32 v23, 1.0, v23
.LBB546_41:                             ;   in Loop: Header=BB546_3 Depth=1
	s_andn2_saveexec_b64 s[20:21], s[20:21]
; %bb.42:                               ;   in Loop: Header=BB546_3 Depth=1
	v_mul_f32_e32 v23, v22, v22
	v_fmamk_f32 v28, v23, 0xba1345e1, v34
	v_fmaak_f32 v28, v23, v28, 0xbcdac9b8
	v_fmaak_f32 v28, v23, v28, 0x3de703be
	;; [unrolled: 1-line block ×4, first 2 shown]
	v_fma_f32 v23, |v22|, v23, |v22|
; %bb.43:                               ;   in Loop: Header=BB546_3 Depth=1
	s_or_b64 exec, exec, s[20:21]
	v_bfi_b32 v20, s31, v21, v20
	v_mul_f32_e32 v12, 0.5, v12
	v_add_f32_e32 v20, 1.0, v20
	v_mul_f32_e32 v12, v12, v20
	v_bfi_b32 v20, s31, v23, v22
	v_mul_f32_e32 v13, 0.5, v13
	v_add_f32_e32 v20, 1.0, v20
	v_mul_f32_e32 v13, v13, v20
	s_waitcnt vmcnt(1)
	;;#ASMSTART
	v_pk_mul_f32 v[8:9], v[12:13], v[8:9]
	;;#ASMEND
	v_mul_f32_e32 v12, 0x3f3504f3, v14
	v_cmp_nlt_f32_e64 s[20:21], |v12|, 1.0
                                        ; implicit-def: $vgpr13
	s_and_saveexec_b64 s[34:35], s[20:21]
	s_xor_b64 s[20:21], exec, s[34:35]
	s_cbranch_execz .LBB546_45
; %bb.44:                               ;   in Loop: Header=BB546_3 Depth=1
	v_fma_f32 v13, |v12|, s22, v35
	v_fma_f32 v13, |v12|, v13, s23
	;; [unrolled: 1-line block ×6, first 2 shown]
	v_fma_f32 v13, |v12|, v13, |v12|
	v_mul_f32_e32 v20, 0xbfb8aa3b, v13
	v_fma_f32 v21, v13, s28, -v20
	v_rndne_f32_e32 v22, v20
	v_fmac_f32_e32 v21, 0xb2a5705f, v13
	v_sub_f32_e32 v20, v20, v22
	v_add_f32_e32 v20, v20, v21
	v_cvt_i32_f32_e32 v21, v22
	v_exp_f32_e32 v20, v20
	v_cmp_nlt_f32_e32 vcc, s29, v13
	v_ldexp_f32 v20, v20, v21
	s_nop 0
	v_cndmask_b32_e32 v20, 0, v20, vcc
	v_cmp_ngt_f32_e32 vcc, s30, v13
	s_nop 1
	v_cndmask_b32_e32 v13, v36, v20, vcc
	v_sub_f32_e32 v13, 1.0, v13
.LBB546_45:                             ;   in Loop: Header=BB546_3 Depth=1
	s_andn2_saveexec_b64 s[20:21], s[20:21]
; %bb.46:                               ;   in Loop: Header=BB546_3 Depth=1
	v_mul_f32_e32 v13, v12, v12
	v_fmamk_f32 v20, v13, 0xba1345e1, v34
	v_fmaak_f32 v20, v13, v20, 0xbcdac9b8
	v_fmaak_f32 v20, v13, v20, 0x3de703be
	;; [unrolled: 1-line block ×4, first 2 shown]
	v_fma_f32 v13, |v12|, v13, |v12|
; %bb.47:                               ;   in Loop: Header=BB546_3 Depth=1
	s_or_b64 exec, exec, s[20:21]
	v_mul_f32_e32 v20, 0x3f3504f3, v15
	v_cmp_nlt_f32_e64 s[20:21], |v20|, 1.0
                                        ; implicit-def: $vgpr21
	s_and_saveexec_b64 s[34:35], s[20:21]
	s_xor_b64 s[20:21], exec, s[34:35]
	s_cbranch_execz .LBB546_49
; %bb.48:                               ;   in Loop: Header=BB546_3 Depth=1
	v_fma_f32 v21, |v20|, s22, v35
	v_fma_f32 v21, |v20|, v21, s23
	;; [unrolled: 1-line block ×6, first 2 shown]
	v_fma_f32 v21, |v20|, v21, |v20|
	v_mul_f32_e32 v22, 0xbfb8aa3b, v21
	v_fma_f32 v23, v21, s28, -v22
	v_rndne_f32_e32 v28, v22
	v_fmac_f32_e32 v23, 0xb2a5705f, v21
	v_sub_f32_e32 v22, v22, v28
	v_add_f32_e32 v22, v22, v23
	v_cvt_i32_f32_e32 v23, v28
	v_exp_f32_e32 v22, v22
	v_cmp_nlt_f32_e32 vcc, s29, v21
	v_ldexp_f32 v22, v22, v23
	s_nop 0
	v_cndmask_b32_e32 v22, 0, v22, vcc
	v_cmp_ngt_f32_e32 vcc, s30, v21
	s_nop 1
	v_cndmask_b32_e32 v21, v36, v22, vcc
	v_sub_f32_e32 v21, 1.0, v21
.LBB546_49:                             ;   in Loop: Header=BB546_3 Depth=1
	s_andn2_saveexec_b64 s[20:21], s[20:21]
; %bb.50:                               ;   in Loop: Header=BB546_3 Depth=1
	v_mul_f32_e32 v21, v20, v20
	v_fmamk_f32 v22, v21, 0xba1345e1, v34
	v_fmaak_f32 v22, v21, v22, 0xbcdac9b8
	v_fmaak_f32 v22, v21, v22, 0x3de703be
	;; [unrolled: 1-line block ×4, first 2 shown]
	v_fma_f32 v21, |v20|, v21, |v20|
; %bb.51:                               ;   in Loop: Header=BB546_3 Depth=1
	s_or_b64 exec, exec, s[20:21]
	v_bfi_b32 v12, s31, v13, v12
	v_mul_f32_e32 v14, 0.5, v14
	v_add_f32_e32 v12, 1.0, v12
	v_mul_f32_e32 v12, v14, v12
	v_bfi_b32 v14, s31, v21, v20
	v_mul_f32_e32 v13, 0.5, v15
	v_add_f32_e32 v14, 1.0, v14
	v_mul_f32_e32 v13, v13, v14
	;;#ASMSTART
	v_pk_mul_f32 v[10:11], v[12:13], v[10:11]
	;;#ASMEND
	v_mul_f32_e32 v12, 0x3f3504f3, v4
	v_cmp_nlt_f32_e64 s[20:21], |v12|, 1.0
                                        ; implicit-def: $vgpr13
	s_and_saveexec_b64 s[34:35], s[20:21]
	s_xor_b64 s[20:21], exec, s[34:35]
	s_cbranch_execz .LBB546_53
; %bb.52:                               ;   in Loop: Header=BB546_3 Depth=1
	v_fma_f32 v13, |v12|, s22, v35
	v_fma_f32 v13, |v12|, v13, s23
	;; [unrolled: 1-line block ×6, first 2 shown]
	v_fma_f32 v13, |v12|, v13, |v12|
	v_mul_f32_e32 v14, 0xbfb8aa3b, v13
	v_fma_f32 v15, v13, s28, -v14
	v_rndne_f32_e32 v20, v14
	v_fmac_f32_e32 v15, 0xb2a5705f, v13
	v_sub_f32_e32 v14, v14, v20
	v_add_f32_e32 v14, v14, v15
	v_cvt_i32_f32_e32 v15, v20
	v_exp_f32_e32 v14, v14
	v_cmp_nlt_f32_e32 vcc, s29, v13
	v_ldexp_f32 v14, v14, v15
	s_nop 0
	v_cndmask_b32_e32 v14, 0, v14, vcc
	v_cmp_ngt_f32_e32 vcc, s30, v13
	s_nop 1
	v_cndmask_b32_e32 v13, v36, v14, vcc
	v_sub_f32_e32 v13, 1.0, v13
.LBB546_53:                             ;   in Loop: Header=BB546_3 Depth=1
	s_andn2_saveexec_b64 s[20:21], s[20:21]
; %bb.54:                               ;   in Loop: Header=BB546_3 Depth=1
	v_mul_f32_e32 v13, v12, v12
	v_fmamk_f32 v14, v13, 0xba1345e1, v34
	v_fmaak_f32 v14, v13, v14, 0xbcdac9b8
	v_fmaak_f32 v14, v13, v14, 0x3de703be
	;; [unrolled: 1-line block ×4, first 2 shown]
	v_fma_f32 v13, |v12|, v13, |v12|
; %bb.55:                               ;   in Loop: Header=BB546_3 Depth=1
	s_or_b64 exec, exec, s[20:21]
	v_mul_f32_e32 v14, 0x3f3504f3, v5
	v_cmp_nlt_f32_e64 s[20:21], |v14|, 1.0
                                        ; implicit-def: $vgpr15
	s_and_saveexec_b64 s[34:35], s[20:21]
	s_xor_b64 s[20:21], exec, s[34:35]
	s_cbranch_execz .LBB546_57
; %bb.56:                               ;   in Loop: Header=BB546_3 Depth=1
	v_fma_f32 v15, |v14|, s22, v35
	v_fma_f32 v15, |v14|, v15, s23
	;; [unrolled: 1-line block ×6, first 2 shown]
	v_fma_f32 v15, |v14|, v15, |v14|
	v_mul_f32_e32 v20, 0xbfb8aa3b, v15
	v_fma_f32 v21, v15, s28, -v20
	v_rndne_f32_e32 v22, v20
	v_fmac_f32_e32 v21, 0xb2a5705f, v15
	v_sub_f32_e32 v20, v20, v22
	v_add_f32_e32 v20, v20, v21
	v_cvt_i32_f32_e32 v21, v22
	v_exp_f32_e32 v20, v20
	v_cmp_nlt_f32_e32 vcc, s29, v15
	v_ldexp_f32 v20, v20, v21
	s_nop 0
	v_cndmask_b32_e32 v20, 0, v20, vcc
	v_cmp_ngt_f32_e32 vcc, s30, v15
	s_nop 1
	v_cndmask_b32_e32 v15, v36, v20, vcc
	v_sub_f32_e32 v15, 1.0, v15
.LBB546_57:                             ;   in Loop: Header=BB546_3 Depth=1
	s_andn2_saveexec_b64 s[20:21], s[20:21]
; %bb.58:                               ;   in Loop: Header=BB546_3 Depth=1
	v_mul_f32_e32 v15, v14, v14
	v_fmamk_f32 v20, v15, 0xba1345e1, v34
	v_fmaak_f32 v20, v15, v20, 0xbcdac9b8
	v_fmaak_f32 v20, v15, v20, 0x3de703be
	;; [unrolled: 1-line block ×4, first 2 shown]
	v_fma_f32 v15, |v14|, v15, |v14|
; %bb.59:                               ;   in Loop: Header=BB546_3 Depth=1
	s_or_b64 exec, exec, s[20:21]
	v_bfi_b32 v12, s31, v13, v12
	v_mul_f32_e32 v4, 0.5, v4
	v_add_f32_e32 v12, 1.0, v12
	v_mul_f32_e32 v4, v4, v12
	v_bfi_b32 v12, s31, v15, v14
	v_mul_f32_e32 v5, 0.5, v5
	v_add_f32_e32 v12, 1.0, v12
	v_mul_f32_e32 v5, v5, v12
	s_waitcnt vmcnt(0)
	;;#ASMSTART
	v_pk_mul_f32 v[0:1], v[4:5], v[0:1]
	;;#ASMEND
	v_mul_f32_e32 v4, 0x3f3504f3, v6
	v_cmp_nlt_f32_e64 s[20:21], |v4|, 1.0
                                        ; implicit-def: $vgpr5
	s_and_saveexec_b64 s[34:35], s[20:21]
	s_xor_b64 s[20:21], exec, s[34:35]
	s_cbranch_execz .LBB546_61
; %bb.60:                               ;   in Loop: Header=BB546_3 Depth=1
	v_fma_f32 v5, |v4|, s22, v35
	v_fma_f32 v5, |v4|, v5, s23
	;; [unrolled: 1-line block ×6, first 2 shown]
	v_fma_f32 v5, |v4|, v5, |v4|
	v_mul_f32_e32 v12, 0xbfb8aa3b, v5
	v_fma_f32 v13, v5, s28, -v12
	v_rndne_f32_e32 v14, v12
	v_fmac_f32_e32 v13, 0xb2a5705f, v5
	v_sub_f32_e32 v12, v12, v14
	v_add_f32_e32 v12, v12, v13
	v_cvt_i32_f32_e32 v13, v14
	v_exp_f32_e32 v12, v12
	v_cmp_nlt_f32_e32 vcc, s29, v5
	v_ldexp_f32 v12, v12, v13
	s_nop 0
	v_cndmask_b32_e32 v12, 0, v12, vcc
	v_cmp_ngt_f32_e32 vcc, s30, v5
	s_nop 1
	v_cndmask_b32_e32 v5, v36, v12, vcc
	v_sub_f32_e32 v5, 1.0, v5
.LBB546_61:                             ;   in Loop: Header=BB546_3 Depth=1
	s_andn2_saveexec_b64 s[20:21], s[20:21]
; %bb.62:                               ;   in Loop: Header=BB546_3 Depth=1
	v_mul_f32_e32 v5, v4, v4
	v_fmamk_f32 v12, v5, 0xba1345e1, v34
	v_fmaak_f32 v12, v5, v12, 0xbcdac9b8
	v_fmaak_f32 v12, v5, v12, 0x3de703be
	;; [unrolled: 1-line block ×4, first 2 shown]
	v_fma_f32 v5, |v4|, v5, |v4|
; %bb.63:                               ;   in Loop: Header=BB546_3 Depth=1
	s_or_b64 exec, exec, s[20:21]
	v_mul_f32_e32 v12, 0x3f3504f3, v7
	v_cmp_nlt_f32_e64 s[20:21], |v12|, 1.0
                                        ; implicit-def: $vgpr13
	s_and_saveexec_b64 s[34:35], s[20:21]
	s_xor_b64 s[20:21], exec, s[34:35]
	s_cbranch_execz .LBB546_65
; %bb.64:                               ;   in Loop: Header=BB546_3 Depth=1
	v_fma_f32 v13, |v12|, s22, v35
	v_fma_f32 v13, |v12|, v13, s23
	;; [unrolled: 1-line block ×6, first 2 shown]
	v_fma_f32 v13, |v12|, v13, |v12|
	v_mul_f32_e32 v14, 0xbfb8aa3b, v13
	v_fma_f32 v15, v13, s28, -v14
	v_rndne_f32_e32 v20, v14
	v_fmac_f32_e32 v15, 0xb2a5705f, v13
	v_sub_f32_e32 v14, v14, v20
	v_add_f32_e32 v14, v14, v15
	v_cvt_i32_f32_e32 v15, v20
	v_exp_f32_e32 v14, v14
	v_cmp_nlt_f32_e32 vcc, s29, v13
	v_ldexp_f32 v14, v14, v15
	s_nop 0
	v_cndmask_b32_e32 v14, 0, v14, vcc
	v_cmp_ngt_f32_e32 vcc, s30, v13
	s_nop 1
	v_cndmask_b32_e32 v13, v36, v14, vcc
	v_sub_f32_e32 v13, 1.0, v13
.LBB546_65:                             ;   in Loop: Header=BB546_3 Depth=1
	s_andn2_saveexec_b64 s[20:21], s[20:21]
	s_cbranch_execz .LBB546_2
; %bb.66:                               ;   in Loop: Header=BB546_3 Depth=1
	v_mul_f32_e32 v13, v12, v12
	v_fmamk_f32 v14, v13, 0xba1345e1, v34
	v_fmaak_f32 v14, v13, v14, 0xbcdac9b8
	v_fmaak_f32 v14, v13, v14, 0x3de703be
	;; [unrolled: 1-line block ×4, first 2 shown]
	v_fma_f32 v13, |v12|, v13, |v12|
	s_branch .LBB546_2
.LBB546_67:
	s_endpgm
	.section	.rodata,"a",@progbits
	.p2align	6, 0x0
	.amdhsa_kernel _ZN5aiter18act_and_mul_kernelIfDF16_TnPFfRKT_EXadL_ZNS_11gelu_kernelIfEEfS3_EELi16ELb0ELi0EEEvPT0_PS2_if
		.amdhsa_group_segment_fixed_size 0
		.amdhsa_private_segment_fixed_size 0
		.amdhsa_kernarg_size 280
		.amdhsa_user_sgpr_count 2
		.amdhsa_user_sgpr_dispatch_ptr 0
		.amdhsa_user_sgpr_queue_ptr 0
		.amdhsa_user_sgpr_kernarg_segment_ptr 1
		.amdhsa_user_sgpr_dispatch_id 0
		.amdhsa_user_sgpr_kernarg_preload_length 0
		.amdhsa_user_sgpr_kernarg_preload_offset 0
		.amdhsa_user_sgpr_private_segment_size 0
		.amdhsa_uses_dynamic_stack 0
		.amdhsa_enable_private_segment 0
		.amdhsa_system_sgpr_workgroup_id_x 1
		.amdhsa_system_sgpr_workgroup_id_y 0
		.amdhsa_system_sgpr_workgroup_id_z 0
		.amdhsa_system_sgpr_workgroup_info 0
		.amdhsa_system_vgpr_workitem_id 0
		.amdhsa_next_free_vgpr 44
		.amdhsa_next_free_sgpr 36
		.amdhsa_accum_offset 44
		.amdhsa_reserve_vcc 1
		.amdhsa_float_round_mode_32 0
		.amdhsa_float_round_mode_16_64 0
		.amdhsa_float_denorm_mode_32 3
		.amdhsa_float_denorm_mode_16_64 3
		.amdhsa_dx10_clamp 1
		.amdhsa_ieee_mode 1
		.amdhsa_fp16_overflow 0
		.amdhsa_tg_split 0
		.amdhsa_exception_fp_ieee_invalid_op 0
		.amdhsa_exception_fp_denorm_src 0
		.amdhsa_exception_fp_ieee_div_zero 0
		.amdhsa_exception_fp_ieee_overflow 0
		.amdhsa_exception_fp_ieee_underflow 0
		.amdhsa_exception_fp_ieee_inexact 0
		.amdhsa_exception_int_div_zero 0
	.end_amdhsa_kernel
	.section	.text._ZN5aiter18act_and_mul_kernelIfDF16_TnPFfRKT_EXadL_ZNS_11gelu_kernelIfEEfS3_EELi16ELb0ELi0EEEvPT0_PS2_if,"axG",@progbits,_ZN5aiter18act_and_mul_kernelIfDF16_TnPFfRKT_EXadL_ZNS_11gelu_kernelIfEEfS3_EELi16ELb0ELi0EEEvPT0_PS2_if,comdat
.Lfunc_end546:
	.size	_ZN5aiter18act_and_mul_kernelIfDF16_TnPFfRKT_EXadL_ZNS_11gelu_kernelIfEEfS3_EELi16ELb0ELi0EEEvPT0_PS2_if, .Lfunc_end546-_ZN5aiter18act_and_mul_kernelIfDF16_TnPFfRKT_EXadL_ZNS_11gelu_kernelIfEEfS3_EELi16ELb0ELi0EEEvPT0_PS2_if
                                        ; -- End function
	.section	.AMDGPU.csdata,"",@progbits
; Kernel info:
; codeLenInByte = 4556
; NumSgprs: 42
; NumVgprs: 44
; NumAgprs: 0
; TotalNumVgprs: 44
; ScratchSize: 0
; MemoryBound: 0
; FloatMode: 240
; IeeeMode: 1
; LDSByteSize: 0 bytes/workgroup (compile time only)
; SGPRBlocks: 5
; VGPRBlocks: 5
; NumSGPRsForWavesPerEU: 42
; NumVGPRsForWavesPerEU: 44
; AccumOffset: 44
; Occupancy: 8
; WaveLimiterHint : 0
; COMPUTE_PGM_RSRC2:SCRATCH_EN: 0
; COMPUTE_PGM_RSRC2:USER_SGPR: 2
; COMPUTE_PGM_RSRC2:TRAP_HANDLER: 0
; COMPUTE_PGM_RSRC2:TGID_X_EN: 1
; COMPUTE_PGM_RSRC2:TGID_Y_EN: 0
; COMPUTE_PGM_RSRC2:TGID_Z_EN: 0
; COMPUTE_PGM_RSRC2:TIDIG_COMP_CNT: 0
; COMPUTE_PGM_RSRC3_GFX90A:ACCUM_OFFSET: 10
; COMPUTE_PGM_RSRC3_GFX90A:TG_SPLIT: 0
	.section	.text._ZN5aiter18act_and_mul_kernelIfDF16_TnPFfRKT_EXadL_ZNS_11gelu_kernelIfEEfS3_EELi8ELb0ELi0EEEvPT0_PS2_if,"axG",@progbits,_ZN5aiter18act_and_mul_kernelIfDF16_TnPFfRKT_EXadL_ZNS_11gelu_kernelIfEEfS3_EELi8ELb0ELi0EEEvPT0_PS2_if,comdat
	.protected	_ZN5aiter18act_and_mul_kernelIfDF16_TnPFfRKT_EXadL_ZNS_11gelu_kernelIfEEfS3_EELi8ELb0ELi0EEEvPT0_PS2_if ; -- Begin function _ZN5aiter18act_and_mul_kernelIfDF16_TnPFfRKT_EXadL_ZNS_11gelu_kernelIfEEfS3_EELi8ELb0ELi0EEEvPT0_PS2_if
	.globl	_ZN5aiter18act_and_mul_kernelIfDF16_TnPFfRKT_EXadL_ZNS_11gelu_kernelIfEEfS3_EELi8ELb0ELi0EEEvPT0_PS2_if
	.p2align	8
	.type	_ZN5aiter18act_and_mul_kernelIfDF16_TnPFfRKT_EXadL_ZNS_11gelu_kernelIfEEfS3_EELi8ELb0ELi0EEEvPT0_PS2_if,@function
_ZN5aiter18act_and_mul_kernelIfDF16_TnPFfRKT_EXadL_ZNS_11gelu_kernelIfEEfS3_EELi8ELb0ELi0EEEvPT0_PS2_if: ; @_ZN5aiter18act_and_mul_kernelIfDF16_TnPFfRKT_EXadL_ZNS_11gelu_kernelIfEEfS3_EELi8ELb0ELi0EEEvPT0_PS2_if
; %bb.0:
	s_load_dword s16, s[0:1], 0x10
	v_lshlrev_b32_e32 v16, 3, v0
	s_waitcnt lgkmcnt(0)
	v_cmp_gt_i32_e32 vcc, s16, v16
	s_and_saveexec_b64 s[4:5], vcc
	s_cbranch_execz .LBB547_35
; %bb.1:
	s_load_dwordx4 s[12:15], s[0:1], 0x0
	s_ashr_i32 s17, s16, 31
	s_mul_hi_u32 s3, s16, s2
	s_mul_i32 s4, s17, s2
	s_add_i32 s3, s3, s4
	s_mul_i32 s2, s16, s2
	s_lshl_b64 s[10:11], s[2:3], 1
	s_lshl_b64 s[2:3], s[2:3], 3
	s_waitcnt lgkmcnt(0)
	s_add_u32 s4, s14, s2
	s_addc_u32 s5, s15, s3
	s_lshl_b64 s[2:3], s[16:17], 2
	s_add_u32 s8, s4, s2
	s_addc_u32 s2, s5, s3
	s_lshl_b32 s6, s16, 2
	s_and_b32 s5, s5, 0xffff
	s_and_b32 s9, s2, 0xffff
	s_add_u32 s12, s12, s10
	s_addc_u32 s2, s13, s11
	s_add_i32 s3, s16, 1
	s_lshr_b32 s10, s3, 31
	s_add_i32 s3, s3, s10
	s_lshl_b32 s3, s3, 1
	s_and_b32 s14, s3, -4
	s_and_b32 s13, s2, 0xffff
	s_mov_b32 s7, 0x20000
	s_add_u32 s0, s0, 24
	s_mov_b32 s15, s7
	v_mov_b32_e32 v17, 0
	s_addc_u32 s1, s1, 0
	s_mov_b64 s[2:3], 0
	s_mov_b32 s19, 0
	s_mov_b32 s10, s6
	;; [unrolled: 1-line block ×12, first 2 shown]
	v_mov_b32_e32 v18, 0x3ba10414
	s_brev_b32 s31, -2
	v_mov_b32_e32 v19, 0xb9c68948
	v_mov_b32_e32 v20, 0x7f800000
                                        ; implicit-def: $vgpr0
                                        ; implicit-def: $vgpr0
	;; [unrolled: 1-line block ×4, first 2 shown]
	s_branch .LBB547_3
.LBB547_2:                              ;   in Loop: Header=BB547_3 Depth=1
	s_or_b64 exec, exec, s[20:21]
	v_bfi_b32 v4, s31, v5, v4
	v_mul_f32_e32 v5, 0.5, v7
	v_bfi_b32 v7, s31, v13, v12
	v_mul_f32_e32 v6, 0.5, v6
	v_add_f32_e32 v4, 1.0, v4
	v_add_f32_e32 v7, 1.0, v7
	v_mul_f32_e32 v4, v6, v4
	v_mul_f32_e32 v5, v5, v7
	;;#ASMSTART
	v_pk_mul_f32 v[2:3], v[4:5], v[2:3]
	;;#ASMEND
	s_load_dword s18, s[0:1], 0xc
	v_cvt_f16_f32_e32 v6, v8
	v_cvt_f16_f32_e32 v8, v9
	;; [unrolled: 1-line block ×8, first 2 shown]
	s_waitcnt lgkmcnt(0)
	s_and_b32 s18, s18, 0xffff
	s_lshl_b32 s18, s18, 3
	v_pack_b32_f16 v3, v2, v3
	v_pack_b32_f16 v2, v0, v1
	;; [unrolled: 1-line block ×3, first 2 shown]
	v_lshlrev_b32_e32 v4, 1, v16
	v_lshl_add_u64 v[16:17], s[18:19], 0, v[16:17]
	v_cmp_le_i64_e32 vcc, s[16:17], v[16:17]
	v_pack_b32_f16 v0, v6, v8
	s_or_b64 s[2:3], vcc, s[2:3]
	buffer_store_dwordx4 v[0:3], v4, s[12:15], 0 offen
	s_andn2_b64 exec, exec, s[2:3]
	s_cbranch_execz .LBB547_35
.LBB547_3:                              ; =>This Inner Loop Header: Depth=1
	v_lshlrev_b32_e32 v21, 2, v16
	buffer_load_dwordx4 v[12:15], v21, s[4:7], 0 offen
	buffer_load_dwordx4 v[4:7], v21, s[4:7], 16 offen
	;; [unrolled: 1-line block ×4, first 2 shown]
                                        ; implicit-def: $vgpr22
	s_waitcnt vmcnt(3)
	v_mul_f32_e32 v21, 0x3f3504f3, v12
	v_cmp_nlt_f32_e64 s[20:21], |v21|, 1.0
	s_and_saveexec_b64 s[34:35], s[20:21]
	s_xor_b64 s[20:21], exec, s[34:35]
	s_cbranch_execz .LBB547_5
; %bb.4:                                ;   in Loop: Header=BB547_3 Depth=1
	v_fma_f32 v22, |v21|, s22, v19
	v_fma_f32 v22, |v21|, v22, s23
	;; [unrolled: 1-line block ×6, first 2 shown]
	v_fma_f32 v22, |v21|, v22, |v21|
	v_mul_f32_e32 v23, 0xbfb8aa3b, v22
	v_fma_f32 v24, v22, s28, -v23
	v_rndne_f32_e32 v25, v23
	v_fmac_f32_e32 v24, 0xb2a5705f, v22
	v_sub_f32_e32 v23, v23, v25
	v_add_f32_e32 v23, v23, v24
	v_cvt_i32_f32_e32 v24, v25
	v_exp_f32_e32 v23, v23
	v_cmp_nlt_f32_e32 vcc, s29, v22
	v_ldexp_f32 v23, v23, v24
	s_nop 0
	v_cndmask_b32_e32 v23, 0, v23, vcc
	v_cmp_ngt_f32_e32 vcc, s30, v22
	s_nop 1
	v_cndmask_b32_e32 v22, v20, v23, vcc
	v_sub_f32_e32 v22, 1.0, v22
.LBB547_5:                              ;   in Loop: Header=BB547_3 Depth=1
	s_andn2_saveexec_b64 s[20:21], s[20:21]
; %bb.6:                                ;   in Loop: Header=BB547_3 Depth=1
	v_mul_f32_e32 v22, v21, v21
	v_fmamk_f32 v23, v22, 0xba1345e1, v18
	v_fmaak_f32 v23, v22, v23, 0xbcdac9b8
	v_fmaak_f32 v23, v22, v23, 0x3de703be
	v_fmaak_f32 v23, v22, v23, 0xbec09330
	v_fmaak_f32 v22, v22, v23, 0x3e0375d0
	v_fma_f32 v22, |v21|, v22, |v21|
; %bb.7:                                ;   in Loop: Header=BB547_3 Depth=1
	s_or_b64 exec, exec, s[20:21]
	v_mul_f32_e32 v23, 0x3f3504f3, v13
	v_cmp_nlt_f32_e64 s[20:21], |v23|, 1.0
                                        ; implicit-def: $vgpr24
	s_and_saveexec_b64 s[34:35], s[20:21]
	s_xor_b64 s[20:21], exec, s[34:35]
	s_cbranch_execz .LBB547_9
; %bb.8:                                ;   in Loop: Header=BB547_3 Depth=1
	v_fma_f32 v24, |v23|, s22, v19
	v_fma_f32 v24, |v23|, v24, s23
	;; [unrolled: 1-line block ×6, first 2 shown]
	v_fma_f32 v24, |v23|, v24, |v23|
	v_mul_f32_e32 v25, 0xbfb8aa3b, v24
	v_fma_f32 v26, v24, s28, -v25
	v_rndne_f32_e32 v27, v25
	v_fmac_f32_e32 v26, 0xb2a5705f, v24
	v_sub_f32_e32 v25, v25, v27
	v_add_f32_e32 v25, v25, v26
	v_cvt_i32_f32_e32 v26, v27
	v_exp_f32_e32 v25, v25
	v_cmp_nlt_f32_e32 vcc, s29, v24
	v_ldexp_f32 v25, v25, v26
	s_nop 0
	v_cndmask_b32_e32 v25, 0, v25, vcc
	v_cmp_ngt_f32_e32 vcc, s30, v24
	s_nop 1
	v_cndmask_b32_e32 v24, v20, v25, vcc
	v_sub_f32_e32 v24, 1.0, v24
.LBB547_9:                              ;   in Loop: Header=BB547_3 Depth=1
	s_andn2_saveexec_b64 s[20:21], s[20:21]
; %bb.10:                               ;   in Loop: Header=BB547_3 Depth=1
	v_mul_f32_e32 v24, v23, v23
	v_fmamk_f32 v25, v24, 0xba1345e1, v18
	v_fmaak_f32 v25, v24, v25, 0xbcdac9b8
	v_fmaak_f32 v25, v24, v25, 0x3de703be
	;; [unrolled: 1-line block ×4, first 2 shown]
	v_fma_f32 v24, |v23|, v24, |v23|
; %bb.11:                               ;   in Loop: Header=BB547_3 Depth=1
	s_or_b64 exec, exec, s[20:21]
	v_bfi_b32 v21, s31, v22, v21
	v_mul_f32_e32 v12, 0.5, v12
	v_add_f32_e32 v21, 1.0, v21
	v_mul_f32_e32 v12, v12, v21
	v_bfi_b32 v21, s31, v24, v23
	v_mul_f32_e32 v13, 0.5, v13
	v_add_f32_e32 v21, 1.0, v21
	v_mul_f32_e32 v13, v13, v21
	s_waitcnt vmcnt(1)
	;;#ASMSTART
	v_pk_mul_f32 v[8:9], v[12:13], v[8:9]
	;;#ASMEND
	v_mul_f32_e32 v12, 0x3f3504f3, v14
	v_cmp_nlt_f32_e64 s[20:21], |v12|, 1.0
                                        ; implicit-def: $vgpr13
	s_and_saveexec_b64 s[34:35], s[20:21]
	s_xor_b64 s[20:21], exec, s[34:35]
	s_cbranch_execz .LBB547_13
; %bb.12:                               ;   in Loop: Header=BB547_3 Depth=1
	v_fma_f32 v13, |v12|, s22, v19
	v_fma_f32 v13, |v12|, v13, s23
	v_fma_f32 v13, |v12|, v13, s24
	v_fma_f32 v13, |v12|, v13, s25
	v_fma_f32 v13, |v12|, v13, s26
	v_fma_f32 v13, |v12|, v13, s27
	v_fma_f32 v13, |v12|, v13, |v12|
	v_mul_f32_e32 v21, 0xbfb8aa3b, v13
	v_fma_f32 v22, v13, s28, -v21
	v_rndne_f32_e32 v23, v21
	v_fmac_f32_e32 v22, 0xb2a5705f, v13
	v_sub_f32_e32 v21, v21, v23
	v_add_f32_e32 v21, v21, v22
	v_cvt_i32_f32_e32 v22, v23
	v_exp_f32_e32 v21, v21
	v_cmp_nlt_f32_e32 vcc, s29, v13
	v_ldexp_f32 v21, v21, v22
	s_nop 0
	v_cndmask_b32_e32 v21, 0, v21, vcc
	v_cmp_ngt_f32_e32 vcc, s30, v13
	s_nop 1
	v_cndmask_b32_e32 v13, v20, v21, vcc
	v_sub_f32_e32 v13, 1.0, v13
.LBB547_13:                             ;   in Loop: Header=BB547_3 Depth=1
	s_andn2_saveexec_b64 s[20:21], s[20:21]
; %bb.14:                               ;   in Loop: Header=BB547_3 Depth=1
	v_mul_f32_e32 v13, v12, v12
	v_fmamk_f32 v21, v13, 0xba1345e1, v18
	v_fmaak_f32 v21, v13, v21, 0xbcdac9b8
	v_fmaak_f32 v21, v13, v21, 0x3de703be
	;; [unrolled: 1-line block ×4, first 2 shown]
	v_fma_f32 v13, |v12|, v13, |v12|
; %bb.15:                               ;   in Loop: Header=BB547_3 Depth=1
	s_or_b64 exec, exec, s[20:21]
	v_mul_f32_e32 v21, 0x3f3504f3, v15
	v_cmp_nlt_f32_e64 s[20:21], |v21|, 1.0
                                        ; implicit-def: $vgpr22
	s_and_saveexec_b64 s[34:35], s[20:21]
	s_xor_b64 s[20:21], exec, s[34:35]
	s_cbranch_execz .LBB547_17
; %bb.16:                               ;   in Loop: Header=BB547_3 Depth=1
	v_fma_f32 v22, |v21|, s22, v19
	v_fma_f32 v22, |v21|, v22, s23
	;; [unrolled: 1-line block ×6, first 2 shown]
	v_fma_f32 v22, |v21|, v22, |v21|
	v_mul_f32_e32 v23, 0xbfb8aa3b, v22
	v_fma_f32 v24, v22, s28, -v23
	v_rndne_f32_e32 v25, v23
	v_fmac_f32_e32 v24, 0xb2a5705f, v22
	v_sub_f32_e32 v23, v23, v25
	v_add_f32_e32 v23, v23, v24
	v_cvt_i32_f32_e32 v24, v25
	v_exp_f32_e32 v23, v23
	v_cmp_nlt_f32_e32 vcc, s29, v22
	v_ldexp_f32 v23, v23, v24
	s_nop 0
	v_cndmask_b32_e32 v23, 0, v23, vcc
	v_cmp_ngt_f32_e32 vcc, s30, v22
	s_nop 1
	v_cndmask_b32_e32 v22, v20, v23, vcc
	v_sub_f32_e32 v22, 1.0, v22
.LBB547_17:                             ;   in Loop: Header=BB547_3 Depth=1
	s_andn2_saveexec_b64 s[20:21], s[20:21]
; %bb.18:                               ;   in Loop: Header=BB547_3 Depth=1
	v_mul_f32_e32 v22, v21, v21
	v_fmamk_f32 v23, v22, 0xba1345e1, v18
	v_fmaak_f32 v23, v22, v23, 0xbcdac9b8
	v_fmaak_f32 v23, v22, v23, 0x3de703be
	;; [unrolled: 1-line block ×4, first 2 shown]
	v_fma_f32 v22, |v21|, v22, |v21|
; %bb.19:                               ;   in Loop: Header=BB547_3 Depth=1
	s_or_b64 exec, exec, s[20:21]
	v_bfi_b32 v12, s31, v13, v12
	v_mul_f32_e32 v14, 0.5, v14
	v_add_f32_e32 v12, 1.0, v12
	v_mul_f32_e32 v12, v14, v12
	v_bfi_b32 v14, s31, v22, v21
	v_mul_f32_e32 v13, 0.5, v15
	v_add_f32_e32 v14, 1.0, v14
	v_mul_f32_e32 v13, v13, v14
	;;#ASMSTART
	v_pk_mul_f32 v[10:11], v[12:13], v[10:11]
	;;#ASMEND
	v_mul_f32_e32 v12, 0x3f3504f3, v4
	v_cmp_nlt_f32_e64 s[20:21], |v12|, 1.0
                                        ; implicit-def: $vgpr13
	s_and_saveexec_b64 s[34:35], s[20:21]
	s_xor_b64 s[20:21], exec, s[34:35]
	s_cbranch_execz .LBB547_21
; %bb.20:                               ;   in Loop: Header=BB547_3 Depth=1
	v_fma_f32 v13, |v12|, s22, v19
	v_fma_f32 v13, |v12|, v13, s23
	;; [unrolled: 1-line block ×6, first 2 shown]
	v_fma_f32 v13, |v12|, v13, |v12|
	v_mul_f32_e32 v14, 0xbfb8aa3b, v13
	v_fma_f32 v15, v13, s28, -v14
	v_rndne_f32_e32 v21, v14
	v_fmac_f32_e32 v15, 0xb2a5705f, v13
	v_sub_f32_e32 v14, v14, v21
	v_add_f32_e32 v14, v14, v15
	v_cvt_i32_f32_e32 v15, v21
	v_exp_f32_e32 v14, v14
	v_cmp_nlt_f32_e32 vcc, s29, v13
	v_ldexp_f32 v14, v14, v15
	s_nop 0
	v_cndmask_b32_e32 v14, 0, v14, vcc
	v_cmp_ngt_f32_e32 vcc, s30, v13
	s_nop 1
	v_cndmask_b32_e32 v13, v20, v14, vcc
	v_sub_f32_e32 v13, 1.0, v13
.LBB547_21:                             ;   in Loop: Header=BB547_3 Depth=1
	s_andn2_saveexec_b64 s[20:21], s[20:21]
; %bb.22:                               ;   in Loop: Header=BB547_3 Depth=1
	v_mul_f32_e32 v13, v12, v12
	v_fmamk_f32 v14, v13, 0xba1345e1, v18
	v_fmaak_f32 v14, v13, v14, 0xbcdac9b8
	v_fmaak_f32 v14, v13, v14, 0x3de703be
	;; [unrolled: 1-line block ×4, first 2 shown]
	v_fma_f32 v13, |v12|, v13, |v12|
; %bb.23:                               ;   in Loop: Header=BB547_3 Depth=1
	s_or_b64 exec, exec, s[20:21]
	v_mul_f32_e32 v14, 0x3f3504f3, v5
	v_cmp_nlt_f32_e64 s[20:21], |v14|, 1.0
                                        ; implicit-def: $vgpr15
	s_and_saveexec_b64 s[34:35], s[20:21]
	s_xor_b64 s[20:21], exec, s[34:35]
	s_cbranch_execz .LBB547_25
; %bb.24:                               ;   in Loop: Header=BB547_3 Depth=1
	v_fma_f32 v15, |v14|, s22, v19
	v_fma_f32 v15, |v14|, v15, s23
	;; [unrolled: 1-line block ×6, first 2 shown]
	v_fma_f32 v15, |v14|, v15, |v14|
	v_mul_f32_e32 v21, 0xbfb8aa3b, v15
	v_fma_f32 v22, v15, s28, -v21
	v_rndne_f32_e32 v23, v21
	v_fmac_f32_e32 v22, 0xb2a5705f, v15
	v_sub_f32_e32 v21, v21, v23
	v_add_f32_e32 v21, v21, v22
	v_cvt_i32_f32_e32 v22, v23
	v_exp_f32_e32 v21, v21
	v_cmp_nlt_f32_e32 vcc, s29, v15
	v_ldexp_f32 v21, v21, v22
	s_nop 0
	v_cndmask_b32_e32 v21, 0, v21, vcc
	v_cmp_ngt_f32_e32 vcc, s30, v15
	s_nop 1
	v_cndmask_b32_e32 v15, v20, v21, vcc
	v_sub_f32_e32 v15, 1.0, v15
.LBB547_25:                             ;   in Loop: Header=BB547_3 Depth=1
	s_andn2_saveexec_b64 s[20:21], s[20:21]
; %bb.26:                               ;   in Loop: Header=BB547_3 Depth=1
	v_mul_f32_e32 v15, v14, v14
	v_fmamk_f32 v21, v15, 0xba1345e1, v18
	v_fmaak_f32 v21, v15, v21, 0xbcdac9b8
	v_fmaak_f32 v21, v15, v21, 0x3de703be
	;; [unrolled: 1-line block ×4, first 2 shown]
	v_fma_f32 v15, |v14|, v15, |v14|
; %bb.27:                               ;   in Loop: Header=BB547_3 Depth=1
	s_or_b64 exec, exec, s[20:21]
	v_bfi_b32 v12, s31, v13, v12
	v_mul_f32_e32 v4, 0.5, v4
	v_add_f32_e32 v12, 1.0, v12
	v_mul_f32_e32 v4, v4, v12
	v_bfi_b32 v12, s31, v15, v14
	v_mul_f32_e32 v5, 0.5, v5
	v_add_f32_e32 v12, 1.0, v12
	v_mul_f32_e32 v5, v5, v12
	s_waitcnt vmcnt(0)
	;;#ASMSTART
	v_pk_mul_f32 v[0:1], v[4:5], v[0:1]
	;;#ASMEND
	v_mul_f32_e32 v4, 0x3f3504f3, v6
	v_cmp_nlt_f32_e64 s[20:21], |v4|, 1.0
                                        ; implicit-def: $vgpr5
	s_and_saveexec_b64 s[34:35], s[20:21]
	s_xor_b64 s[20:21], exec, s[34:35]
	s_cbranch_execz .LBB547_29
; %bb.28:                               ;   in Loop: Header=BB547_3 Depth=1
	v_fma_f32 v5, |v4|, s22, v19
	v_fma_f32 v5, |v4|, v5, s23
	;; [unrolled: 1-line block ×6, first 2 shown]
	v_fma_f32 v5, |v4|, v5, |v4|
	v_mul_f32_e32 v12, 0xbfb8aa3b, v5
	v_fma_f32 v13, v5, s28, -v12
	v_rndne_f32_e32 v14, v12
	v_fmac_f32_e32 v13, 0xb2a5705f, v5
	v_sub_f32_e32 v12, v12, v14
	v_add_f32_e32 v12, v12, v13
	v_cvt_i32_f32_e32 v13, v14
	v_exp_f32_e32 v12, v12
	v_cmp_nlt_f32_e32 vcc, s29, v5
	v_ldexp_f32 v12, v12, v13
	s_nop 0
	v_cndmask_b32_e32 v12, 0, v12, vcc
	v_cmp_ngt_f32_e32 vcc, s30, v5
	s_nop 1
	v_cndmask_b32_e32 v5, v20, v12, vcc
	v_sub_f32_e32 v5, 1.0, v5
.LBB547_29:                             ;   in Loop: Header=BB547_3 Depth=1
	s_andn2_saveexec_b64 s[20:21], s[20:21]
; %bb.30:                               ;   in Loop: Header=BB547_3 Depth=1
	v_mul_f32_e32 v5, v4, v4
	v_fmamk_f32 v12, v5, 0xba1345e1, v18
	v_fmaak_f32 v12, v5, v12, 0xbcdac9b8
	v_fmaak_f32 v12, v5, v12, 0x3de703be
	;; [unrolled: 1-line block ×4, first 2 shown]
	v_fma_f32 v5, |v4|, v5, |v4|
; %bb.31:                               ;   in Loop: Header=BB547_3 Depth=1
	s_or_b64 exec, exec, s[20:21]
	v_mul_f32_e32 v12, 0x3f3504f3, v7
	v_cmp_nlt_f32_e64 s[20:21], |v12|, 1.0
                                        ; implicit-def: $vgpr13
	s_and_saveexec_b64 s[34:35], s[20:21]
	s_xor_b64 s[20:21], exec, s[34:35]
	s_cbranch_execz .LBB547_33
; %bb.32:                               ;   in Loop: Header=BB547_3 Depth=1
	v_fma_f32 v13, |v12|, s22, v19
	v_fma_f32 v13, |v12|, v13, s23
	;; [unrolled: 1-line block ×6, first 2 shown]
	v_fma_f32 v13, |v12|, v13, |v12|
	v_mul_f32_e32 v14, 0xbfb8aa3b, v13
	v_fma_f32 v15, v13, s28, -v14
	v_rndne_f32_e32 v21, v14
	v_fmac_f32_e32 v15, 0xb2a5705f, v13
	v_sub_f32_e32 v14, v14, v21
	v_add_f32_e32 v14, v14, v15
	v_cvt_i32_f32_e32 v15, v21
	v_exp_f32_e32 v14, v14
	v_cmp_nlt_f32_e32 vcc, s29, v13
	v_ldexp_f32 v14, v14, v15
	s_nop 0
	v_cndmask_b32_e32 v14, 0, v14, vcc
	v_cmp_ngt_f32_e32 vcc, s30, v13
	s_nop 1
	v_cndmask_b32_e32 v13, v20, v14, vcc
	v_sub_f32_e32 v13, 1.0, v13
.LBB547_33:                             ;   in Loop: Header=BB547_3 Depth=1
	s_andn2_saveexec_b64 s[20:21], s[20:21]
	s_cbranch_execz .LBB547_2
; %bb.34:                               ;   in Loop: Header=BB547_3 Depth=1
	v_mul_f32_e32 v13, v12, v12
	v_fmamk_f32 v14, v13, 0xba1345e1, v18
	v_fmaak_f32 v14, v13, v14, 0xbcdac9b8
	v_fmaak_f32 v14, v13, v14, 0x3de703be
	;; [unrolled: 1-line block ×4, first 2 shown]
	v_fma_f32 v13, |v12|, v13, |v12|
	s_branch .LBB547_2
.LBB547_35:
	s_endpgm
	.section	.rodata,"a",@progbits
	.p2align	6, 0x0
	.amdhsa_kernel _ZN5aiter18act_and_mul_kernelIfDF16_TnPFfRKT_EXadL_ZNS_11gelu_kernelIfEEfS3_EELi8ELb0ELi0EEEvPT0_PS2_if
		.amdhsa_group_segment_fixed_size 0
		.amdhsa_private_segment_fixed_size 0
		.amdhsa_kernarg_size 280
		.amdhsa_user_sgpr_count 2
		.amdhsa_user_sgpr_dispatch_ptr 0
		.amdhsa_user_sgpr_queue_ptr 0
		.amdhsa_user_sgpr_kernarg_segment_ptr 1
		.amdhsa_user_sgpr_dispatch_id 0
		.amdhsa_user_sgpr_kernarg_preload_length 0
		.amdhsa_user_sgpr_kernarg_preload_offset 0
		.amdhsa_user_sgpr_private_segment_size 0
		.amdhsa_uses_dynamic_stack 0
		.amdhsa_enable_private_segment 0
		.amdhsa_system_sgpr_workgroup_id_x 1
		.amdhsa_system_sgpr_workgroup_id_y 0
		.amdhsa_system_sgpr_workgroup_id_z 0
		.amdhsa_system_sgpr_workgroup_info 0
		.amdhsa_system_vgpr_workitem_id 0
		.amdhsa_next_free_vgpr 28
		.amdhsa_next_free_sgpr 36
		.amdhsa_accum_offset 28
		.amdhsa_reserve_vcc 1
		.amdhsa_float_round_mode_32 0
		.amdhsa_float_round_mode_16_64 0
		.amdhsa_float_denorm_mode_32 3
		.amdhsa_float_denorm_mode_16_64 3
		.amdhsa_dx10_clamp 1
		.amdhsa_ieee_mode 1
		.amdhsa_fp16_overflow 0
		.amdhsa_tg_split 0
		.amdhsa_exception_fp_ieee_invalid_op 0
		.amdhsa_exception_fp_denorm_src 0
		.amdhsa_exception_fp_ieee_div_zero 0
		.amdhsa_exception_fp_ieee_overflow 0
		.amdhsa_exception_fp_ieee_underflow 0
		.amdhsa_exception_fp_ieee_inexact 0
		.amdhsa_exception_int_div_zero 0
	.end_amdhsa_kernel
	.section	.text._ZN5aiter18act_and_mul_kernelIfDF16_TnPFfRKT_EXadL_ZNS_11gelu_kernelIfEEfS3_EELi8ELb0ELi0EEEvPT0_PS2_if,"axG",@progbits,_ZN5aiter18act_and_mul_kernelIfDF16_TnPFfRKT_EXadL_ZNS_11gelu_kernelIfEEfS3_EELi8ELb0ELi0EEEvPT0_PS2_if,comdat
.Lfunc_end547:
	.size	_ZN5aiter18act_and_mul_kernelIfDF16_TnPFfRKT_EXadL_ZNS_11gelu_kernelIfEEfS3_EELi8ELb0ELi0EEEvPT0_PS2_if, .Lfunc_end547-_ZN5aiter18act_and_mul_kernelIfDF16_TnPFfRKT_EXadL_ZNS_11gelu_kernelIfEEfS3_EELi8ELb0ELi0EEEvPT0_PS2_if
                                        ; -- End function
	.section	.AMDGPU.csdata,"",@progbits
; Kernel info:
; codeLenInByte = 2456
; NumSgprs: 42
; NumVgprs: 28
; NumAgprs: 0
; TotalNumVgprs: 28
; ScratchSize: 0
; MemoryBound: 0
; FloatMode: 240
; IeeeMode: 1
; LDSByteSize: 0 bytes/workgroup (compile time only)
; SGPRBlocks: 5
; VGPRBlocks: 3
; NumSGPRsForWavesPerEU: 42
; NumVGPRsForWavesPerEU: 28
; AccumOffset: 28
; Occupancy: 8
; WaveLimiterHint : 0
; COMPUTE_PGM_RSRC2:SCRATCH_EN: 0
; COMPUTE_PGM_RSRC2:USER_SGPR: 2
; COMPUTE_PGM_RSRC2:TRAP_HANDLER: 0
; COMPUTE_PGM_RSRC2:TGID_X_EN: 1
; COMPUTE_PGM_RSRC2:TGID_Y_EN: 0
; COMPUTE_PGM_RSRC2:TGID_Z_EN: 0
; COMPUTE_PGM_RSRC2:TIDIG_COMP_CNT: 0
; COMPUTE_PGM_RSRC3_GFX90A:ACCUM_OFFSET: 6
; COMPUTE_PGM_RSRC3_GFX90A:TG_SPLIT: 0
	.section	.text._ZN5aiter18act_and_mul_kernelIfDF16_TnPFfRKT_EXadL_ZNS_11gelu_kernelIfEEfS3_EELi4ELb0ELi0EEEvPT0_PS2_if,"axG",@progbits,_ZN5aiter18act_and_mul_kernelIfDF16_TnPFfRKT_EXadL_ZNS_11gelu_kernelIfEEfS3_EELi4ELb0ELi0EEEvPT0_PS2_if,comdat
	.protected	_ZN5aiter18act_and_mul_kernelIfDF16_TnPFfRKT_EXadL_ZNS_11gelu_kernelIfEEfS3_EELi4ELb0ELi0EEEvPT0_PS2_if ; -- Begin function _ZN5aiter18act_and_mul_kernelIfDF16_TnPFfRKT_EXadL_ZNS_11gelu_kernelIfEEfS3_EELi4ELb0ELi0EEEvPT0_PS2_if
	.globl	_ZN5aiter18act_and_mul_kernelIfDF16_TnPFfRKT_EXadL_ZNS_11gelu_kernelIfEEfS3_EELi4ELb0ELi0EEEvPT0_PS2_if
	.p2align	8
	.type	_ZN5aiter18act_and_mul_kernelIfDF16_TnPFfRKT_EXadL_ZNS_11gelu_kernelIfEEfS3_EELi4ELb0ELi0EEEvPT0_PS2_if,@function
_ZN5aiter18act_and_mul_kernelIfDF16_TnPFfRKT_EXadL_ZNS_11gelu_kernelIfEEfS3_EELi4ELb0ELi0EEEvPT0_PS2_if: ; @_ZN5aiter18act_and_mul_kernelIfDF16_TnPFfRKT_EXadL_ZNS_11gelu_kernelIfEEfS3_EELi4ELb0ELi0EEEvPT0_PS2_if
; %bb.0:
	s_load_dword s16, s[0:1], 0x10
	v_lshlrev_b32_e32 v8, 2, v0
	s_waitcnt lgkmcnt(0)
	v_cmp_gt_i32_e32 vcc, s16, v8
	s_and_saveexec_b64 s[4:5], vcc
	s_cbranch_execz .LBB548_19
; %bb.1:
	s_load_dwordx4 s[12:15], s[0:1], 0x0
	s_ashr_i32 s17, s16, 31
	s_mul_hi_u32 s3, s16, s2
	s_mul_i32 s4, s17, s2
	s_add_i32 s3, s3, s4
	s_mul_i32 s2, s16, s2
	s_lshl_b64 s[10:11], s[2:3], 1
	s_lshl_b64 s[2:3], s[2:3], 3
	s_waitcnt lgkmcnt(0)
	s_add_u32 s4, s14, s2
	s_addc_u32 s5, s15, s3
	s_lshl_b64 s[2:3], s[16:17], 2
	s_add_u32 s8, s4, s2
	s_addc_u32 s2, s5, s3
	s_lshl_b32 s6, s16, 2
	s_and_b32 s5, s5, 0xffff
	s_and_b32 s9, s2, 0xffff
	s_add_u32 s12, s12, s10
	s_addc_u32 s2, s13, s11
	s_add_i32 s3, s16, 1
	s_lshr_b32 s10, s3, 31
	s_add_i32 s3, s3, s10
	s_lshl_b32 s3, s3, 1
	s_and_b32 s14, s3, -4
	s_and_b32 s13, s2, 0xffff
	s_mov_b32 s7, 0x20000
	s_add_u32 s0, s0, 24
	s_mov_b32 s15, s7
	v_mov_b32_e32 v9, 0
	s_addc_u32 s1, s1, 0
	s_mov_b64 s[2:3], 0
	s_mov_b32 s19, 0
	s_mov_b32 s10, s6
	;; [unrolled: 1-line block ×12, first 2 shown]
	v_mov_b32_e32 v10, 0x3ba10414
	s_brev_b32 s31, -2
	v_mov_b32_e32 v11, 0xb9c68948
	v_mov_b32_e32 v12, 0x7f800000
                                        ; implicit-def: $vgpr0
                                        ; implicit-def: $vgpr0
	;; [unrolled: 1-line block ×4, first 2 shown]
	s_branch .LBB548_3
.LBB548_2:                              ;   in Loop: Header=BB548_3 Depth=1
	s_or_b64 exec, exec, s[20:21]
	v_bfi_b32 v4, s31, v5, v4
	v_mul_f32_e32 v6, 0.5, v6
	v_add_f32_e32 v4, 1.0, v4
	v_mul_f32_e32 v4, v6, v4
	v_bfi_b32 v6, s31, v14, v13
	v_mul_f32_e32 v5, 0.5, v7
	v_add_f32_e32 v6, 1.0, v6
	v_mul_f32_e32 v5, v5, v6
	;;#ASMSTART
	v_pk_mul_f32 v[2:3], v[4:5], v[2:3]
	;;#ASMEND
	s_load_dword s18, s[0:1], 0xc
	v_cvt_f16_f32_e32 v2, v2
	v_cvt_f16_f32_e32 v3, v3
	v_cvt_f16_f32_e32 v0, v0
	v_cvt_f16_f32_e32 v4, v1
	s_waitcnt lgkmcnt(0)
	s_and_b32 s18, s18, 0xffff
	s_lshl_b32 s18, s18, 2
	v_pack_b32_f16 v1, v2, v3
	v_lshlrev_b32_e32 v2, 1, v8
	v_lshl_add_u64 v[8:9], s[18:19], 0, v[8:9]
	v_cmp_le_i64_e32 vcc, s[16:17], v[8:9]
	v_pack_b32_f16 v0, v0, v4
	s_or_b64 s[2:3], vcc, s[2:3]
	buffer_store_dwordx2 v[0:1], v2, s[12:15], 0 offen
	s_andn2_b64 exec, exec, s[2:3]
	s_cbranch_execz .LBB548_19
.LBB548_3:                              ; =>This Inner Loop Header: Depth=1
	v_lshlrev_b32_e32 v13, 2, v8
	buffer_load_dwordx4 v[4:7], v13, s[4:7], 0 offen
	buffer_load_dwordx4 v[0:3], v13, s[8:11], 0 offen
                                        ; implicit-def: $vgpr14
	s_waitcnt vmcnt(1)
	v_mul_f32_e32 v13, 0x3f3504f3, v4
	v_cmp_nlt_f32_e64 s[20:21], |v13|, 1.0
	s_and_saveexec_b64 s[34:35], s[20:21]
	s_xor_b64 s[20:21], exec, s[34:35]
	s_cbranch_execz .LBB548_5
; %bb.4:                                ;   in Loop: Header=BB548_3 Depth=1
	v_fma_f32 v14, |v13|, s22, v11
	v_fma_f32 v14, |v13|, v14, s23
	;; [unrolled: 1-line block ×6, first 2 shown]
	v_fma_f32 v14, |v13|, v14, |v13|
	v_mul_f32_e32 v15, 0xbfb8aa3b, v14
	v_fma_f32 v16, v14, s28, -v15
	v_rndne_f32_e32 v17, v15
	v_fmac_f32_e32 v16, 0xb2a5705f, v14
	v_sub_f32_e32 v15, v15, v17
	v_add_f32_e32 v15, v15, v16
	v_cvt_i32_f32_e32 v16, v17
	v_exp_f32_e32 v15, v15
	v_cmp_nlt_f32_e32 vcc, s29, v14
	v_ldexp_f32 v15, v15, v16
	s_nop 0
	v_cndmask_b32_e32 v15, 0, v15, vcc
	v_cmp_ngt_f32_e32 vcc, s30, v14
	s_nop 1
	v_cndmask_b32_e32 v14, v12, v15, vcc
	v_sub_f32_e32 v14, 1.0, v14
.LBB548_5:                              ;   in Loop: Header=BB548_3 Depth=1
	s_andn2_saveexec_b64 s[20:21], s[20:21]
; %bb.6:                                ;   in Loop: Header=BB548_3 Depth=1
	v_mul_f32_e32 v14, v13, v13
	v_fmamk_f32 v15, v14, 0xba1345e1, v10
	v_fmaak_f32 v15, v14, v15, 0xbcdac9b8
	v_fmaak_f32 v15, v14, v15, 0x3de703be
	v_fmaak_f32 v15, v14, v15, 0xbec09330
	v_fmaak_f32 v14, v14, v15, 0x3e0375d0
	v_fma_f32 v14, |v13|, v14, |v13|
; %bb.7:                                ;   in Loop: Header=BB548_3 Depth=1
	s_or_b64 exec, exec, s[20:21]
	v_mul_f32_e32 v15, 0x3f3504f3, v5
	v_cmp_nlt_f32_e64 s[20:21], |v15|, 1.0
                                        ; implicit-def: $vgpr16
	s_and_saveexec_b64 s[34:35], s[20:21]
	s_xor_b64 s[20:21], exec, s[34:35]
	s_cbranch_execz .LBB548_9
; %bb.8:                                ;   in Loop: Header=BB548_3 Depth=1
	v_fma_f32 v16, |v15|, s22, v11
	v_fma_f32 v16, |v15|, v16, s23
	;; [unrolled: 1-line block ×6, first 2 shown]
	v_fma_f32 v16, |v15|, v16, |v15|
	v_mul_f32_e32 v17, 0xbfb8aa3b, v16
	v_fma_f32 v18, v16, s28, -v17
	v_rndne_f32_e32 v19, v17
	v_fmac_f32_e32 v18, 0xb2a5705f, v16
	v_sub_f32_e32 v17, v17, v19
	v_add_f32_e32 v17, v17, v18
	v_cvt_i32_f32_e32 v18, v19
	v_exp_f32_e32 v17, v17
	v_cmp_nlt_f32_e32 vcc, s29, v16
	v_ldexp_f32 v17, v17, v18
	s_nop 0
	v_cndmask_b32_e32 v17, 0, v17, vcc
	v_cmp_ngt_f32_e32 vcc, s30, v16
	s_nop 1
	v_cndmask_b32_e32 v16, v12, v17, vcc
	v_sub_f32_e32 v16, 1.0, v16
.LBB548_9:                              ;   in Loop: Header=BB548_3 Depth=1
	s_andn2_saveexec_b64 s[20:21], s[20:21]
; %bb.10:                               ;   in Loop: Header=BB548_3 Depth=1
	v_mul_f32_e32 v16, v15, v15
	v_fmamk_f32 v17, v16, 0xba1345e1, v10
	v_fmaak_f32 v17, v16, v17, 0xbcdac9b8
	v_fmaak_f32 v17, v16, v17, 0x3de703be
	;; [unrolled: 1-line block ×4, first 2 shown]
	v_fma_f32 v16, |v15|, v16, |v15|
; %bb.11:                               ;   in Loop: Header=BB548_3 Depth=1
	s_or_b64 exec, exec, s[20:21]
	v_bfi_b32 v13, s31, v14, v13
	v_mul_f32_e32 v4, 0.5, v4
	v_add_f32_e32 v13, 1.0, v13
	v_mul_f32_e32 v4, v4, v13
	v_bfi_b32 v13, s31, v16, v15
	v_mul_f32_e32 v5, 0.5, v5
	v_add_f32_e32 v13, 1.0, v13
	v_mul_f32_e32 v5, v5, v13
	s_waitcnt vmcnt(0)
	;;#ASMSTART
	v_pk_mul_f32 v[0:1], v[4:5], v[0:1]
	;;#ASMEND
	v_mul_f32_e32 v4, 0x3f3504f3, v6
	v_cmp_nlt_f32_e64 s[20:21], |v4|, 1.0
                                        ; implicit-def: $vgpr5
	s_and_saveexec_b64 s[34:35], s[20:21]
	s_xor_b64 s[20:21], exec, s[34:35]
	s_cbranch_execz .LBB548_13
; %bb.12:                               ;   in Loop: Header=BB548_3 Depth=1
	v_fma_f32 v5, |v4|, s22, v11
	v_fma_f32 v5, |v4|, v5, s23
	;; [unrolled: 1-line block ×6, first 2 shown]
	v_fma_f32 v5, |v4|, v5, |v4|
	v_mul_f32_e32 v13, 0xbfb8aa3b, v5
	v_fma_f32 v14, v5, s28, -v13
	v_rndne_f32_e32 v15, v13
	v_fmac_f32_e32 v14, 0xb2a5705f, v5
	v_sub_f32_e32 v13, v13, v15
	v_add_f32_e32 v13, v13, v14
	v_cvt_i32_f32_e32 v14, v15
	v_exp_f32_e32 v13, v13
	v_cmp_nlt_f32_e32 vcc, s29, v5
	v_ldexp_f32 v13, v13, v14
	s_nop 0
	v_cndmask_b32_e32 v13, 0, v13, vcc
	v_cmp_ngt_f32_e32 vcc, s30, v5
	s_nop 1
	v_cndmask_b32_e32 v5, v12, v13, vcc
	v_sub_f32_e32 v5, 1.0, v5
.LBB548_13:                             ;   in Loop: Header=BB548_3 Depth=1
	s_andn2_saveexec_b64 s[20:21], s[20:21]
; %bb.14:                               ;   in Loop: Header=BB548_3 Depth=1
	v_mul_f32_e32 v5, v4, v4
	v_fmamk_f32 v13, v5, 0xba1345e1, v10
	v_fmaak_f32 v13, v5, v13, 0xbcdac9b8
	v_fmaak_f32 v13, v5, v13, 0x3de703be
	;; [unrolled: 1-line block ×4, first 2 shown]
	v_fma_f32 v5, |v4|, v5, |v4|
; %bb.15:                               ;   in Loop: Header=BB548_3 Depth=1
	s_or_b64 exec, exec, s[20:21]
	v_mul_f32_e32 v13, 0x3f3504f3, v7
	v_cmp_nlt_f32_e64 s[20:21], |v13|, 1.0
                                        ; implicit-def: $vgpr14
	s_and_saveexec_b64 s[34:35], s[20:21]
	s_xor_b64 s[20:21], exec, s[34:35]
	s_cbranch_execz .LBB548_17
; %bb.16:                               ;   in Loop: Header=BB548_3 Depth=1
	v_fma_f32 v14, |v13|, s22, v11
	v_fma_f32 v14, |v13|, v14, s23
	;; [unrolled: 1-line block ×6, first 2 shown]
	v_fma_f32 v14, |v13|, v14, |v13|
	v_mul_f32_e32 v15, 0xbfb8aa3b, v14
	v_fma_f32 v16, v14, s28, -v15
	v_rndne_f32_e32 v17, v15
	v_fmac_f32_e32 v16, 0xb2a5705f, v14
	v_sub_f32_e32 v15, v15, v17
	v_add_f32_e32 v15, v15, v16
	v_cvt_i32_f32_e32 v16, v17
	v_exp_f32_e32 v15, v15
	v_cmp_nlt_f32_e32 vcc, s29, v14
	v_ldexp_f32 v15, v15, v16
	s_nop 0
	v_cndmask_b32_e32 v15, 0, v15, vcc
	v_cmp_ngt_f32_e32 vcc, s30, v14
	s_nop 1
	v_cndmask_b32_e32 v14, v12, v15, vcc
	v_sub_f32_e32 v14, 1.0, v14
.LBB548_17:                             ;   in Loop: Header=BB548_3 Depth=1
	s_andn2_saveexec_b64 s[20:21], s[20:21]
	s_cbranch_execz .LBB548_2
; %bb.18:                               ;   in Loop: Header=BB548_3 Depth=1
	v_mul_f32_e32 v14, v13, v13
	v_fmamk_f32 v15, v14, 0xba1345e1, v10
	v_fmaak_f32 v15, v14, v15, 0xbcdac9b8
	v_fmaak_f32 v15, v14, v15, 0x3de703be
	;; [unrolled: 1-line block ×4, first 2 shown]
	v_fma_f32 v14, |v13|, v14, |v13|
	s_branch .LBB548_2
.LBB548_19:
	s_endpgm
	.section	.rodata,"a",@progbits
	.p2align	6, 0x0
	.amdhsa_kernel _ZN5aiter18act_and_mul_kernelIfDF16_TnPFfRKT_EXadL_ZNS_11gelu_kernelIfEEfS3_EELi4ELb0ELi0EEEvPT0_PS2_if
		.amdhsa_group_segment_fixed_size 0
		.amdhsa_private_segment_fixed_size 0
		.amdhsa_kernarg_size 280
		.amdhsa_user_sgpr_count 2
		.amdhsa_user_sgpr_dispatch_ptr 0
		.amdhsa_user_sgpr_queue_ptr 0
		.amdhsa_user_sgpr_kernarg_segment_ptr 1
		.amdhsa_user_sgpr_dispatch_id 0
		.amdhsa_user_sgpr_kernarg_preload_length 0
		.amdhsa_user_sgpr_kernarg_preload_offset 0
		.amdhsa_user_sgpr_private_segment_size 0
		.amdhsa_uses_dynamic_stack 0
		.amdhsa_enable_private_segment 0
		.amdhsa_system_sgpr_workgroup_id_x 1
		.amdhsa_system_sgpr_workgroup_id_y 0
		.amdhsa_system_sgpr_workgroup_id_z 0
		.amdhsa_system_sgpr_workgroup_info 0
		.amdhsa_system_vgpr_workitem_id 0
		.amdhsa_next_free_vgpr 20
		.amdhsa_next_free_sgpr 36
		.amdhsa_accum_offset 20
		.amdhsa_reserve_vcc 1
		.amdhsa_float_round_mode_32 0
		.amdhsa_float_round_mode_16_64 0
		.amdhsa_float_denorm_mode_32 3
		.amdhsa_float_denorm_mode_16_64 3
		.amdhsa_dx10_clamp 1
		.amdhsa_ieee_mode 1
		.amdhsa_fp16_overflow 0
		.amdhsa_tg_split 0
		.amdhsa_exception_fp_ieee_invalid_op 0
		.amdhsa_exception_fp_denorm_src 0
		.amdhsa_exception_fp_ieee_div_zero 0
		.amdhsa_exception_fp_ieee_overflow 0
		.amdhsa_exception_fp_ieee_underflow 0
		.amdhsa_exception_fp_ieee_inexact 0
		.amdhsa_exception_int_div_zero 0
	.end_amdhsa_kernel
	.section	.text._ZN5aiter18act_and_mul_kernelIfDF16_TnPFfRKT_EXadL_ZNS_11gelu_kernelIfEEfS3_EELi4ELb0ELi0EEEvPT0_PS2_if,"axG",@progbits,_ZN5aiter18act_and_mul_kernelIfDF16_TnPFfRKT_EXadL_ZNS_11gelu_kernelIfEEfS3_EELi4ELb0ELi0EEEvPT0_PS2_if,comdat
.Lfunc_end548:
	.size	_ZN5aiter18act_and_mul_kernelIfDF16_TnPFfRKT_EXadL_ZNS_11gelu_kernelIfEEfS3_EELi4ELb0ELi0EEEvPT0_PS2_if, .Lfunc_end548-_ZN5aiter18act_and_mul_kernelIfDF16_TnPFfRKT_EXadL_ZNS_11gelu_kernelIfEEfS3_EELi4ELb0ELi0EEEvPT0_PS2_if
                                        ; -- End function
	.section	.AMDGPU.csdata,"",@progbits
; Kernel info:
; codeLenInByte = 1412
; NumSgprs: 42
; NumVgprs: 20
; NumAgprs: 0
; TotalNumVgprs: 20
; ScratchSize: 0
; MemoryBound: 0
; FloatMode: 240
; IeeeMode: 1
; LDSByteSize: 0 bytes/workgroup (compile time only)
; SGPRBlocks: 5
; VGPRBlocks: 2
; NumSGPRsForWavesPerEU: 42
; NumVGPRsForWavesPerEU: 20
; AccumOffset: 20
; Occupancy: 8
; WaveLimiterHint : 0
; COMPUTE_PGM_RSRC2:SCRATCH_EN: 0
; COMPUTE_PGM_RSRC2:USER_SGPR: 2
; COMPUTE_PGM_RSRC2:TRAP_HANDLER: 0
; COMPUTE_PGM_RSRC2:TGID_X_EN: 1
; COMPUTE_PGM_RSRC2:TGID_Y_EN: 0
; COMPUTE_PGM_RSRC2:TGID_Z_EN: 0
; COMPUTE_PGM_RSRC2:TIDIG_COMP_CNT: 0
; COMPUTE_PGM_RSRC3_GFX90A:ACCUM_OFFSET: 4
; COMPUTE_PGM_RSRC3_GFX90A:TG_SPLIT: 0
	.section	.text._ZN5aiter18act_and_mul_kernelIfDF16_TnPFfRKT_EXadL_ZNS_11gelu_kernelIfEEfS3_EELi2ELb0ELi0EEEvPT0_PS2_if,"axG",@progbits,_ZN5aiter18act_and_mul_kernelIfDF16_TnPFfRKT_EXadL_ZNS_11gelu_kernelIfEEfS3_EELi2ELb0ELi0EEEvPT0_PS2_if,comdat
	.protected	_ZN5aiter18act_and_mul_kernelIfDF16_TnPFfRKT_EXadL_ZNS_11gelu_kernelIfEEfS3_EELi2ELb0ELi0EEEvPT0_PS2_if ; -- Begin function _ZN5aiter18act_and_mul_kernelIfDF16_TnPFfRKT_EXadL_ZNS_11gelu_kernelIfEEfS3_EELi2ELb0ELi0EEEvPT0_PS2_if
	.globl	_ZN5aiter18act_and_mul_kernelIfDF16_TnPFfRKT_EXadL_ZNS_11gelu_kernelIfEEfS3_EELi2ELb0ELi0EEEvPT0_PS2_if
	.p2align	8
	.type	_ZN5aiter18act_and_mul_kernelIfDF16_TnPFfRKT_EXadL_ZNS_11gelu_kernelIfEEfS3_EELi2ELb0ELi0EEEvPT0_PS2_if,@function
_ZN5aiter18act_and_mul_kernelIfDF16_TnPFfRKT_EXadL_ZNS_11gelu_kernelIfEEfS3_EELi2ELb0ELi0EEEvPT0_PS2_if: ; @_ZN5aiter18act_and_mul_kernelIfDF16_TnPFfRKT_EXadL_ZNS_11gelu_kernelIfEEfS3_EELi2ELb0ELi0EEEvPT0_PS2_if
; %bb.0:
	s_load_dword s16, s[0:1], 0x10
	v_lshlrev_b32_e32 v0, 1, v0
	s_waitcnt lgkmcnt(0)
	v_cmp_gt_i32_e32 vcc, s16, v0
	s_and_saveexec_b64 s[4:5], vcc
	s_cbranch_execz .LBB549_7
; %bb.1:
	s_load_dwordx4 s[12:15], s[0:1], 0x0
	s_ashr_i32 s17, s16, 31
	s_mul_hi_u32 s3, s16, s2
	s_mul_i32 s4, s17, s2
	s_add_i32 s3, s3, s4
	s_mul_i32 s2, s16, s2
	s_lshl_b64 s[10:11], s[2:3], 1
	s_lshl_b64 s[2:3], s[2:3], 3
	s_waitcnt lgkmcnt(0)
	s_add_u32 s4, s14, s2
	s_addc_u32 s5, s15, s3
	s_lshl_b64 s[2:3], s[16:17], 2
	s_add_u32 s8, s4, s2
	s_addc_u32 s2, s5, s3
	s_lshl_b32 s6, s16, 2
	s_and_b32 s5, s5, 0xffff
	s_and_b32 s9, s2, 0xffff
	s_add_u32 s12, s12, s10
	s_addc_u32 s2, s13, s11
	s_add_i32 s3, s16, 1
	s_lshr_b32 s10, s3, 31
	s_add_i32 s3, s3, s10
	s_lshl_b32 s3, s3, 1
	s_and_b32 s14, s3, -4
	s_and_b32 s13, s2, 0xffff
	s_mov_b32 s7, 0x20000
	s_add_u32 s0, s0, 24
	s_mov_b32 s15, s7
	v_mov_b32_e32 v1, 0
	s_addc_u32 s1, s1, 0
	s_mov_b64 s[2:3], 0
	s_mov_b32 s19, 0
	s_mov_b32 s10, s6
	;; [unrolled: 1-line block ×13, first 2 shown]
	v_mov_b32_e32 v10, 0x3ba10414
	v_mov_b32_e32 v11, 0xb9c68948
	;; [unrolled: 1-line block ×3, first 2 shown]
	s_brev_b32 s33, -2
                                        ; implicit-def: $vgpr2
                                        ; implicit-def: $vgpr2
	;; [unrolled: 1-line block ×4, first 2 shown]
	s_branch .LBB549_3
.LBB549_2:                              ;   in Loop: Header=BB549_3 Depth=1
	s_or_b64 exec, exec, s[22:23]
	v_fma_f32 v8, |v5|, s21, v11
	v_fma_f32 v8, |v5|, v8, s24
	;; [unrolled: 1-line block ×6, first 2 shown]
	v_fma_f32 v8, |v5|, v8, |v5|
	v_mul_f32_e32 v14, 0xbfb8aa3b, v8
	v_fma_f32 v15, v8, s29, -v14
	v_rndne_f32_e32 v16, v14
	v_fmac_f32_e32 v15, 0xb2a5705f, v8
	v_sub_f32_e32 v14, v14, v16
	v_add_f32_e32 v14, v14, v15
	v_exp_f32_e32 v14, v14
	v_cvt_i32_f32_e32 v15, v16
	v_cmp_nlt_f32_e32 vcc, s30, v8
	v_bfi_b32 v4, s33, v13, v4
	v_mul_f32_e32 v7, 0.5, v7
	v_ldexp_f32 v14, v14, v15
	v_cndmask_b32_e32 v14, 0, v14, vcc
	v_cmp_ngt_f32_e32 vcc, s31, v8
	v_mul_f32_e32 v6, 0.5, v6
	s_nop 0
	v_cndmask_b32_e32 v8, v12, v14, vcc
	v_fmamk_f32 v14, v9, 0xba1345e1, v10
	v_fmaak_f32 v14, v9, v14, 0xbcdac9b8
	v_fmaak_f32 v14, v9, v14, 0x3de703be
	;; [unrolled: 1-line block ×4, first 2 shown]
	v_sub_f32_e32 v8, 1.0, v8
	v_fma_f32 v9, |v5|, v9, |v5|
	v_cmp_lt_f32_e64 vcc, |v5|, 1.0
	s_nop 1
	v_cndmask_b32_e32 v8, v8, v9, vcc
	v_bfi_b32 v5, s33, v8, v5
	v_pk_add_f32 v[4:5], v[4:5], 1.0 op_sel_hi:[1,0]
	s_nop 0
	v_pk_mul_f32 v[4:5], v[6:7], v[4:5]
	s_waitcnt vmcnt(0)
	;;#ASMSTART
	v_pk_mul_f32 v[2:3], v[4:5], v[2:3]
	;;#ASMEND
	s_load_dword s18, s[0:1], 0xc
	v_cvt_f16_f32_e32 v2, v2
	v_cvt_f16_f32_e32 v3, v3
	s_waitcnt lgkmcnt(0)
	s_and_b32 s18, s18, 0xffff
	s_lshl_b32 s18, s18, 1
	v_pack_b32_f16 v2, v2, v3
	v_lshlrev_b32_e32 v3, 1, v0
	v_lshl_add_u64 v[0:1], s[18:19], 0, v[0:1]
	v_cmp_le_i64_e32 vcc, s[16:17], v[0:1]
	s_or_b64 s[2:3], vcc, s[2:3]
	buffer_store_dword v2, v3, s[12:15], 0 offen
	s_andn2_b64 exec, exec, s[2:3]
	s_cbranch_execz .LBB549_7
.LBB549_3:                              ; =>This Inner Loop Header: Depth=1
	v_lshlrev_b32_e32 v4, 2, v0
	buffer_load_dwordx2 v[6:7], v4, s[4:7], 0 offen
	buffer_load_dwordx2 v[2:3], v4, s[8:11], 0 offen
                                        ; implicit-def: $vgpr13
	s_waitcnt vmcnt(1)
	v_pk_mul_f32 v[4:5], v[6:7], s[20:21] op_sel_hi:[1,0]
	s_nop 0
	v_cmp_nlt_f32_e64 s[22:23], |v4|, 1.0
	s_and_saveexec_b64 s[34:35], s[22:23]
	s_xor_b64 s[22:23], exec, s[34:35]
	s_cbranch_execz .LBB549_5
; %bb.4:                                ;   in Loop: Header=BB549_3 Depth=1
	v_fma_f32 v8, |v4|, s21, v11
	v_fma_f32 v8, |v4|, v8, s24
	;; [unrolled: 1-line block ×6, first 2 shown]
	v_fma_f32 v8, |v4|, v8, |v4|
	v_mul_f32_e32 v9, 0xbfb8aa3b, v8
	v_fma_f32 v13, v8, s29, -v9
	v_rndne_f32_e32 v14, v9
	v_fmac_f32_e32 v13, 0xb2a5705f, v8
	v_sub_f32_e32 v9, v9, v14
	v_add_f32_e32 v9, v9, v13
	v_cvt_i32_f32_e32 v13, v14
	v_exp_f32_e32 v9, v9
	v_cmp_nlt_f32_e32 vcc, s30, v8
	v_ldexp_f32 v9, v9, v13
	s_nop 0
	v_cndmask_b32_e32 v9, 0, v9, vcc
	v_cmp_ngt_f32_e32 vcc, s31, v8
	s_nop 1
	v_cndmask_b32_e32 v8, v12, v9, vcc
	v_sub_f32_e32 v13, 1.0, v8
.LBB549_5:                              ;   in Loop: Header=BB549_3 Depth=1
	s_or_saveexec_b64 s[22:23], s[22:23]
	v_pk_mul_f32 v[8:9], v[4:5], v[4:5]
	s_xor_b64 exec, exec, s[22:23]
	s_cbranch_execz .LBB549_2
; %bb.6:                                ;   in Loop: Header=BB549_3 Depth=1
	v_fmamk_f32 v13, v8, 0xba1345e1, v10
	v_fmaak_f32 v13, v8, v13, 0xbcdac9b8
	v_fmaak_f32 v13, v8, v13, 0x3de703be
	;; [unrolled: 1-line block ×4, first 2 shown]
	v_fma_f32 v13, |v4|, v8, |v4|
	s_branch .LBB549_2
.LBB549_7:
	s_endpgm
	.section	.rodata,"a",@progbits
	.p2align	6, 0x0
	.amdhsa_kernel _ZN5aiter18act_and_mul_kernelIfDF16_TnPFfRKT_EXadL_ZNS_11gelu_kernelIfEEfS3_EELi2ELb0ELi0EEEvPT0_PS2_if
		.amdhsa_group_segment_fixed_size 0
		.amdhsa_private_segment_fixed_size 0
		.amdhsa_kernarg_size 280
		.amdhsa_user_sgpr_count 2
		.amdhsa_user_sgpr_dispatch_ptr 0
		.amdhsa_user_sgpr_queue_ptr 0
		.amdhsa_user_sgpr_kernarg_segment_ptr 1
		.amdhsa_user_sgpr_dispatch_id 0
		.amdhsa_user_sgpr_kernarg_preload_length 0
		.amdhsa_user_sgpr_kernarg_preload_offset 0
		.amdhsa_user_sgpr_private_segment_size 0
		.amdhsa_uses_dynamic_stack 0
		.amdhsa_enable_private_segment 0
		.amdhsa_system_sgpr_workgroup_id_x 1
		.amdhsa_system_sgpr_workgroup_id_y 0
		.amdhsa_system_sgpr_workgroup_id_z 0
		.amdhsa_system_sgpr_workgroup_info 0
		.amdhsa_system_vgpr_workitem_id 0
		.amdhsa_next_free_vgpr 17
		.amdhsa_next_free_sgpr 36
		.amdhsa_accum_offset 20
		.amdhsa_reserve_vcc 1
		.amdhsa_float_round_mode_32 0
		.amdhsa_float_round_mode_16_64 0
		.amdhsa_float_denorm_mode_32 3
		.amdhsa_float_denorm_mode_16_64 3
		.amdhsa_dx10_clamp 1
		.amdhsa_ieee_mode 1
		.amdhsa_fp16_overflow 0
		.amdhsa_tg_split 0
		.amdhsa_exception_fp_ieee_invalid_op 0
		.amdhsa_exception_fp_denorm_src 0
		.amdhsa_exception_fp_ieee_div_zero 0
		.amdhsa_exception_fp_ieee_overflow 0
		.amdhsa_exception_fp_ieee_underflow 0
		.amdhsa_exception_fp_ieee_inexact 0
		.amdhsa_exception_int_div_zero 0
	.end_amdhsa_kernel
	.section	.text._ZN5aiter18act_and_mul_kernelIfDF16_TnPFfRKT_EXadL_ZNS_11gelu_kernelIfEEfS3_EELi2ELb0ELi0EEEvPT0_PS2_if,"axG",@progbits,_ZN5aiter18act_and_mul_kernelIfDF16_TnPFfRKT_EXadL_ZNS_11gelu_kernelIfEEfS3_EELi2ELb0ELi0EEEvPT0_PS2_if,comdat
.Lfunc_end549:
	.size	_ZN5aiter18act_and_mul_kernelIfDF16_TnPFfRKT_EXadL_ZNS_11gelu_kernelIfEEfS3_EELi2ELb0ELi0EEEvPT0_PS2_if, .Lfunc_end549-_ZN5aiter18act_and_mul_kernelIfDF16_TnPFfRKT_EXadL_ZNS_11gelu_kernelIfEEfS3_EELi2ELb0ELi0EEEvPT0_PS2_if
                                        ; -- End function
	.section	.AMDGPU.csdata,"",@progbits
; Kernel info:
; codeLenInByte = 896
; NumSgprs: 42
; NumVgprs: 17
; NumAgprs: 0
; TotalNumVgprs: 17
; ScratchSize: 0
; MemoryBound: 0
; FloatMode: 240
; IeeeMode: 1
; LDSByteSize: 0 bytes/workgroup (compile time only)
; SGPRBlocks: 5
; VGPRBlocks: 2
; NumSGPRsForWavesPerEU: 42
; NumVGPRsForWavesPerEU: 17
; AccumOffset: 20
; Occupancy: 8
; WaveLimiterHint : 0
; COMPUTE_PGM_RSRC2:SCRATCH_EN: 0
; COMPUTE_PGM_RSRC2:USER_SGPR: 2
; COMPUTE_PGM_RSRC2:TRAP_HANDLER: 0
; COMPUTE_PGM_RSRC2:TGID_X_EN: 1
; COMPUTE_PGM_RSRC2:TGID_Y_EN: 0
; COMPUTE_PGM_RSRC2:TGID_Z_EN: 0
; COMPUTE_PGM_RSRC2:TIDIG_COMP_CNT: 0
; COMPUTE_PGM_RSRC3_GFX90A:ACCUM_OFFSET: 4
; COMPUTE_PGM_RSRC3_GFX90A:TG_SPLIT: 0
	.section	.text._ZN5aiter18act_and_mul_kernelIfDF16_TnPFfRKT_EXadL_ZNS_11gelu_kernelIfEEfS3_EELi1ELb0ELi0EEEvPT0_PS2_if,"axG",@progbits,_ZN5aiter18act_and_mul_kernelIfDF16_TnPFfRKT_EXadL_ZNS_11gelu_kernelIfEEfS3_EELi1ELb0ELi0EEEvPT0_PS2_if,comdat
	.protected	_ZN5aiter18act_and_mul_kernelIfDF16_TnPFfRKT_EXadL_ZNS_11gelu_kernelIfEEfS3_EELi1ELb0ELi0EEEvPT0_PS2_if ; -- Begin function _ZN5aiter18act_and_mul_kernelIfDF16_TnPFfRKT_EXadL_ZNS_11gelu_kernelIfEEfS3_EELi1ELb0ELi0EEEvPT0_PS2_if
	.globl	_ZN5aiter18act_and_mul_kernelIfDF16_TnPFfRKT_EXadL_ZNS_11gelu_kernelIfEEfS3_EELi1ELb0ELi0EEEvPT0_PS2_if
	.p2align	8
	.type	_ZN5aiter18act_and_mul_kernelIfDF16_TnPFfRKT_EXadL_ZNS_11gelu_kernelIfEEfS3_EELi1ELb0ELi0EEEvPT0_PS2_if,@function
_ZN5aiter18act_and_mul_kernelIfDF16_TnPFfRKT_EXadL_ZNS_11gelu_kernelIfEEfS3_EELi1ELb0ELi0EEEvPT0_PS2_if: ; @_ZN5aiter18act_and_mul_kernelIfDF16_TnPFfRKT_EXadL_ZNS_11gelu_kernelIfEEfS3_EELi1ELb0ELi0EEEvPT0_PS2_if
; %bb.0:
	s_load_dword s12, s[0:1], 0x10
	s_waitcnt lgkmcnt(0)
	v_cmp_gt_i32_e32 vcc, s12, v0
	s_and_saveexec_b64 s[4:5], vcc
	s_cbranch_execz .LBB550_7
; %bb.1:
	s_load_dwordx4 s[8:11], s[0:1], 0x0
	s_load_dword s14, s[0:1], 0x24
	s_ashr_i32 s13, s12, 31
	s_mul_hi_u32 s3, s12, s2
	s_mul_i32 s4, s13, s2
	s_add_i32 s3, s3, s4
	s_mul_i32 s2, s12, s2
	s_lshl_b64 s[6:7], s[2:3], 1
	s_lshl_b64 s[2:3], s[2:3], 3
	s_waitcnt lgkmcnt(0)
	s_add_u32 s0, s10, s2
	s_addc_u32 s1, s11, s3
	s_lshl_b64 s[2:3], s[12:13], 2
	s_add_u32 s4, s0, s2
	s_addc_u32 s5, s1, s3
	s_lshl_b32 s2, s12, 2
	s_and_b32 s1, s1, 0xffff
	s_and_b32 s5, s5, 0xffff
	s_add_u32 s8, s8, s6
	s_addc_u32 s6, s9, s7
	s_add_i32 s7, s12, 1
	s_lshr_b32 s9, s7, 31
	s_add_i32 s7, s7, s9
	s_mov_b32 s3, 0x20000
	s_lshl_b32 s7, s7, 1
	s_and_b32 s14, s14, 0xffff
                                        ; implicit-def: $vgpr5
                                        ; implicit-def: $vgpr5
                                        ; implicit-def: $vgpr5
                                        ; implicit-def: $vgpr5
	s_and_b32 s10, s7, -4
	s_and_b32 s9, s6, 0xffff
	s_mov_b32 s11, s3
	s_mov_b32 s15, 0
	v_mov_b32_e32 v1, 0
	v_lshlrev_b32_e32 v2, 1, v0
	s_lshl_b32 s20, s14, 1
	v_lshlrev_b32_e32 v3, 2, v0
	s_lshl_b32 s21, s14, 2
	s_mov_b64 s[16:17], 0
	s_mov_b32 s6, s2
	s_mov_b32 s7, s3
	;; [unrolled: 1-line block ×11, first 2 shown]
	v_mov_b32_e32 v4, 0x3ba10414
	s_brev_b32 s31, -2
	v_mov_b32_e32 v5, 0xb9c68948
	v_mov_b32_e32 v6, 0x7f800000
	s_branch .LBB550_3
.LBB550_2:                              ;   in Loop: Header=BB550_3 Depth=1
	s_or_b64 exec, exec, s[18:19]
	v_bfi_b32 v9, s31, v10, v9
	v_mul_f32_e32 v8, 0.5, v8
	v_add_f32_e32 v9, 1.0, v9
	v_mul_f32_e32 v8, v8, v9
	v_lshl_add_u64 v[0:1], v[0:1], 0, s[14:15]
	s_waitcnt vmcnt(0)
	v_fma_mixlo_f16 v7, v8, v7, 0
	v_cmp_le_i64_e32 vcc, s[12:13], v[0:1]
	buffer_store_short v7, v2, s[8:11], 0 offen
	v_add_u32_e32 v2, s20, v2
	s_or_b64 s[16:17], vcc, s[16:17]
	v_add_u32_e32 v3, s21, v3
	s_andn2_b64 exec, exec, s[16:17]
	s_cbranch_execz .LBB550_7
.LBB550_3:                              ; =>This Inner Loop Header: Depth=1
	buffer_load_dword v8, v3, s[0:3], 0 offen
	buffer_load_dword v7, v3, s[4:7], 0 offen
                                        ; implicit-def: $vgpr10
	s_waitcnt vmcnt(1)
	v_mul_f32_e32 v9, 0x3f3504f3, v8
	v_cmp_nlt_f32_e64 s[18:19], |v9|, 1.0
	s_and_saveexec_b64 s[34:35], s[18:19]
	s_xor_b64 s[18:19], exec, s[34:35]
	s_cbranch_execz .LBB550_5
; %bb.4:                                ;   in Loop: Header=BB550_3 Depth=1
	v_fma_f32 v10, |v9|, s22, v5
	v_fma_f32 v10, |v9|, v10, s23
	;; [unrolled: 1-line block ×6, first 2 shown]
	v_fma_f32 v10, |v9|, v10, |v9|
	v_mul_f32_e32 v11, 0xbfb8aa3b, v10
	v_fma_f32 v12, v10, s28, -v11
	v_rndne_f32_e32 v13, v11
	v_fmac_f32_e32 v12, 0xb2a5705f, v10
	v_sub_f32_e32 v11, v11, v13
	v_add_f32_e32 v11, v11, v12
	v_cvt_i32_f32_e32 v12, v13
	v_exp_f32_e32 v11, v11
	v_cmp_nlt_f32_e32 vcc, s29, v10
	v_ldexp_f32 v11, v11, v12
	s_nop 0
	v_cndmask_b32_e32 v11, 0, v11, vcc
	v_cmp_ngt_f32_e32 vcc, s30, v10
	s_nop 1
	v_cndmask_b32_e32 v10, v6, v11, vcc
	v_sub_f32_e32 v10, 1.0, v10
.LBB550_5:                              ;   in Loop: Header=BB550_3 Depth=1
	s_andn2_saveexec_b64 s[18:19], s[18:19]
	s_cbranch_execz .LBB550_2
; %bb.6:                                ;   in Loop: Header=BB550_3 Depth=1
	v_mul_f32_e32 v10, v9, v9
	v_fmamk_f32 v11, v10, 0xba1345e1, v4
	v_fmaak_f32 v11, v10, v11, 0xbcdac9b8
	v_fmaak_f32 v11, v10, v11, 0x3de703be
	;; [unrolled: 1-line block ×4, first 2 shown]
	v_fma_f32 v10, |v9|, v10, |v9|
	s_branch .LBB550_2
.LBB550_7:
	s_endpgm
	.section	.rodata,"a",@progbits
	.p2align	6, 0x0
	.amdhsa_kernel _ZN5aiter18act_and_mul_kernelIfDF16_TnPFfRKT_EXadL_ZNS_11gelu_kernelIfEEfS3_EELi1ELb0ELi0EEEvPT0_PS2_if
		.amdhsa_group_segment_fixed_size 0
		.amdhsa_private_segment_fixed_size 0
		.amdhsa_kernarg_size 280
		.amdhsa_user_sgpr_count 2
		.amdhsa_user_sgpr_dispatch_ptr 0
		.amdhsa_user_sgpr_queue_ptr 0
		.amdhsa_user_sgpr_kernarg_segment_ptr 1
		.amdhsa_user_sgpr_dispatch_id 0
		.amdhsa_user_sgpr_kernarg_preload_length 0
		.amdhsa_user_sgpr_kernarg_preload_offset 0
		.amdhsa_user_sgpr_private_segment_size 0
		.amdhsa_uses_dynamic_stack 0
		.amdhsa_enable_private_segment 0
		.amdhsa_system_sgpr_workgroup_id_x 1
		.amdhsa_system_sgpr_workgroup_id_y 0
		.amdhsa_system_sgpr_workgroup_id_z 0
		.amdhsa_system_sgpr_workgroup_info 0
		.amdhsa_system_vgpr_workitem_id 0
		.amdhsa_next_free_vgpr 14
		.amdhsa_next_free_sgpr 36
		.amdhsa_accum_offset 16
		.amdhsa_reserve_vcc 1
		.amdhsa_float_round_mode_32 0
		.amdhsa_float_round_mode_16_64 0
		.amdhsa_float_denorm_mode_32 3
		.amdhsa_float_denorm_mode_16_64 3
		.amdhsa_dx10_clamp 1
		.amdhsa_ieee_mode 1
		.amdhsa_fp16_overflow 0
		.amdhsa_tg_split 0
		.amdhsa_exception_fp_ieee_invalid_op 0
		.amdhsa_exception_fp_denorm_src 0
		.amdhsa_exception_fp_ieee_div_zero 0
		.amdhsa_exception_fp_ieee_overflow 0
		.amdhsa_exception_fp_ieee_underflow 0
		.amdhsa_exception_fp_ieee_inexact 0
		.amdhsa_exception_int_div_zero 0
	.end_amdhsa_kernel
	.section	.text._ZN5aiter18act_and_mul_kernelIfDF16_TnPFfRKT_EXadL_ZNS_11gelu_kernelIfEEfS3_EELi1ELb0ELi0EEEvPT0_PS2_if,"axG",@progbits,_ZN5aiter18act_and_mul_kernelIfDF16_TnPFfRKT_EXadL_ZNS_11gelu_kernelIfEEfS3_EELi1ELb0ELi0EEEvPT0_PS2_if,comdat
.Lfunc_end550:
	.size	_ZN5aiter18act_and_mul_kernelIfDF16_TnPFfRKT_EXadL_ZNS_11gelu_kernelIfEEfS3_EELi1ELb0ELi0EEEvPT0_PS2_if, .Lfunc_end550-_ZN5aiter18act_and_mul_kernelIfDF16_TnPFfRKT_EXadL_ZNS_11gelu_kernelIfEEfS3_EELi1ELb0ELi0EEEvPT0_PS2_if
                                        ; -- End function
	.section	.AMDGPU.csdata,"",@progbits
; Kernel info:
; codeLenInByte = 636
; NumSgprs: 42
; NumVgprs: 14
; NumAgprs: 0
; TotalNumVgprs: 14
; ScratchSize: 0
; MemoryBound: 0
; FloatMode: 240
; IeeeMode: 1
; LDSByteSize: 0 bytes/workgroup (compile time only)
; SGPRBlocks: 5
; VGPRBlocks: 1
; NumSGPRsForWavesPerEU: 42
; NumVGPRsForWavesPerEU: 14
; AccumOffset: 16
; Occupancy: 8
; WaveLimiterHint : 0
; COMPUTE_PGM_RSRC2:SCRATCH_EN: 0
; COMPUTE_PGM_RSRC2:USER_SGPR: 2
; COMPUTE_PGM_RSRC2:TRAP_HANDLER: 0
; COMPUTE_PGM_RSRC2:TGID_X_EN: 1
; COMPUTE_PGM_RSRC2:TGID_Y_EN: 0
; COMPUTE_PGM_RSRC2:TGID_Z_EN: 0
; COMPUTE_PGM_RSRC2:TIDIG_COMP_CNT: 0
; COMPUTE_PGM_RSRC3_GFX90A:ACCUM_OFFSET: 3
; COMPUTE_PGM_RSRC3_GFX90A:TG_SPLIT: 0
	.section	.text._ZN5aiter18act_and_mul_kernelIffTnPFfRKT_EXadL_ZNS_11gelu_kernelIfEEfS3_EELi16ELb0ELi0EEEvPT0_PS2_if,"axG",@progbits,_ZN5aiter18act_and_mul_kernelIffTnPFfRKT_EXadL_ZNS_11gelu_kernelIfEEfS3_EELi16ELb0ELi0EEEvPT0_PS2_if,comdat
	.protected	_ZN5aiter18act_and_mul_kernelIffTnPFfRKT_EXadL_ZNS_11gelu_kernelIfEEfS3_EELi16ELb0ELi0EEEvPT0_PS2_if ; -- Begin function _ZN5aiter18act_and_mul_kernelIffTnPFfRKT_EXadL_ZNS_11gelu_kernelIfEEfS3_EELi16ELb0ELi0EEEvPT0_PS2_if
	.globl	_ZN5aiter18act_and_mul_kernelIffTnPFfRKT_EXadL_ZNS_11gelu_kernelIfEEfS3_EELi16ELb0ELi0EEEvPT0_PS2_if
	.p2align	8
	.type	_ZN5aiter18act_and_mul_kernelIffTnPFfRKT_EXadL_ZNS_11gelu_kernelIfEEfS3_EELi16ELb0ELi0EEEvPT0_PS2_if,@function
_ZN5aiter18act_and_mul_kernelIffTnPFfRKT_EXadL_ZNS_11gelu_kernelIfEEfS3_EELi16ELb0ELi0EEEvPT0_PS2_if: ; @_ZN5aiter18act_and_mul_kernelIffTnPFfRKT_EXadL_ZNS_11gelu_kernelIfEEfS3_EELi16ELb0ELi0EEEvPT0_PS2_if
; %bb.0:
	s_load_dword s16, s[0:1], 0x10
	v_lshlrev_b32_e32 v32, 4, v0
	s_waitcnt lgkmcnt(0)
	v_cmp_gt_i32_e32 vcc, s16, v32
	s_and_saveexec_b64 s[4:5], vcc
	s_cbranch_execz .LBB551_67
; %bb.1:
	s_load_dwordx4 s[12:15], s[0:1], 0x0
	s_ashr_i32 s17, s16, 31
	s_mul_hi_u32 s3, s16, s2
	s_mul_i32 s4, s17, s2
	s_add_i32 s3, s3, s4
	s_mul_i32 s2, s16, s2
	s_lshl_b64 s[4:5], s[2:3], 3
	s_waitcnt lgkmcnt(0)
	s_add_u32 s4, s14, s4
	s_addc_u32 s5, s15, s5
	s_lshl_b64 s[6:7], s[16:17], 2
	s_add_u32 s8, s4, s6
	s_addc_u32 s9, s5, s7
	s_lshl_b32 s6, s16, 2
	s_and_b32 s5, s5, 0xffff
	s_and_b32 s9, s9, 0xffff
	s_lshl_b64 s[2:3], s[2:3], 2
	s_add_u32 s12, s12, s2
	s_addc_u32 s2, s13, s3
	s_and_b32 s13, s2, 0xffff
	s_mov_b32 s7, 0x20000
	s_add_u32 s0, s0, 24
	v_mov_b32_e32 v33, 0
	s_addc_u32 s1, s1, 0
	s_mov_b64 s[2:3], 0
	s_mov_b32 s19, 0
	s_mov_b32 s10, s6
	;; [unrolled: 1-line block ×12, first 2 shown]
	v_mov_b32_e32 v34, 0x3ba10414
	s_brev_b32 s31, -2
	v_mov_b32_e32 v35, 0xb9c68948
	v_mov_b32_e32 v36, 0x7f800000
	s_mov_b32 s14, s6
	s_mov_b32 s15, s7
                                        ; implicit-def: $vgpr0
                                        ; implicit-def: $vgpr0
	;; [unrolled: 1-line block ×4, first 2 shown]
	s_branch .LBB551_3
.LBB551_2:                              ;   in Loop: Header=BB551_3 Depth=1
	s_or_b64 exec, exec, s[20:21]
	v_bfi_b32 v4, s31, v5, v4
	v_mul_f32_e32 v6, 0.5, v6
	v_add_f32_e32 v4, 1.0, v4
	v_mul_f32_e32 v4, v6, v4
	v_bfi_b32 v6, s31, v17, v16
	v_mul_f32_e32 v5, 0.5, v7
	v_add_f32_e32 v6, 1.0, v6
	v_mul_f32_e32 v5, v5, v6
	;;#ASMSTART
	v_pk_mul_f32 v[2:3], v[4:5], v[2:3]
	;;#ASMEND
	s_load_dword s18, s[0:1], 0xc
	buffer_store_dwordx4 v[8:11], v37, s[12:15], 0 offen
	buffer_store_dwordx4 v[20:23], v37, s[12:15], 16 offen
	;; [unrolled: 1-line block ×4, first 2 shown]
	s_waitcnt lgkmcnt(0)
	s_and_b32 s18, s18, 0xffff
	s_lshl_b32 s18, s18, 4
	v_lshl_add_u64 v[32:33], s[18:19], 0, v[32:33]
	v_cmp_le_i64_e32 vcc, s[16:17], v[32:33]
	s_or_b64 s[2:3], vcc, s[2:3]
	s_andn2_b64 exec, exec, s[2:3]
	s_cbranch_execz .LBB551_67
.LBB551_3:                              ; =>This Inner Loop Header: Depth=1
	v_lshlrev_b32_e32 v37, 2, v32
	buffer_load_dwordx4 v[28:31], v37, s[4:7], 0 offen
	buffer_load_dwordx4 v[24:27], v37, s[4:7], 16 offen
	;; [unrolled: 1-line block ×8, first 2 shown]
                                        ; implicit-def: $vgpr39
	s_waitcnt vmcnt(7)
	v_mul_f32_e32 v38, 0x3f3504f3, v28
	v_cmp_nlt_f32_e64 s[20:21], |v38|, 1.0
	s_and_saveexec_b64 s[34:35], s[20:21]
	s_xor_b64 s[20:21], exec, s[34:35]
	s_cbranch_execz .LBB551_5
; %bb.4:                                ;   in Loop: Header=BB551_3 Depth=1
	v_fma_f32 v39, |v38|, s22, v35
	v_fma_f32 v39, |v38|, v39, s23
	;; [unrolled: 1-line block ×6, first 2 shown]
	v_fma_f32 v39, |v38|, v39, |v38|
	v_mul_f32_e32 v40, 0xbfb8aa3b, v39
	v_fma_f32 v41, v39, s28, -v40
	v_rndne_f32_e32 v42, v40
	v_fmac_f32_e32 v41, 0xb2a5705f, v39
	v_sub_f32_e32 v40, v40, v42
	v_add_f32_e32 v40, v40, v41
	v_cvt_i32_f32_e32 v41, v42
	v_exp_f32_e32 v40, v40
	v_cmp_nlt_f32_e32 vcc, s29, v39
	v_ldexp_f32 v40, v40, v41
	s_nop 0
	v_cndmask_b32_e32 v40, 0, v40, vcc
	v_cmp_ngt_f32_e32 vcc, s30, v39
	s_nop 1
	v_cndmask_b32_e32 v39, v36, v40, vcc
	v_sub_f32_e32 v39, 1.0, v39
.LBB551_5:                              ;   in Loop: Header=BB551_3 Depth=1
	s_andn2_saveexec_b64 s[20:21], s[20:21]
; %bb.6:                                ;   in Loop: Header=BB551_3 Depth=1
	v_mul_f32_e32 v39, v38, v38
	v_fmamk_f32 v40, v39, 0xba1345e1, v34
	v_fmaak_f32 v40, v39, v40, 0xbcdac9b8
	v_fmaak_f32 v40, v39, v40, 0x3de703be
	;; [unrolled: 1-line block ×4, first 2 shown]
	v_fma_f32 v39, |v38|, v39, |v38|
; %bb.7:                                ;   in Loop: Header=BB551_3 Depth=1
	s_or_b64 exec, exec, s[20:21]
	v_mul_f32_e32 v40, 0x3f3504f3, v29
	v_cmp_nlt_f32_e64 s[20:21], |v40|, 1.0
                                        ; implicit-def: $vgpr41
	s_and_saveexec_b64 s[34:35], s[20:21]
	s_xor_b64 s[20:21], exec, s[34:35]
	s_cbranch_execz .LBB551_9
; %bb.8:                                ;   in Loop: Header=BB551_3 Depth=1
	v_fma_f32 v41, |v40|, s22, v35
	v_fma_f32 v41, |v40|, v41, s23
	;; [unrolled: 1-line block ×6, first 2 shown]
	v_fma_f32 v41, |v40|, v41, |v40|
	v_mul_f32_e32 v42, 0xbfb8aa3b, v41
	v_fma_f32 v43, v41, s28, -v42
	v_rndne_f32_e32 v44, v42
	v_fmac_f32_e32 v43, 0xb2a5705f, v41
	v_sub_f32_e32 v42, v42, v44
	v_add_f32_e32 v42, v42, v43
	v_cvt_i32_f32_e32 v43, v44
	v_exp_f32_e32 v42, v42
	v_cmp_nlt_f32_e32 vcc, s29, v41
	v_ldexp_f32 v42, v42, v43
	s_nop 0
	v_cndmask_b32_e32 v42, 0, v42, vcc
	v_cmp_ngt_f32_e32 vcc, s30, v41
	s_nop 1
	v_cndmask_b32_e32 v41, v36, v42, vcc
	v_sub_f32_e32 v41, 1.0, v41
.LBB551_9:                              ;   in Loop: Header=BB551_3 Depth=1
	s_andn2_saveexec_b64 s[20:21], s[20:21]
; %bb.10:                               ;   in Loop: Header=BB551_3 Depth=1
	v_mul_f32_e32 v41, v40, v40
	v_fmamk_f32 v42, v41, 0xba1345e1, v34
	v_fmaak_f32 v42, v41, v42, 0xbcdac9b8
	v_fmaak_f32 v42, v41, v42, 0x3de703be
	;; [unrolled: 1-line block ×4, first 2 shown]
	v_fma_f32 v41, |v40|, v41, |v40|
; %bb.11:                               ;   in Loop: Header=BB551_3 Depth=1
	s_or_b64 exec, exec, s[20:21]
	v_bfi_b32 v38, s31, v39, v38
	v_mul_f32_e32 v28, 0.5, v28
	v_add_f32_e32 v38, 1.0, v38
	v_mul_f32_e32 v28, v28, v38
	v_bfi_b32 v38, s31, v41, v40
	v_mul_f32_e32 v29, 0.5, v29
	v_add_f32_e32 v38, 1.0, v38
	v_mul_f32_e32 v29, v29, v38
	s_waitcnt vmcnt(3)
	;;#ASMSTART
	v_pk_mul_f32 v[8:9], v[28:29], v[8:9]
	;;#ASMEND
	v_mul_f32_e32 v28, 0x3f3504f3, v30
	v_cmp_nlt_f32_e64 s[20:21], |v28|, 1.0
                                        ; implicit-def: $vgpr29
	s_and_saveexec_b64 s[34:35], s[20:21]
	s_xor_b64 s[20:21], exec, s[34:35]
	s_cbranch_execz .LBB551_13
; %bb.12:                               ;   in Loop: Header=BB551_3 Depth=1
	v_fma_f32 v29, |v28|, s22, v35
	v_fma_f32 v29, |v28|, v29, s23
	;; [unrolled: 1-line block ×6, first 2 shown]
	v_fma_f32 v29, |v28|, v29, |v28|
	v_mul_f32_e32 v38, 0xbfb8aa3b, v29
	v_fma_f32 v39, v29, s28, -v38
	v_rndne_f32_e32 v40, v38
	v_fmac_f32_e32 v39, 0xb2a5705f, v29
	v_sub_f32_e32 v38, v38, v40
	v_add_f32_e32 v38, v38, v39
	v_cvt_i32_f32_e32 v39, v40
	v_exp_f32_e32 v38, v38
	v_cmp_nlt_f32_e32 vcc, s29, v29
	v_ldexp_f32 v38, v38, v39
	s_nop 0
	v_cndmask_b32_e32 v38, 0, v38, vcc
	v_cmp_ngt_f32_e32 vcc, s30, v29
	s_nop 1
	v_cndmask_b32_e32 v29, v36, v38, vcc
	v_sub_f32_e32 v29, 1.0, v29
.LBB551_13:                             ;   in Loop: Header=BB551_3 Depth=1
	s_andn2_saveexec_b64 s[20:21], s[20:21]
; %bb.14:                               ;   in Loop: Header=BB551_3 Depth=1
	v_mul_f32_e32 v29, v28, v28
	v_fmamk_f32 v38, v29, 0xba1345e1, v34
	v_fmaak_f32 v38, v29, v38, 0xbcdac9b8
	v_fmaak_f32 v38, v29, v38, 0x3de703be
	;; [unrolled: 1-line block ×4, first 2 shown]
	v_fma_f32 v29, |v28|, v29, |v28|
; %bb.15:                               ;   in Loop: Header=BB551_3 Depth=1
	s_or_b64 exec, exec, s[20:21]
	v_mul_f32_e32 v38, 0x3f3504f3, v31
	v_cmp_nlt_f32_e64 s[20:21], |v38|, 1.0
                                        ; implicit-def: $vgpr39
	s_and_saveexec_b64 s[34:35], s[20:21]
	s_xor_b64 s[20:21], exec, s[34:35]
	s_cbranch_execz .LBB551_17
; %bb.16:                               ;   in Loop: Header=BB551_3 Depth=1
	v_fma_f32 v39, |v38|, s22, v35
	v_fma_f32 v39, |v38|, v39, s23
	;; [unrolled: 1-line block ×6, first 2 shown]
	v_fma_f32 v39, |v38|, v39, |v38|
	v_mul_f32_e32 v40, 0xbfb8aa3b, v39
	v_fma_f32 v41, v39, s28, -v40
	v_rndne_f32_e32 v42, v40
	v_fmac_f32_e32 v41, 0xb2a5705f, v39
	v_sub_f32_e32 v40, v40, v42
	v_add_f32_e32 v40, v40, v41
	v_cvt_i32_f32_e32 v41, v42
	v_exp_f32_e32 v40, v40
	v_cmp_nlt_f32_e32 vcc, s29, v39
	v_ldexp_f32 v40, v40, v41
	s_nop 0
	v_cndmask_b32_e32 v40, 0, v40, vcc
	v_cmp_ngt_f32_e32 vcc, s30, v39
	s_nop 1
	v_cndmask_b32_e32 v39, v36, v40, vcc
	v_sub_f32_e32 v39, 1.0, v39
.LBB551_17:                             ;   in Loop: Header=BB551_3 Depth=1
	s_andn2_saveexec_b64 s[20:21], s[20:21]
; %bb.18:                               ;   in Loop: Header=BB551_3 Depth=1
	v_mul_f32_e32 v39, v38, v38
	v_fmamk_f32 v40, v39, 0xba1345e1, v34
	v_fmaak_f32 v40, v39, v40, 0xbcdac9b8
	v_fmaak_f32 v40, v39, v40, 0x3de703be
	;; [unrolled: 1-line block ×4, first 2 shown]
	v_fma_f32 v39, |v38|, v39, |v38|
; %bb.19:                               ;   in Loop: Header=BB551_3 Depth=1
	s_or_b64 exec, exec, s[20:21]
	v_bfi_b32 v28, s31, v29, v28
	v_mul_f32_e32 v30, 0.5, v30
	v_add_f32_e32 v28, 1.0, v28
	v_mul_f32_e32 v28, v30, v28
	v_bfi_b32 v30, s31, v39, v38
	v_mul_f32_e32 v29, 0.5, v31
	v_add_f32_e32 v30, 1.0, v30
	v_mul_f32_e32 v29, v29, v30
	;;#ASMSTART
	v_pk_mul_f32 v[10:11], v[28:29], v[10:11]
	;;#ASMEND
	v_mul_f32_e32 v28, 0x3f3504f3, v24
	v_cmp_nlt_f32_e64 s[20:21], |v28|, 1.0
                                        ; implicit-def: $vgpr29
	s_and_saveexec_b64 s[34:35], s[20:21]
	s_xor_b64 s[20:21], exec, s[34:35]
	s_cbranch_execz .LBB551_21
; %bb.20:                               ;   in Loop: Header=BB551_3 Depth=1
	v_fma_f32 v29, |v28|, s22, v35
	v_fma_f32 v29, |v28|, v29, s23
	;; [unrolled: 1-line block ×6, first 2 shown]
	v_fma_f32 v29, |v28|, v29, |v28|
	v_mul_f32_e32 v30, 0xbfb8aa3b, v29
	v_fma_f32 v31, v29, s28, -v30
	v_rndne_f32_e32 v38, v30
	v_fmac_f32_e32 v31, 0xb2a5705f, v29
	v_sub_f32_e32 v30, v30, v38
	v_add_f32_e32 v30, v30, v31
	v_cvt_i32_f32_e32 v31, v38
	v_exp_f32_e32 v30, v30
	v_cmp_nlt_f32_e32 vcc, s29, v29
	v_ldexp_f32 v30, v30, v31
	s_nop 0
	v_cndmask_b32_e32 v30, 0, v30, vcc
	v_cmp_ngt_f32_e32 vcc, s30, v29
	s_nop 1
	v_cndmask_b32_e32 v29, v36, v30, vcc
	v_sub_f32_e32 v29, 1.0, v29
.LBB551_21:                             ;   in Loop: Header=BB551_3 Depth=1
	s_andn2_saveexec_b64 s[20:21], s[20:21]
; %bb.22:                               ;   in Loop: Header=BB551_3 Depth=1
	v_mul_f32_e32 v29, v28, v28
	v_fmamk_f32 v30, v29, 0xba1345e1, v34
	v_fmaak_f32 v30, v29, v30, 0xbcdac9b8
	v_fmaak_f32 v30, v29, v30, 0x3de703be
	;; [unrolled: 1-line block ×4, first 2 shown]
	v_fma_f32 v29, |v28|, v29, |v28|
; %bb.23:                               ;   in Loop: Header=BB551_3 Depth=1
	s_or_b64 exec, exec, s[20:21]
	v_mul_f32_e32 v30, 0x3f3504f3, v25
	v_cmp_nlt_f32_e64 s[20:21], |v30|, 1.0
                                        ; implicit-def: $vgpr31
	s_and_saveexec_b64 s[34:35], s[20:21]
	s_xor_b64 s[20:21], exec, s[34:35]
	s_cbranch_execz .LBB551_25
; %bb.24:                               ;   in Loop: Header=BB551_3 Depth=1
	v_fma_f32 v31, |v30|, s22, v35
	v_fma_f32 v31, |v30|, v31, s23
	;; [unrolled: 1-line block ×6, first 2 shown]
	v_fma_f32 v31, |v30|, v31, |v30|
	v_mul_f32_e32 v38, 0xbfb8aa3b, v31
	v_fma_f32 v39, v31, s28, -v38
	v_rndne_f32_e32 v40, v38
	v_fmac_f32_e32 v39, 0xb2a5705f, v31
	v_sub_f32_e32 v38, v38, v40
	v_add_f32_e32 v38, v38, v39
	v_cvt_i32_f32_e32 v39, v40
	v_exp_f32_e32 v38, v38
	v_cmp_nlt_f32_e32 vcc, s29, v31
	v_ldexp_f32 v38, v38, v39
	s_nop 0
	v_cndmask_b32_e32 v38, 0, v38, vcc
	v_cmp_ngt_f32_e32 vcc, s30, v31
	s_nop 1
	v_cndmask_b32_e32 v31, v36, v38, vcc
	v_sub_f32_e32 v31, 1.0, v31
.LBB551_25:                             ;   in Loop: Header=BB551_3 Depth=1
	s_andn2_saveexec_b64 s[20:21], s[20:21]
; %bb.26:                               ;   in Loop: Header=BB551_3 Depth=1
	v_mul_f32_e32 v31, v30, v30
	v_fmamk_f32 v38, v31, 0xba1345e1, v34
	v_fmaak_f32 v38, v31, v38, 0xbcdac9b8
	v_fmaak_f32 v38, v31, v38, 0x3de703be
	;; [unrolled: 1-line block ×4, first 2 shown]
	v_fma_f32 v31, |v30|, v31, |v30|
; %bb.27:                               ;   in Loop: Header=BB551_3 Depth=1
	s_or_b64 exec, exec, s[20:21]
	v_bfi_b32 v28, s31, v29, v28
	v_mul_f32_e32 v24, 0.5, v24
	v_add_f32_e32 v28, 1.0, v28
	v_mul_f32_e32 v24, v24, v28
	v_bfi_b32 v28, s31, v31, v30
	v_mul_f32_e32 v25, 0.5, v25
	v_add_f32_e32 v28, 1.0, v28
	v_mul_f32_e32 v25, v25, v28
	s_waitcnt vmcnt(2)
	;;#ASMSTART
	v_pk_mul_f32 v[20:21], v[24:25], v[20:21]
	;;#ASMEND
	v_mul_f32_e32 v24, 0x3f3504f3, v26
	v_cmp_nlt_f32_e64 s[20:21], |v24|, 1.0
                                        ; implicit-def: $vgpr25
	s_and_saveexec_b64 s[34:35], s[20:21]
	s_xor_b64 s[20:21], exec, s[34:35]
	s_cbranch_execz .LBB551_29
; %bb.28:                               ;   in Loop: Header=BB551_3 Depth=1
	v_fma_f32 v25, |v24|, s22, v35
	v_fma_f32 v25, |v24|, v25, s23
	;; [unrolled: 1-line block ×6, first 2 shown]
	v_fma_f32 v25, |v24|, v25, |v24|
	v_mul_f32_e32 v28, 0xbfb8aa3b, v25
	v_fma_f32 v29, v25, s28, -v28
	v_rndne_f32_e32 v30, v28
	v_fmac_f32_e32 v29, 0xb2a5705f, v25
	v_sub_f32_e32 v28, v28, v30
	v_add_f32_e32 v28, v28, v29
	v_cvt_i32_f32_e32 v29, v30
	v_exp_f32_e32 v28, v28
	v_cmp_nlt_f32_e32 vcc, s29, v25
	v_ldexp_f32 v28, v28, v29
	s_nop 0
	v_cndmask_b32_e32 v28, 0, v28, vcc
	v_cmp_ngt_f32_e32 vcc, s30, v25
	s_nop 1
	v_cndmask_b32_e32 v25, v36, v28, vcc
	v_sub_f32_e32 v25, 1.0, v25
.LBB551_29:                             ;   in Loop: Header=BB551_3 Depth=1
	s_andn2_saveexec_b64 s[20:21], s[20:21]
; %bb.30:                               ;   in Loop: Header=BB551_3 Depth=1
	v_mul_f32_e32 v25, v24, v24
	v_fmamk_f32 v28, v25, 0xba1345e1, v34
	v_fmaak_f32 v28, v25, v28, 0xbcdac9b8
	v_fmaak_f32 v28, v25, v28, 0x3de703be
	;; [unrolled: 1-line block ×4, first 2 shown]
	v_fma_f32 v25, |v24|, v25, |v24|
; %bb.31:                               ;   in Loop: Header=BB551_3 Depth=1
	s_or_b64 exec, exec, s[20:21]
	v_mul_f32_e32 v28, 0x3f3504f3, v27
	v_cmp_nlt_f32_e64 s[20:21], |v28|, 1.0
                                        ; implicit-def: $vgpr29
	s_and_saveexec_b64 s[34:35], s[20:21]
	s_xor_b64 s[20:21], exec, s[34:35]
	s_cbranch_execz .LBB551_33
; %bb.32:                               ;   in Loop: Header=BB551_3 Depth=1
	v_fma_f32 v29, |v28|, s22, v35
	v_fma_f32 v29, |v28|, v29, s23
	;; [unrolled: 1-line block ×6, first 2 shown]
	v_fma_f32 v29, |v28|, v29, |v28|
	v_mul_f32_e32 v30, 0xbfb8aa3b, v29
	v_fma_f32 v31, v29, s28, -v30
	v_rndne_f32_e32 v38, v30
	v_fmac_f32_e32 v31, 0xb2a5705f, v29
	v_sub_f32_e32 v30, v30, v38
	v_add_f32_e32 v30, v30, v31
	v_cvt_i32_f32_e32 v31, v38
	v_exp_f32_e32 v30, v30
	v_cmp_nlt_f32_e32 vcc, s29, v29
	v_ldexp_f32 v30, v30, v31
	s_nop 0
	v_cndmask_b32_e32 v30, 0, v30, vcc
	v_cmp_ngt_f32_e32 vcc, s30, v29
	s_nop 1
	v_cndmask_b32_e32 v29, v36, v30, vcc
	v_sub_f32_e32 v29, 1.0, v29
.LBB551_33:                             ;   in Loop: Header=BB551_3 Depth=1
	s_andn2_saveexec_b64 s[20:21], s[20:21]
; %bb.34:                               ;   in Loop: Header=BB551_3 Depth=1
	v_mul_f32_e32 v29, v28, v28
	v_fmamk_f32 v30, v29, 0xba1345e1, v34
	v_fmaak_f32 v30, v29, v30, 0xbcdac9b8
	v_fmaak_f32 v30, v29, v30, 0x3de703be
	;; [unrolled: 1-line block ×4, first 2 shown]
	v_fma_f32 v29, |v28|, v29, |v28|
; %bb.35:                               ;   in Loop: Header=BB551_3 Depth=1
	s_or_b64 exec, exec, s[20:21]
	v_bfi_b32 v24, s31, v25, v24
	v_mul_f32_e32 v26, 0.5, v26
	v_add_f32_e32 v24, 1.0, v24
	v_mul_f32_e32 v24, v26, v24
	v_bfi_b32 v26, s31, v29, v28
	v_mul_f32_e32 v25, 0.5, v27
	v_add_f32_e32 v26, 1.0, v26
	v_mul_f32_e32 v25, v25, v26
	;;#ASMSTART
	v_pk_mul_f32 v[22:23], v[24:25], v[22:23]
	;;#ASMEND
	v_mul_f32_e32 v24, 0x3f3504f3, v16
	v_cmp_nlt_f32_e64 s[20:21], |v24|, 1.0
                                        ; implicit-def: $vgpr25
	s_and_saveexec_b64 s[34:35], s[20:21]
	s_xor_b64 s[20:21], exec, s[34:35]
	s_cbranch_execz .LBB551_37
; %bb.36:                               ;   in Loop: Header=BB551_3 Depth=1
	v_fma_f32 v25, |v24|, s22, v35
	v_fma_f32 v25, |v24|, v25, s23
	;; [unrolled: 1-line block ×6, first 2 shown]
	v_fma_f32 v25, |v24|, v25, |v24|
	v_mul_f32_e32 v26, 0xbfb8aa3b, v25
	v_fma_f32 v27, v25, s28, -v26
	v_rndne_f32_e32 v28, v26
	v_fmac_f32_e32 v27, 0xb2a5705f, v25
	v_sub_f32_e32 v26, v26, v28
	v_add_f32_e32 v26, v26, v27
	v_cvt_i32_f32_e32 v27, v28
	v_exp_f32_e32 v26, v26
	v_cmp_nlt_f32_e32 vcc, s29, v25
	v_ldexp_f32 v26, v26, v27
	s_nop 0
	v_cndmask_b32_e32 v26, 0, v26, vcc
	v_cmp_ngt_f32_e32 vcc, s30, v25
	s_nop 1
	v_cndmask_b32_e32 v25, v36, v26, vcc
	v_sub_f32_e32 v25, 1.0, v25
.LBB551_37:                             ;   in Loop: Header=BB551_3 Depth=1
	s_andn2_saveexec_b64 s[20:21], s[20:21]
; %bb.38:                               ;   in Loop: Header=BB551_3 Depth=1
	v_mul_f32_e32 v25, v24, v24
	v_fmamk_f32 v26, v25, 0xba1345e1, v34
	v_fmaak_f32 v26, v25, v26, 0xbcdac9b8
	v_fmaak_f32 v26, v25, v26, 0x3de703be
	;; [unrolled: 1-line block ×4, first 2 shown]
	v_fma_f32 v25, |v24|, v25, |v24|
; %bb.39:                               ;   in Loop: Header=BB551_3 Depth=1
	s_or_b64 exec, exec, s[20:21]
	v_mul_f32_e32 v26, 0x3f3504f3, v17
	v_cmp_nlt_f32_e64 s[20:21], |v26|, 1.0
                                        ; implicit-def: $vgpr27
	s_and_saveexec_b64 s[34:35], s[20:21]
	s_xor_b64 s[20:21], exec, s[34:35]
	s_cbranch_execz .LBB551_41
; %bb.40:                               ;   in Loop: Header=BB551_3 Depth=1
	v_fma_f32 v27, |v26|, s22, v35
	v_fma_f32 v27, |v26|, v27, s23
	;; [unrolled: 1-line block ×6, first 2 shown]
	v_fma_f32 v27, |v26|, v27, |v26|
	v_mul_f32_e32 v28, 0xbfb8aa3b, v27
	v_fma_f32 v29, v27, s28, -v28
	v_rndne_f32_e32 v30, v28
	v_fmac_f32_e32 v29, 0xb2a5705f, v27
	v_sub_f32_e32 v28, v28, v30
	v_add_f32_e32 v28, v28, v29
	v_cvt_i32_f32_e32 v29, v30
	v_exp_f32_e32 v28, v28
	v_cmp_nlt_f32_e32 vcc, s29, v27
	v_ldexp_f32 v28, v28, v29
	s_nop 0
	v_cndmask_b32_e32 v28, 0, v28, vcc
	v_cmp_ngt_f32_e32 vcc, s30, v27
	s_nop 1
	v_cndmask_b32_e32 v27, v36, v28, vcc
	v_sub_f32_e32 v27, 1.0, v27
.LBB551_41:                             ;   in Loop: Header=BB551_3 Depth=1
	s_andn2_saveexec_b64 s[20:21], s[20:21]
; %bb.42:                               ;   in Loop: Header=BB551_3 Depth=1
	v_mul_f32_e32 v27, v26, v26
	v_fmamk_f32 v28, v27, 0xba1345e1, v34
	v_fmaak_f32 v28, v27, v28, 0xbcdac9b8
	v_fmaak_f32 v28, v27, v28, 0x3de703be
	;; [unrolled: 1-line block ×4, first 2 shown]
	v_fma_f32 v27, |v26|, v27, |v26|
; %bb.43:                               ;   in Loop: Header=BB551_3 Depth=1
	s_or_b64 exec, exec, s[20:21]
	v_bfi_b32 v24, s31, v25, v24
	v_mul_f32_e32 v16, 0.5, v16
	v_add_f32_e32 v24, 1.0, v24
	v_mul_f32_e32 v16, v16, v24
	v_bfi_b32 v24, s31, v27, v26
	v_mul_f32_e32 v17, 0.5, v17
	v_add_f32_e32 v24, 1.0, v24
	v_mul_f32_e32 v17, v17, v24
	s_waitcnt vmcnt(1)
	;;#ASMSTART
	v_pk_mul_f32 v[12:13], v[16:17], v[12:13]
	;;#ASMEND
	v_mul_f32_e32 v16, 0x3f3504f3, v18
	v_cmp_nlt_f32_e64 s[20:21], |v16|, 1.0
                                        ; implicit-def: $vgpr17
	s_and_saveexec_b64 s[34:35], s[20:21]
	s_xor_b64 s[20:21], exec, s[34:35]
	s_cbranch_execz .LBB551_45
; %bb.44:                               ;   in Loop: Header=BB551_3 Depth=1
	v_fma_f32 v17, |v16|, s22, v35
	v_fma_f32 v17, |v16|, v17, s23
	;; [unrolled: 1-line block ×6, first 2 shown]
	v_fma_f32 v17, |v16|, v17, |v16|
	v_mul_f32_e32 v24, 0xbfb8aa3b, v17
	v_fma_f32 v25, v17, s28, -v24
	v_rndne_f32_e32 v26, v24
	v_fmac_f32_e32 v25, 0xb2a5705f, v17
	v_sub_f32_e32 v24, v24, v26
	v_add_f32_e32 v24, v24, v25
	v_cvt_i32_f32_e32 v25, v26
	v_exp_f32_e32 v24, v24
	v_cmp_nlt_f32_e32 vcc, s29, v17
	v_ldexp_f32 v24, v24, v25
	s_nop 0
	v_cndmask_b32_e32 v24, 0, v24, vcc
	v_cmp_ngt_f32_e32 vcc, s30, v17
	s_nop 1
	v_cndmask_b32_e32 v17, v36, v24, vcc
	v_sub_f32_e32 v17, 1.0, v17
.LBB551_45:                             ;   in Loop: Header=BB551_3 Depth=1
	s_andn2_saveexec_b64 s[20:21], s[20:21]
; %bb.46:                               ;   in Loop: Header=BB551_3 Depth=1
	v_mul_f32_e32 v17, v16, v16
	v_fmamk_f32 v24, v17, 0xba1345e1, v34
	v_fmaak_f32 v24, v17, v24, 0xbcdac9b8
	v_fmaak_f32 v24, v17, v24, 0x3de703be
	;; [unrolled: 1-line block ×4, first 2 shown]
	v_fma_f32 v17, |v16|, v17, |v16|
; %bb.47:                               ;   in Loop: Header=BB551_3 Depth=1
	s_or_b64 exec, exec, s[20:21]
	v_mul_f32_e32 v24, 0x3f3504f3, v19
	v_cmp_nlt_f32_e64 s[20:21], |v24|, 1.0
                                        ; implicit-def: $vgpr25
	s_and_saveexec_b64 s[34:35], s[20:21]
	s_xor_b64 s[20:21], exec, s[34:35]
	s_cbranch_execz .LBB551_49
; %bb.48:                               ;   in Loop: Header=BB551_3 Depth=1
	v_fma_f32 v25, |v24|, s22, v35
	v_fma_f32 v25, |v24|, v25, s23
	;; [unrolled: 1-line block ×6, first 2 shown]
	v_fma_f32 v25, |v24|, v25, |v24|
	v_mul_f32_e32 v26, 0xbfb8aa3b, v25
	v_fma_f32 v27, v25, s28, -v26
	v_rndne_f32_e32 v28, v26
	v_fmac_f32_e32 v27, 0xb2a5705f, v25
	v_sub_f32_e32 v26, v26, v28
	v_add_f32_e32 v26, v26, v27
	v_cvt_i32_f32_e32 v27, v28
	v_exp_f32_e32 v26, v26
	v_cmp_nlt_f32_e32 vcc, s29, v25
	v_ldexp_f32 v26, v26, v27
	s_nop 0
	v_cndmask_b32_e32 v26, 0, v26, vcc
	v_cmp_ngt_f32_e32 vcc, s30, v25
	s_nop 1
	v_cndmask_b32_e32 v25, v36, v26, vcc
	v_sub_f32_e32 v25, 1.0, v25
.LBB551_49:                             ;   in Loop: Header=BB551_3 Depth=1
	s_andn2_saveexec_b64 s[20:21], s[20:21]
; %bb.50:                               ;   in Loop: Header=BB551_3 Depth=1
	v_mul_f32_e32 v25, v24, v24
	v_fmamk_f32 v26, v25, 0xba1345e1, v34
	v_fmaak_f32 v26, v25, v26, 0xbcdac9b8
	v_fmaak_f32 v26, v25, v26, 0x3de703be
	;; [unrolled: 1-line block ×4, first 2 shown]
	v_fma_f32 v25, |v24|, v25, |v24|
; %bb.51:                               ;   in Loop: Header=BB551_3 Depth=1
	s_or_b64 exec, exec, s[20:21]
	v_bfi_b32 v16, s31, v17, v16
	v_mul_f32_e32 v18, 0.5, v18
	v_add_f32_e32 v16, 1.0, v16
	v_mul_f32_e32 v16, v18, v16
	v_bfi_b32 v18, s31, v25, v24
	v_mul_f32_e32 v17, 0.5, v19
	v_add_f32_e32 v18, 1.0, v18
	v_mul_f32_e32 v17, v17, v18
	;;#ASMSTART
	v_pk_mul_f32 v[14:15], v[16:17], v[14:15]
	;;#ASMEND
	v_mul_f32_e32 v16, 0x3f3504f3, v4
	v_cmp_nlt_f32_e64 s[20:21], |v16|, 1.0
                                        ; implicit-def: $vgpr17
	s_and_saveexec_b64 s[34:35], s[20:21]
	s_xor_b64 s[20:21], exec, s[34:35]
	s_cbranch_execz .LBB551_53
; %bb.52:                               ;   in Loop: Header=BB551_3 Depth=1
	v_fma_f32 v17, |v16|, s22, v35
	v_fma_f32 v17, |v16|, v17, s23
	;; [unrolled: 1-line block ×6, first 2 shown]
	v_fma_f32 v17, |v16|, v17, |v16|
	v_mul_f32_e32 v18, 0xbfb8aa3b, v17
	v_fma_f32 v19, v17, s28, -v18
	v_rndne_f32_e32 v24, v18
	v_fmac_f32_e32 v19, 0xb2a5705f, v17
	v_sub_f32_e32 v18, v18, v24
	v_add_f32_e32 v18, v18, v19
	v_cvt_i32_f32_e32 v19, v24
	v_exp_f32_e32 v18, v18
	v_cmp_nlt_f32_e32 vcc, s29, v17
	v_ldexp_f32 v18, v18, v19
	s_nop 0
	v_cndmask_b32_e32 v18, 0, v18, vcc
	v_cmp_ngt_f32_e32 vcc, s30, v17
	s_nop 1
	v_cndmask_b32_e32 v17, v36, v18, vcc
	v_sub_f32_e32 v17, 1.0, v17
.LBB551_53:                             ;   in Loop: Header=BB551_3 Depth=1
	s_andn2_saveexec_b64 s[20:21], s[20:21]
; %bb.54:                               ;   in Loop: Header=BB551_3 Depth=1
	v_mul_f32_e32 v17, v16, v16
	v_fmamk_f32 v18, v17, 0xba1345e1, v34
	v_fmaak_f32 v18, v17, v18, 0xbcdac9b8
	v_fmaak_f32 v18, v17, v18, 0x3de703be
	;; [unrolled: 1-line block ×4, first 2 shown]
	v_fma_f32 v17, |v16|, v17, |v16|
; %bb.55:                               ;   in Loop: Header=BB551_3 Depth=1
	s_or_b64 exec, exec, s[20:21]
	v_mul_f32_e32 v18, 0x3f3504f3, v5
	v_cmp_nlt_f32_e64 s[20:21], |v18|, 1.0
                                        ; implicit-def: $vgpr19
	s_and_saveexec_b64 s[34:35], s[20:21]
	s_xor_b64 s[20:21], exec, s[34:35]
	s_cbranch_execz .LBB551_57
; %bb.56:                               ;   in Loop: Header=BB551_3 Depth=1
	v_fma_f32 v19, |v18|, s22, v35
	v_fma_f32 v19, |v18|, v19, s23
	;; [unrolled: 1-line block ×6, first 2 shown]
	v_fma_f32 v19, |v18|, v19, |v18|
	v_mul_f32_e32 v24, 0xbfb8aa3b, v19
	v_fma_f32 v25, v19, s28, -v24
	v_rndne_f32_e32 v26, v24
	v_fmac_f32_e32 v25, 0xb2a5705f, v19
	v_sub_f32_e32 v24, v24, v26
	v_add_f32_e32 v24, v24, v25
	v_cvt_i32_f32_e32 v25, v26
	v_exp_f32_e32 v24, v24
	v_cmp_nlt_f32_e32 vcc, s29, v19
	v_ldexp_f32 v24, v24, v25
	s_nop 0
	v_cndmask_b32_e32 v24, 0, v24, vcc
	v_cmp_ngt_f32_e32 vcc, s30, v19
	s_nop 1
	v_cndmask_b32_e32 v19, v36, v24, vcc
	v_sub_f32_e32 v19, 1.0, v19
.LBB551_57:                             ;   in Loop: Header=BB551_3 Depth=1
	s_andn2_saveexec_b64 s[20:21], s[20:21]
; %bb.58:                               ;   in Loop: Header=BB551_3 Depth=1
	v_mul_f32_e32 v19, v18, v18
	v_fmamk_f32 v24, v19, 0xba1345e1, v34
	v_fmaak_f32 v24, v19, v24, 0xbcdac9b8
	v_fmaak_f32 v24, v19, v24, 0x3de703be
	;; [unrolled: 1-line block ×4, first 2 shown]
	v_fma_f32 v19, |v18|, v19, |v18|
; %bb.59:                               ;   in Loop: Header=BB551_3 Depth=1
	s_or_b64 exec, exec, s[20:21]
	v_bfi_b32 v16, s31, v17, v16
	v_mul_f32_e32 v4, 0.5, v4
	v_add_f32_e32 v16, 1.0, v16
	v_mul_f32_e32 v4, v4, v16
	v_bfi_b32 v16, s31, v19, v18
	v_mul_f32_e32 v5, 0.5, v5
	v_add_f32_e32 v16, 1.0, v16
	v_mul_f32_e32 v5, v5, v16
	s_waitcnt vmcnt(0)
	;;#ASMSTART
	v_pk_mul_f32 v[0:1], v[4:5], v[0:1]
	;;#ASMEND
	v_mul_f32_e32 v4, 0x3f3504f3, v6
	v_cmp_nlt_f32_e64 s[20:21], |v4|, 1.0
                                        ; implicit-def: $vgpr5
	s_and_saveexec_b64 s[34:35], s[20:21]
	s_xor_b64 s[20:21], exec, s[34:35]
	s_cbranch_execz .LBB551_61
; %bb.60:                               ;   in Loop: Header=BB551_3 Depth=1
	v_fma_f32 v5, |v4|, s22, v35
	v_fma_f32 v5, |v4|, v5, s23
	;; [unrolled: 1-line block ×6, first 2 shown]
	v_fma_f32 v5, |v4|, v5, |v4|
	v_mul_f32_e32 v16, 0xbfb8aa3b, v5
	v_fma_f32 v17, v5, s28, -v16
	v_rndne_f32_e32 v18, v16
	v_fmac_f32_e32 v17, 0xb2a5705f, v5
	v_sub_f32_e32 v16, v16, v18
	v_add_f32_e32 v16, v16, v17
	v_cvt_i32_f32_e32 v17, v18
	v_exp_f32_e32 v16, v16
	v_cmp_nlt_f32_e32 vcc, s29, v5
	v_ldexp_f32 v16, v16, v17
	s_nop 0
	v_cndmask_b32_e32 v16, 0, v16, vcc
	v_cmp_ngt_f32_e32 vcc, s30, v5
	s_nop 1
	v_cndmask_b32_e32 v5, v36, v16, vcc
	v_sub_f32_e32 v5, 1.0, v5
.LBB551_61:                             ;   in Loop: Header=BB551_3 Depth=1
	s_andn2_saveexec_b64 s[20:21], s[20:21]
; %bb.62:                               ;   in Loop: Header=BB551_3 Depth=1
	v_mul_f32_e32 v5, v4, v4
	v_fmamk_f32 v16, v5, 0xba1345e1, v34
	v_fmaak_f32 v16, v5, v16, 0xbcdac9b8
	v_fmaak_f32 v16, v5, v16, 0x3de703be
	;; [unrolled: 1-line block ×4, first 2 shown]
	v_fma_f32 v5, |v4|, v5, |v4|
; %bb.63:                               ;   in Loop: Header=BB551_3 Depth=1
	s_or_b64 exec, exec, s[20:21]
	v_mul_f32_e32 v16, 0x3f3504f3, v7
	v_cmp_nlt_f32_e64 s[20:21], |v16|, 1.0
                                        ; implicit-def: $vgpr17
	s_and_saveexec_b64 s[34:35], s[20:21]
	s_xor_b64 s[20:21], exec, s[34:35]
	s_cbranch_execz .LBB551_65
; %bb.64:                               ;   in Loop: Header=BB551_3 Depth=1
	v_fma_f32 v17, |v16|, s22, v35
	v_fma_f32 v17, |v16|, v17, s23
	;; [unrolled: 1-line block ×6, first 2 shown]
	v_fma_f32 v17, |v16|, v17, |v16|
	v_mul_f32_e32 v18, 0xbfb8aa3b, v17
	v_fma_f32 v19, v17, s28, -v18
	v_rndne_f32_e32 v24, v18
	v_fmac_f32_e32 v19, 0xb2a5705f, v17
	v_sub_f32_e32 v18, v18, v24
	v_add_f32_e32 v18, v18, v19
	v_cvt_i32_f32_e32 v19, v24
	v_exp_f32_e32 v18, v18
	v_cmp_nlt_f32_e32 vcc, s29, v17
	v_ldexp_f32 v18, v18, v19
	s_nop 0
	v_cndmask_b32_e32 v18, 0, v18, vcc
	v_cmp_ngt_f32_e32 vcc, s30, v17
	s_nop 1
	v_cndmask_b32_e32 v17, v36, v18, vcc
	v_sub_f32_e32 v17, 1.0, v17
.LBB551_65:                             ;   in Loop: Header=BB551_3 Depth=1
	s_andn2_saveexec_b64 s[20:21], s[20:21]
	s_cbranch_execz .LBB551_2
; %bb.66:                               ;   in Loop: Header=BB551_3 Depth=1
	v_mul_f32_e32 v17, v16, v16
	v_fmamk_f32 v18, v17, 0xba1345e1, v34
	v_fmaak_f32 v18, v17, v18, 0xbcdac9b8
	v_fmaak_f32 v18, v17, v18, 0x3de703be
	;; [unrolled: 1-line block ×4, first 2 shown]
	v_fma_f32 v17, |v16|, v17, |v16|
	s_branch .LBB551_2
.LBB551_67:
	s_endpgm
	.section	.rodata,"a",@progbits
	.p2align	6, 0x0
	.amdhsa_kernel _ZN5aiter18act_and_mul_kernelIffTnPFfRKT_EXadL_ZNS_11gelu_kernelIfEEfS3_EELi16ELb0ELi0EEEvPT0_PS2_if
		.amdhsa_group_segment_fixed_size 0
		.amdhsa_private_segment_fixed_size 0
		.amdhsa_kernarg_size 280
		.amdhsa_user_sgpr_count 2
		.amdhsa_user_sgpr_dispatch_ptr 0
		.amdhsa_user_sgpr_queue_ptr 0
		.amdhsa_user_sgpr_kernarg_segment_ptr 1
		.amdhsa_user_sgpr_dispatch_id 0
		.amdhsa_user_sgpr_kernarg_preload_length 0
		.amdhsa_user_sgpr_kernarg_preload_offset 0
		.amdhsa_user_sgpr_private_segment_size 0
		.amdhsa_uses_dynamic_stack 0
		.amdhsa_enable_private_segment 0
		.amdhsa_system_sgpr_workgroup_id_x 1
		.amdhsa_system_sgpr_workgroup_id_y 0
		.amdhsa_system_sgpr_workgroup_id_z 0
		.amdhsa_system_sgpr_workgroup_info 0
		.amdhsa_system_vgpr_workitem_id 0
		.amdhsa_next_free_vgpr 45
		.amdhsa_next_free_sgpr 36
		.amdhsa_accum_offset 48
		.amdhsa_reserve_vcc 1
		.amdhsa_float_round_mode_32 0
		.amdhsa_float_round_mode_16_64 0
		.amdhsa_float_denorm_mode_32 3
		.amdhsa_float_denorm_mode_16_64 3
		.amdhsa_dx10_clamp 1
		.amdhsa_ieee_mode 1
		.amdhsa_fp16_overflow 0
		.amdhsa_tg_split 0
		.amdhsa_exception_fp_ieee_invalid_op 0
		.amdhsa_exception_fp_denorm_src 0
		.amdhsa_exception_fp_ieee_div_zero 0
		.amdhsa_exception_fp_ieee_overflow 0
		.amdhsa_exception_fp_ieee_underflow 0
		.amdhsa_exception_fp_ieee_inexact 0
		.amdhsa_exception_int_div_zero 0
	.end_amdhsa_kernel
	.section	.text._ZN5aiter18act_and_mul_kernelIffTnPFfRKT_EXadL_ZNS_11gelu_kernelIfEEfS3_EELi16ELb0ELi0EEEvPT0_PS2_if,"axG",@progbits,_ZN5aiter18act_and_mul_kernelIffTnPFfRKT_EXadL_ZNS_11gelu_kernelIfEEfS3_EELi16ELb0ELi0EEEvPT0_PS2_if,comdat
.Lfunc_end551:
	.size	_ZN5aiter18act_and_mul_kernelIffTnPFfRKT_EXadL_ZNS_11gelu_kernelIfEEfS3_EELi16ELb0ELi0EEEvPT0_PS2_if, .Lfunc_end551-_ZN5aiter18act_and_mul_kernelIffTnPFfRKT_EXadL_ZNS_11gelu_kernelIfEEfS3_EELi16ELb0ELi0EEEvPT0_PS2_if
                                        ; -- End function
	.section	.AMDGPU.csdata,"",@progbits
; Kernel info:
; codeLenInByte = 4420
; NumSgprs: 42
; NumVgprs: 45
; NumAgprs: 0
; TotalNumVgprs: 45
; ScratchSize: 0
; MemoryBound: 0
; FloatMode: 240
; IeeeMode: 1
; LDSByteSize: 0 bytes/workgroup (compile time only)
; SGPRBlocks: 5
; VGPRBlocks: 5
; NumSGPRsForWavesPerEU: 42
; NumVGPRsForWavesPerEU: 45
; AccumOffset: 48
; Occupancy: 8
; WaveLimiterHint : 0
; COMPUTE_PGM_RSRC2:SCRATCH_EN: 0
; COMPUTE_PGM_RSRC2:USER_SGPR: 2
; COMPUTE_PGM_RSRC2:TRAP_HANDLER: 0
; COMPUTE_PGM_RSRC2:TGID_X_EN: 1
; COMPUTE_PGM_RSRC2:TGID_Y_EN: 0
; COMPUTE_PGM_RSRC2:TGID_Z_EN: 0
; COMPUTE_PGM_RSRC2:TIDIG_COMP_CNT: 0
; COMPUTE_PGM_RSRC3_GFX90A:ACCUM_OFFSET: 11
; COMPUTE_PGM_RSRC3_GFX90A:TG_SPLIT: 0
	.section	.text._ZN5aiter18act_and_mul_kernelIffTnPFfRKT_EXadL_ZNS_11gelu_kernelIfEEfS3_EELi8ELb0ELi0EEEvPT0_PS2_if,"axG",@progbits,_ZN5aiter18act_and_mul_kernelIffTnPFfRKT_EXadL_ZNS_11gelu_kernelIfEEfS3_EELi8ELb0ELi0EEEvPT0_PS2_if,comdat
	.protected	_ZN5aiter18act_and_mul_kernelIffTnPFfRKT_EXadL_ZNS_11gelu_kernelIfEEfS3_EELi8ELb0ELi0EEEvPT0_PS2_if ; -- Begin function _ZN5aiter18act_and_mul_kernelIffTnPFfRKT_EXadL_ZNS_11gelu_kernelIfEEfS3_EELi8ELb0ELi0EEEvPT0_PS2_if
	.globl	_ZN5aiter18act_and_mul_kernelIffTnPFfRKT_EXadL_ZNS_11gelu_kernelIfEEfS3_EELi8ELb0ELi0EEEvPT0_PS2_if
	.p2align	8
	.type	_ZN5aiter18act_and_mul_kernelIffTnPFfRKT_EXadL_ZNS_11gelu_kernelIfEEfS3_EELi8ELb0ELi0EEEvPT0_PS2_if,@function
_ZN5aiter18act_and_mul_kernelIffTnPFfRKT_EXadL_ZNS_11gelu_kernelIfEEfS3_EELi8ELb0ELi0EEEvPT0_PS2_if: ; @_ZN5aiter18act_and_mul_kernelIffTnPFfRKT_EXadL_ZNS_11gelu_kernelIfEEfS3_EELi8ELb0ELi0EEEvPT0_PS2_if
; %bb.0:
	s_load_dword s16, s[0:1], 0x10
	v_lshlrev_b32_e32 v16, 3, v0
	s_waitcnt lgkmcnt(0)
	v_cmp_gt_i32_e32 vcc, s16, v16
	s_and_saveexec_b64 s[4:5], vcc
	s_cbranch_execz .LBB552_35
; %bb.1:
	s_load_dwordx4 s[12:15], s[0:1], 0x0
	s_ashr_i32 s17, s16, 31
	s_mul_hi_u32 s3, s16, s2
	s_mul_i32 s4, s17, s2
	s_add_i32 s3, s3, s4
	s_mul_i32 s2, s16, s2
	s_lshl_b64 s[4:5], s[2:3], 3
	s_waitcnt lgkmcnt(0)
	s_add_u32 s4, s14, s4
	s_addc_u32 s5, s15, s5
	s_lshl_b64 s[6:7], s[16:17], 2
	s_add_u32 s8, s4, s6
	s_addc_u32 s9, s5, s7
	s_lshl_b32 s6, s16, 2
	s_and_b32 s5, s5, 0xffff
	s_and_b32 s9, s9, 0xffff
	s_lshl_b64 s[2:3], s[2:3], 2
	s_add_u32 s12, s12, s2
	s_addc_u32 s2, s13, s3
	s_and_b32 s13, s2, 0xffff
	s_mov_b32 s7, 0x20000
	s_add_u32 s0, s0, 24
	v_mov_b32_e32 v17, 0
	s_addc_u32 s1, s1, 0
	s_mov_b64 s[2:3], 0
	s_mov_b32 s19, 0
	s_mov_b32 s10, s6
	;; [unrolled: 1-line block ×12, first 2 shown]
	v_mov_b32_e32 v18, 0x3ba10414
	s_brev_b32 s31, -2
	v_mov_b32_e32 v19, 0xb9c68948
	v_mov_b32_e32 v20, 0x7f800000
	s_mov_b32 s14, s6
	s_mov_b32 s15, s7
                                        ; implicit-def: $vgpr0
                                        ; implicit-def: $vgpr0
	;; [unrolled: 1-line block ×4, first 2 shown]
	s_branch .LBB552_3
.LBB552_2:                              ;   in Loop: Header=BB552_3 Depth=1
	s_or_b64 exec, exec, s[20:21]
	v_bfi_b32 v4, s31, v5, v4
	v_mul_f32_e32 v6, 0.5, v6
	v_add_f32_e32 v4, 1.0, v4
	v_mul_f32_e32 v4, v6, v4
	v_bfi_b32 v6, s31, v13, v12
	v_mul_f32_e32 v5, 0.5, v7
	v_add_f32_e32 v6, 1.0, v6
	v_mul_f32_e32 v5, v5, v6
	;;#ASMSTART
	v_pk_mul_f32 v[2:3], v[4:5], v[2:3]
	;;#ASMEND
	s_load_dword s18, s[0:1], 0xc
	buffer_store_dwordx4 v[8:11], v21, s[12:15], 0 offen
	buffer_store_dwordx4 v[0:3], v21, s[12:15], 16 offen
	s_waitcnt lgkmcnt(0)
	s_and_b32 s18, s18, 0xffff
	s_lshl_b32 s18, s18, 3
	v_lshl_add_u64 v[16:17], s[18:19], 0, v[16:17]
	v_cmp_le_i64_e32 vcc, s[16:17], v[16:17]
	s_or_b64 s[2:3], vcc, s[2:3]
	s_andn2_b64 exec, exec, s[2:3]
	s_cbranch_execz .LBB552_35
.LBB552_3:                              ; =>This Inner Loop Header: Depth=1
	v_lshlrev_b32_e32 v21, 2, v16
	buffer_load_dwordx4 v[12:15], v21, s[4:7], 0 offen
	buffer_load_dwordx4 v[4:7], v21, s[4:7], 16 offen
	;; [unrolled: 1-line block ×4, first 2 shown]
                                        ; implicit-def: $vgpr23
	s_waitcnt vmcnt(3)
	v_mul_f32_e32 v22, 0x3f3504f3, v12
	v_cmp_nlt_f32_e64 s[20:21], |v22|, 1.0
	s_and_saveexec_b64 s[34:35], s[20:21]
	s_xor_b64 s[20:21], exec, s[34:35]
	s_cbranch_execz .LBB552_5
; %bb.4:                                ;   in Loop: Header=BB552_3 Depth=1
	v_fma_f32 v23, |v22|, s22, v19
	v_fma_f32 v23, |v22|, v23, s23
	;; [unrolled: 1-line block ×6, first 2 shown]
	v_fma_f32 v23, |v22|, v23, |v22|
	v_mul_f32_e32 v24, 0xbfb8aa3b, v23
	v_fma_f32 v25, v23, s28, -v24
	v_rndne_f32_e32 v26, v24
	v_fmac_f32_e32 v25, 0xb2a5705f, v23
	v_sub_f32_e32 v24, v24, v26
	v_add_f32_e32 v24, v24, v25
	v_cvt_i32_f32_e32 v25, v26
	v_exp_f32_e32 v24, v24
	v_cmp_nlt_f32_e32 vcc, s29, v23
	v_ldexp_f32 v24, v24, v25
	s_nop 0
	v_cndmask_b32_e32 v24, 0, v24, vcc
	v_cmp_ngt_f32_e32 vcc, s30, v23
	s_nop 1
	v_cndmask_b32_e32 v23, v20, v24, vcc
	v_sub_f32_e32 v23, 1.0, v23
.LBB552_5:                              ;   in Loop: Header=BB552_3 Depth=1
	s_andn2_saveexec_b64 s[20:21], s[20:21]
; %bb.6:                                ;   in Loop: Header=BB552_3 Depth=1
	v_mul_f32_e32 v23, v22, v22
	v_fmamk_f32 v24, v23, 0xba1345e1, v18
	v_fmaak_f32 v24, v23, v24, 0xbcdac9b8
	v_fmaak_f32 v24, v23, v24, 0x3de703be
	v_fmaak_f32 v24, v23, v24, 0xbec09330
	v_fmaak_f32 v23, v23, v24, 0x3e0375d0
	v_fma_f32 v23, |v22|, v23, |v22|
; %bb.7:                                ;   in Loop: Header=BB552_3 Depth=1
	s_or_b64 exec, exec, s[20:21]
	v_mul_f32_e32 v24, 0x3f3504f3, v13
	v_cmp_nlt_f32_e64 s[20:21], |v24|, 1.0
                                        ; implicit-def: $vgpr25
	s_and_saveexec_b64 s[34:35], s[20:21]
	s_xor_b64 s[20:21], exec, s[34:35]
	s_cbranch_execz .LBB552_9
; %bb.8:                                ;   in Loop: Header=BB552_3 Depth=1
	v_fma_f32 v25, |v24|, s22, v19
	v_fma_f32 v25, |v24|, v25, s23
	;; [unrolled: 1-line block ×6, first 2 shown]
	v_fma_f32 v25, |v24|, v25, |v24|
	v_mul_f32_e32 v26, 0xbfb8aa3b, v25
	v_fma_f32 v27, v25, s28, -v26
	v_rndne_f32_e32 v28, v26
	v_fmac_f32_e32 v27, 0xb2a5705f, v25
	v_sub_f32_e32 v26, v26, v28
	v_add_f32_e32 v26, v26, v27
	v_cvt_i32_f32_e32 v27, v28
	v_exp_f32_e32 v26, v26
	v_cmp_nlt_f32_e32 vcc, s29, v25
	v_ldexp_f32 v26, v26, v27
	s_nop 0
	v_cndmask_b32_e32 v26, 0, v26, vcc
	v_cmp_ngt_f32_e32 vcc, s30, v25
	s_nop 1
	v_cndmask_b32_e32 v25, v20, v26, vcc
	v_sub_f32_e32 v25, 1.0, v25
.LBB552_9:                              ;   in Loop: Header=BB552_3 Depth=1
	s_andn2_saveexec_b64 s[20:21], s[20:21]
; %bb.10:                               ;   in Loop: Header=BB552_3 Depth=1
	v_mul_f32_e32 v25, v24, v24
	v_fmamk_f32 v26, v25, 0xba1345e1, v18
	v_fmaak_f32 v26, v25, v26, 0xbcdac9b8
	v_fmaak_f32 v26, v25, v26, 0x3de703be
	;; [unrolled: 1-line block ×4, first 2 shown]
	v_fma_f32 v25, |v24|, v25, |v24|
; %bb.11:                               ;   in Loop: Header=BB552_3 Depth=1
	s_or_b64 exec, exec, s[20:21]
	v_bfi_b32 v22, s31, v23, v22
	v_mul_f32_e32 v12, 0.5, v12
	v_add_f32_e32 v22, 1.0, v22
	v_mul_f32_e32 v12, v12, v22
	v_bfi_b32 v22, s31, v25, v24
	v_mul_f32_e32 v13, 0.5, v13
	v_add_f32_e32 v22, 1.0, v22
	v_mul_f32_e32 v13, v13, v22
	s_waitcnt vmcnt(1)
	;;#ASMSTART
	v_pk_mul_f32 v[8:9], v[12:13], v[8:9]
	;;#ASMEND
	v_mul_f32_e32 v12, 0x3f3504f3, v14
	v_cmp_nlt_f32_e64 s[20:21], |v12|, 1.0
                                        ; implicit-def: $vgpr13
	s_and_saveexec_b64 s[34:35], s[20:21]
	s_xor_b64 s[20:21], exec, s[34:35]
	s_cbranch_execz .LBB552_13
; %bb.12:                               ;   in Loop: Header=BB552_3 Depth=1
	v_fma_f32 v13, |v12|, s22, v19
	v_fma_f32 v13, |v12|, v13, s23
	;; [unrolled: 1-line block ×6, first 2 shown]
	v_fma_f32 v13, |v12|, v13, |v12|
	v_mul_f32_e32 v22, 0xbfb8aa3b, v13
	v_fma_f32 v23, v13, s28, -v22
	v_rndne_f32_e32 v24, v22
	v_fmac_f32_e32 v23, 0xb2a5705f, v13
	v_sub_f32_e32 v22, v22, v24
	v_add_f32_e32 v22, v22, v23
	v_cvt_i32_f32_e32 v23, v24
	v_exp_f32_e32 v22, v22
	v_cmp_nlt_f32_e32 vcc, s29, v13
	v_ldexp_f32 v22, v22, v23
	s_nop 0
	v_cndmask_b32_e32 v22, 0, v22, vcc
	v_cmp_ngt_f32_e32 vcc, s30, v13
	s_nop 1
	v_cndmask_b32_e32 v13, v20, v22, vcc
	v_sub_f32_e32 v13, 1.0, v13
.LBB552_13:                             ;   in Loop: Header=BB552_3 Depth=1
	s_andn2_saveexec_b64 s[20:21], s[20:21]
; %bb.14:                               ;   in Loop: Header=BB552_3 Depth=1
	v_mul_f32_e32 v13, v12, v12
	v_fmamk_f32 v22, v13, 0xba1345e1, v18
	v_fmaak_f32 v22, v13, v22, 0xbcdac9b8
	v_fmaak_f32 v22, v13, v22, 0x3de703be
	;; [unrolled: 1-line block ×4, first 2 shown]
	v_fma_f32 v13, |v12|, v13, |v12|
; %bb.15:                               ;   in Loop: Header=BB552_3 Depth=1
	s_or_b64 exec, exec, s[20:21]
	v_mul_f32_e32 v22, 0x3f3504f3, v15
	v_cmp_nlt_f32_e64 s[20:21], |v22|, 1.0
                                        ; implicit-def: $vgpr23
	s_and_saveexec_b64 s[34:35], s[20:21]
	s_xor_b64 s[20:21], exec, s[34:35]
	s_cbranch_execz .LBB552_17
; %bb.16:                               ;   in Loop: Header=BB552_3 Depth=1
	v_fma_f32 v23, |v22|, s22, v19
	v_fma_f32 v23, |v22|, v23, s23
	;; [unrolled: 1-line block ×6, first 2 shown]
	v_fma_f32 v23, |v22|, v23, |v22|
	v_mul_f32_e32 v24, 0xbfb8aa3b, v23
	v_fma_f32 v25, v23, s28, -v24
	v_rndne_f32_e32 v26, v24
	v_fmac_f32_e32 v25, 0xb2a5705f, v23
	v_sub_f32_e32 v24, v24, v26
	v_add_f32_e32 v24, v24, v25
	v_cvt_i32_f32_e32 v25, v26
	v_exp_f32_e32 v24, v24
	v_cmp_nlt_f32_e32 vcc, s29, v23
	v_ldexp_f32 v24, v24, v25
	s_nop 0
	v_cndmask_b32_e32 v24, 0, v24, vcc
	v_cmp_ngt_f32_e32 vcc, s30, v23
	s_nop 1
	v_cndmask_b32_e32 v23, v20, v24, vcc
	v_sub_f32_e32 v23, 1.0, v23
.LBB552_17:                             ;   in Loop: Header=BB552_3 Depth=1
	s_andn2_saveexec_b64 s[20:21], s[20:21]
; %bb.18:                               ;   in Loop: Header=BB552_3 Depth=1
	v_mul_f32_e32 v23, v22, v22
	v_fmamk_f32 v24, v23, 0xba1345e1, v18
	v_fmaak_f32 v24, v23, v24, 0xbcdac9b8
	v_fmaak_f32 v24, v23, v24, 0x3de703be
	;; [unrolled: 1-line block ×4, first 2 shown]
	v_fma_f32 v23, |v22|, v23, |v22|
; %bb.19:                               ;   in Loop: Header=BB552_3 Depth=1
	s_or_b64 exec, exec, s[20:21]
	v_bfi_b32 v12, s31, v13, v12
	v_mul_f32_e32 v14, 0.5, v14
	v_add_f32_e32 v12, 1.0, v12
	v_mul_f32_e32 v12, v14, v12
	v_bfi_b32 v14, s31, v23, v22
	v_mul_f32_e32 v13, 0.5, v15
	v_add_f32_e32 v14, 1.0, v14
	v_mul_f32_e32 v13, v13, v14
	;;#ASMSTART
	v_pk_mul_f32 v[10:11], v[12:13], v[10:11]
	;;#ASMEND
	v_mul_f32_e32 v12, 0x3f3504f3, v4
	v_cmp_nlt_f32_e64 s[20:21], |v12|, 1.0
                                        ; implicit-def: $vgpr13
	s_and_saveexec_b64 s[34:35], s[20:21]
	s_xor_b64 s[20:21], exec, s[34:35]
	s_cbranch_execz .LBB552_21
; %bb.20:                               ;   in Loop: Header=BB552_3 Depth=1
	v_fma_f32 v13, |v12|, s22, v19
	v_fma_f32 v13, |v12|, v13, s23
	;; [unrolled: 1-line block ×6, first 2 shown]
	v_fma_f32 v13, |v12|, v13, |v12|
	v_mul_f32_e32 v14, 0xbfb8aa3b, v13
	v_fma_f32 v15, v13, s28, -v14
	v_rndne_f32_e32 v22, v14
	v_fmac_f32_e32 v15, 0xb2a5705f, v13
	v_sub_f32_e32 v14, v14, v22
	v_add_f32_e32 v14, v14, v15
	v_cvt_i32_f32_e32 v15, v22
	v_exp_f32_e32 v14, v14
	v_cmp_nlt_f32_e32 vcc, s29, v13
	v_ldexp_f32 v14, v14, v15
	s_nop 0
	v_cndmask_b32_e32 v14, 0, v14, vcc
	v_cmp_ngt_f32_e32 vcc, s30, v13
	s_nop 1
	v_cndmask_b32_e32 v13, v20, v14, vcc
	v_sub_f32_e32 v13, 1.0, v13
.LBB552_21:                             ;   in Loop: Header=BB552_3 Depth=1
	s_andn2_saveexec_b64 s[20:21], s[20:21]
; %bb.22:                               ;   in Loop: Header=BB552_3 Depth=1
	v_mul_f32_e32 v13, v12, v12
	v_fmamk_f32 v14, v13, 0xba1345e1, v18
	v_fmaak_f32 v14, v13, v14, 0xbcdac9b8
	v_fmaak_f32 v14, v13, v14, 0x3de703be
	;; [unrolled: 1-line block ×4, first 2 shown]
	v_fma_f32 v13, |v12|, v13, |v12|
; %bb.23:                               ;   in Loop: Header=BB552_3 Depth=1
	s_or_b64 exec, exec, s[20:21]
	v_mul_f32_e32 v14, 0x3f3504f3, v5
	v_cmp_nlt_f32_e64 s[20:21], |v14|, 1.0
                                        ; implicit-def: $vgpr15
	s_and_saveexec_b64 s[34:35], s[20:21]
	s_xor_b64 s[20:21], exec, s[34:35]
	s_cbranch_execz .LBB552_25
; %bb.24:                               ;   in Loop: Header=BB552_3 Depth=1
	v_fma_f32 v15, |v14|, s22, v19
	v_fma_f32 v15, |v14|, v15, s23
	;; [unrolled: 1-line block ×6, first 2 shown]
	v_fma_f32 v15, |v14|, v15, |v14|
	v_mul_f32_e32 v22, 0xbfb8aa3b, v15
	v_fma_f32 v23, v15, s28, -v22
	v_rndne_f32_e32 v24, v22
	v_fmac_f32_e32 v23, 0xb2a5705f, v15
	v_sub_f32_e32 v22, v22, v24
	v_add_f32_e32 v22, v22, v23
	v_cvt_i32_f32_e32 v23, v24
	v_exp_f32_e32 v22, v22
	v_cmp_nlt_f32_e32 vcc, s29, v15
	v_ldexp_f32 v22, v22, v23
	s_nop 0
	v_cndmask_b32_e32 v22, 0, v22, vcc
	v_cmp_ngt_f32_e32 vcc, s30, v15
	s_nop 1
	v_cndmask_b32_e32 v15, v20, v22, vcc
	v_sub_f32_e32 v15, 1.0, v15
.LBB552_25:                             ;   in Loop: Header=BB552_3 Depth=1
	s_andn2_saveexec_b64 s[20:21], s[20:21]
; %bb.26:                               ;   in Loop: Header=BB552_3 Depth=1
	v_mul_f32_e32 v15, v14, v14
	v_fmamk_f32 v22, v15, 0xba1345e1, v18
	v_fmaak_f32 v22, v15, v22, 0xbcdac9b8
	v_fmaak_f32 v22, v15, v22, 0x3de703be
	v_fmaak_f32 v22, v15, v22, 0xbec09330
	v_fmaak_f32 v15, v15, v22, 0x3e0375d0
	v_fma_f32 v15, |v14|, v15, |v14|
; %bb.27:                               ;   in Loop: Header=BB552_3 Depth=1
	s_or_b64 exec, exec, s[20:21]
	v_bfi_b32 v12, s31, v13, v12
	v_mul_f32_e32 v4, 0.5, v4
	v_add_f32_e32 v12, 1.0, v12
	v_mul_f32_e32 v4, v4, v12
	v_bfi_b32 v12, s31, v15, v14
	v_mul_f32_e32 v5, 0.5, v5
	v_add_f32_e32 v12, 1.0, v12
	v_mul_f32_e32 v5, v5, v12
	s_waitcnt vmcnt(0)
	;;#ASMSTART
	v_pk_mul_f32 v[0:1], v[4:5], v[0:1]
	;;#ASMEND
	v_mul_f32_e32 v4, 0x3f3504f3, v6
	v_cmp_nlt_f32_e64 s[20:21], |v4|, 1.0
                                        ; implicit-def: $vgpr5
	s_and_saveexec_b64 s[34:35], s[20:21]
	s_xor_b64 s[20:21], exec, s[34:35]
	s_cbranch_execz .LBB552_29
; %bb.28:                               ;   in Loop: Header=BB552_3 Depth=1
	v_fma_f32 v5, |v4|, s22, v19
	v_fma_f32 v5, |v4|, v5, s23
	;; [unrolled: 1-line block ×6, first 2 shown]
	v_fma_f32 v5, |v4|, v5, |v4|
	v_mul_f32_e32 v12, 0xbfb8aa3b, v5
	v_fma_f32 v13, v5, s28, -v12
	v_rndne_f32_e32 v14, v12
	v_fmac_f32_e32 v13, 0xb2a5705f, v5
	v_sub_f32_e32 v12, v12, v14
	v_add_f32_e32 v12, v12, v13
	v_cvt_i32_f32_e32 v13, v14
	v_exp_f32_e32 v12, v12
	v_cmp_nlt_f32_e32 vcc, s29, v5
	v_ldexp_f32 v12, v12, v13
	s_nop 0
	v_cndmask_b32_e32 v12, 0, v12, vcc
	v_cmp_ngt_f32_e32 vcc, s30, v5
	s_nop 1
	v_cndmask_b32_e32 v5, v20, v12, vcc
	v_sub_f32_e32 v5, 1.0, v5
.LBB552_29:                             ;   in Loop: Header=BB552_3 Depth=1
	s_andn2_saveexec_b64 s[20:21], s[20:21]
; %bb.30:                               ;   in Loop: Header=BB552_3 Depth=1
	v_mul_f32_e32 v5, v4, v4
	v_fmamk_f32 v12, v5, 0xba1345e1, v18
	v_fmaak_f32 v12, v5, v12, 0xbcdac9b8
	v_fmaak_f32 v12, v5, v12, 0x3de703be
	;; [unrolled: 1-line block ×4, first 2 shown]
	v_fma_f32 v5, |v4|, v5, |v4|
; %bb.31:                               ;   in Loop: Header=BB552_3 Depth=1
	s_or_b64 exec, exec, s[20:21]
	v_mul_f32_e32 v12, 0x3f3504f3, v7
	v_cmp_nlt_f32_e64 s[20:21], |v12|, 1.0
                                        ; implicit-def: $vgpr13
	s_and_saveexec_b64 s[34:35], s[20:21]
	s_xor_b64 s[20:21], exec, s[34:35]
	s_cbranch_execz .LBB552_33
; %bb.32:                               ;   in Loop: Header=BB552_3 Depth=1
	v_fma_f32 v13, |v12|, s22, v19
	v_fma_f32 v13, |v12|, v13, s23
	;; [unrolled: 1-line block ×6, first 2 shown]
	v_fma_f32 v13, |v12|, v13, |v12|
	v_mul_f32_e32 v14, 0xbfb8aa3b, v13
	v_fma_f32 v15, v13, s28, -v14
	v_rndne_f32_e32 v22, v14
	v_fmac_f32_e32 v15, 0xb2a5705f, v13
	v_sub_f32_e32 v14, v14, v22
	v_add_f32_e32 v14, v14, v15
	v_cvt_i32_f32_e32 v15, v22
	v_exp_f32_e32 v14, v14
	v_cmp_nlt_f32_e32 vcc, s29, v13
	v_ldexp_f32 v14, v14, v15
	s_nop 0
	v_cndmask_b32_e32 v14, 0, v14, vcc
	v_cmp_ngt_f32_e32 vcc, s30, v13
	s_nop 1
	v_cndmask_b32_e32 v13, v20, v14, vcc
	v_sub_f32_e32 v13, 1.0, v13
.LBB552_33:                             ;   in Loop: Header=BB552_3 Depth=1
	s_andn2_saveexec_b64 s[20:21], s[20:21]
	s_cbranch_execz .LBB552_2
; %bb.34:                               ;   in Loop: Header=BB552_3 Depth=1
	v_mul_f32_e32 v13, v12, v12
	v_fmamk_f32 v14, v13, 0xba1345e1, v18
	v_fmaak_f32 v14, v13, v14, 0xbcdac9b8
	v_fmaak_f32 v14, v13, v14, 0x3de703be
	;; [unrolled: 1-line block ×4, first 2 shown]
	v_fma_f32 v13, |v12|, v13, |v12|
	s_branch .LBB552_2
.LBB552_35:
	s_endpgm
	.section	.rodata,"a",@progbits
	.p2align	6, 0x0
	.amdhsa_kernel _ZN5aiter18act_and_mul_kernelIffTnPFfRKT_EXadL_ZNS_11gelu_kernelIfEEfS3_EELi8ELb0ELi0EEEvPT0_PS2_if
		.amdhsa_group_segment_fixed_size 0
		.amdhsa_private_segment_fixed_size 0
		.amdhsa_kernarg_size 280
		.amdhsa_user_sgpr_count 2
		.amdhsa_user_sgpr_dispatch_ptr 0
		.amdhsa_user_sgpr_queue_ptr 0
		.amdhsa_user_sgpr_kernarg_segment_ptr 1
		.amdhsa_user_sgpr_dispatch_id 0
		.amdhsa_user_sgpr_kernarg_preload_length 0
		.amdhsa_user_sgpr_kernarg_preload_offset 0
		.amdhsa_user_sgpr_private_segment_size 0
		.amdhsa_uses_dynamic_stack 0
		.amdhsa_enable_private_segment 0
		.amdhsa_system_sgpr_workgroup_id_x 1
		.amdhsa_system_sgpr_workgroup_id_y 0
		.amdhsa_system_sgpr_workgroup_id_z 0
		.amdhsa_system_sgpr_workgroup_info 0
		.amdhsa_system_vgpr_workitem_id 0
		.amdhsa_next_free_vgpr 29
		.amdhsa_next_free_sgpr 36
		.amdhsa_accum_offset 32
		.amdhsa_reserve_vcc 1
		.amdhsa_float_round_mode_32 0
		.amdhsa_float_round_mode_16_64 0
		.amdhsa_float_denorm_mode_32 3
		.amdhsa_float_denorm_mode_16_64 3
		.amdhsa_dx10_clamp 1
		.amdhsa_ieee_mode 1
		.amdhsa_fp16_overflow 0
		.amdhsa_tg_split 0
		.amdhsa_exception_fp_ieee_invalid_op 0
		.amdhsa_exception_fp_denorm_src 0
		.amdhsa_exception_fp_ieee_div_zero 0
		.amdhsa_exception_fp_ieee_overflow 0
		.amdhsa_exception_fp_ieee_underflow 0
		.amdhsa_exception_fp_ieee_inexact 0
		.amdhsa_exception_int_div_zero 0
	.end_amdhsa_kernel
	.section	.text._ZN5aiter18act_and_mul_kernelIffTnPFfRKT_EXadL_ZNS_11gelu_kernelIfEEfS3_EELi8ELb0ELi0EEEvPT0_PS2_if,"axG",@progbits,_ZN5aiter18act_and_mul_kernelIffTnPFfRKT_EXadL_ZNS_11gelu_kernelIfEEfS3_EELi8ELb0ELi0EEEvPT0_PS2_if,comdat
.Lfunc_end552:
	.size	_ZN5aiter18act_and_mul_kernelIffTnPFfRKT_EXadL_ZNS_11gelu_kernelIfEEfS3_EELi8ELb0ELi0EEEvPT0_PS2_if, .Lfunc_end552-_ZN5aiter18act_and_mul_kernelIffTnPFfRKT_EXadL_ZNS_11gelu_kernelIfEEfS3_EELi8ELb0ELi0EEEvPT0_PS2_if
                                        ; -- End function
	.section	.AMDGPU.csdata,"",@progbits
; Kernel info:
; codeLenInByte = 2380
; NumSgprs: 42
; NumVgprs: 29
; NumAgprs: 0
; TotalNumVgprs: 29
; ScratchSize: 0
; MemoryBound: 0
; FloatMode: 240
; IeeeMode: 1
; LDSByteSize: 0 bytes/workgroup (compile time only)
; SGPRBlocks: 5
; VGPRBlocks: 3
; NumSGPRsForWavesPerEU: 42
; NumVGPRsForWavesPerEU: 29
; AccumOffset: 32
; Occupancy: 8
; WaveLimiterHint : 0
; COMPUTE_PGM_RSRC2:SCRATCH_EN: 0
; COMPUTE_PGM_RSRC2:USER_SGPR: 2
; COMPUTE_PGM_RSRC2:TRAP_HANDLER: 0
; COMPUTE_PGM_RSRC2:TGID_X_EN: 1
; COMPUTE_PGM_RSRC2:TGID_Y_EN: 0
; COMPUTE_PGM_RSRC2:TGID_Z_EN: 0
; COMPUTE_PGM_RSRC2:TIDIG_COMP_CNT: 0
; COMPUTE_PGM_RSRC3_GFX90A:ACCUM_OFFSET: 7
; COMPUTE_PGM_RSRC3_GFX90A:TG_SPLIT: 0
	.section	.text._ZN5aiter18act_and_mul_kernelIffTnPFfRKT_EXadL_ZNS_11gelu_kernelIfEEfS3_EELi4ELb0ELi0EEEvPT0_PS2_if,"axG",@progbits,_ZN5aiter18act_and_mul_kernelIffTnPFfRKT_EXadL_ZNS_11gelu_kernelIfEEfS3_EELi4ELb0ELi0EEEvPT0_PS2_if,comdat
	.protected	_ZN5aiter18act_and_mul_kernelIffTnPFfRKT_EXadL_ZNS_11gelu_kernelIfEEfS3_EELi4ELb0ELi0EEEvPT0_PS2_if ; -- Begin function _ZN5aiter18act_and_mul_kernelIffTnPFfRKT_EXadL_ZNS_11gelu_kernelIfEEfS3_EELi4ELb0ELi0EEEvPT0_PS2_if
	.globl	_ZN5aiter18act_and_mul_kernelIffTnPFfRKT_EXadL_ZNS_11gelu_kernelIfEEfS3_EELi4ELb0ELi0EEEvPT0_PS2_if
	.p2align	8
	.type	_ZN5aiter18act_and_mul_kernelIffTnPFfRKT_EXadL_ZNS_11gelu_kernelIfEEfS3_EELi4ELb0ELi0EEEvPT0_PS2_if,@function
_ZN5aiter18act_and_mul_kernelIffTnPFfRKT_EXadL_ZNS_11gelu_kernelIfEEfS3_EELi4ELb0ELi0EEEvPT0_PS2_if: ; @_ZN5aiter18act_and_mul_kernelIffTnPFfRKT_EXadL_ZNS_11gelu_kernelIfEEfS3_EELi4ELb0ELi0EEEvPT0_PS2_if
; %bb.0:
	s_load_dword s16, s[0:1], 0x10
	v_lshlrev_b32_e32 v8, 2, v0
	s_waitcnt lgkmcnt(0)
	v_cmp_gt_i32_e32 vcc, s16, v8
	s_and_saveexec_b64 s[4:5], vcc
	s_cbranch_execz .LBB553_19
; %bb.1:
	s_load_dwordx4 s[12:15], s[0:1], 0x0
	s_ashr_i32 s17, s16, 31
	s_mul_hi_u32 s3, s16, s2
	s_mul_i32 s4, s17, s2
	s_add_i32 s3, s3, s4
	s_mul_i32 s2, s16, s2
	s_lshl_b64 s[4:5], s[2:3], 3
	s_waitcnt lgkmcnt(0)
	s_add_u32 s4, s14, s4
	s_addc_u32 s5, s15, s5
	s_lshl_b64 s[6:7], s[16:17], 2
	s_add_u32 s8, s4, s6
	s_addc_u32 s9, s5, s7
	s_lshl_b32 s6, s16, 2
	s_and_b32 s5, s5, 0xffff
	s_and_b32 s9, s9, 0xffff
	s_lshl_b64 s[2:3], s[2:3], 2
	s_add_u32 s12, s12, s2
	s_addc_u32 s2, s13, s3
	s_and_b32 s13, s2, 0xffff
	s_mov_b32 s7, 0x20000
	s_add_u32 s0, s0, 24
	v_mov_b32_e32 v9, 0
	s_addc_u32 s1, s1, 0
	s_mov_b64 s[2:3], 0
	s_mov_b32 s19, 0
	s_mov_b32 s10, s6
	;; [unrolled: 1-line block ×12, first 2 shown]
	v_mov_b32_e32 v10, 0x3ba10414
	s_brev_b32 s31, -2
	v_mov_b32_e32 v11, 0xb9c68948
	v_mov_b32_e32 v12, 0x7f800000
	s_mov_b32 s14, s6
	s_mov_b32 s15, s7
                                        ; implicit-def: $vgpr0
                                        ; implicit-def: $vgpr0
	;; [unrolled: 1-line block ×4, first 2 shown]
	s_branch .LBB553_3
.LBB553_2:                              ;   in Loop: Header=BB553_3 Depth=1
	s_or_b64 exec, exec, s[20:21]
	v_bfi_b32 v4, s31, v5, v4
	v_mul_f32_e32 v6, 0.5, v6
	v_add_f32_e32 v4, 1.0, v4
	v_mul_f32_e32 v4, v6, v4
	v_bfi_b32 v6, s31, v15, v14
	v_mul_f32_e32 v5, 0.5, v7
	v_add_f32_e32 v6, 1.0, v6
	v_mul_f32_e32 v5, v5, v6
	;;#ASMSTART
	v_pk_mul_f32 v[2:3], v[4:5], v[2:3]
	;;#ASMEND
	s_load_dword s18, s[0:1], 0xc
	buffer_store_dwordx4 v[0:3], v13, s[12:15], 0 offen
	s_waitcnt lgkmcnt(0)
	s_and_b32 s18, s18, 0xffff
	s_lshl_b32 s18, s18, 2
	v_lshl_add_u64 v[8:9], s[18:19], 0, v[8:9]
	v_cmp_le_i64_e32 vcc, s[16:17], v[8:9]
	s_or_b64 s[2:3], vcc, s[2:3]
	s_andn2_b64 exec, exec, s[2:3]
	s_cbranch_execz .LBB553_19
.LBB553_3:                              ; =>This Inner Loop Header: Depth=1
	v_lshlrev_b32_e32 v13, 2, v8
	buffer_load_dwordx4 v[4:7], v13, s[4:7], 0 offen
	buffer_load_dwordx4 v[0:3], v13, s[8:11], 0 offen
                                        ; implicit-def: $vgpr15
	s_waitcnt vmcnt(1)
	v_mul_f32_e32 v14, 0x3f3504f3, v4
	v_cmp_nlt_f32_e64 s[20:21], |v14|, 1.0
	s_and_saveexec_b64 s[34:35], s[20:21]
	s_xor_b64 s[20:21], exec, s[34:35]
	s_cbranch_execz .LBB553_5
; %bb.4:                                ;   in Loop: Header=BB553_3 Depth=1
	v_fma_f32 v15, |v14|, s22, v11
	v_fma_f32 v15, |v14|, v15, s23
	;; [unrolled: 1-line block ×6, first 2 shown]
	v_fma_f32 v15, |v14|, v15, |v14|
	v_mul_f32_e32 v16, 0xbfb8aa3b, v15
	v_fma_f32 v17, v15, s28, -v16
	v_rndne_f32_e32 v18, v16
	v_fmac_f32_e32 v17, 0xb2a5705f, v15
	v_sub_f32_e32 v16, v16, v18
	v_add_f32_e32 v16, v16, v17
	v_cvt_i32_f32_e32 v17, v18
	v_exp_f32_e32 v16, v16
	v_cmp_nlt_f32_e32 vcc, s29, v15
	v_ldexp_f32 v16, v16, v17
	s_nop 0
	v_cndmask_b32_e32 v16, 0, v16, vcc
	v_cmp_ngt_f32_e32 vcc, s30, v15
	s_nop 1
	v_cndmask_b32_e32 v15, v12, v16, vcc
	v_sub_f32_e32 v15, 1.0, v15
.LBB553_5:                              ;   in Loop: Header=BB553_3 Depth=1
	s_andn2_saveexec_b64 s[20:21], s[20:21]
; %bb.6:                                ;   in Loop: Header=BB553_3 Depth=1
	v_mul_f32_e32 v15, v14, v14
	v_fmamk_f32 v16, v15, 0xba1345e1, v10
	v_fmaak_f32 v16, v15, v16, 0xbcdac9b8
	v_fmaak_f32 v16, v15, v16, 0x3de703be
	;; [unrolled: 1-line block ×4, first 2 shown]
	v_fma_f32 v15, |v14|, v15, |v14|
; %bb.7:                                ;   in Loop: Header=BB553_3 Depth=1
	s_or_b64 exec, exec, s[20:21]
	v_mul_f32_e32 v16, 0x3f3504f3, v5
	v_cmp_nlt_f32_e64 s[20:21], |v16|, 1.0
                                        ; implicit-def: $vgpr17
	s_and_saveexec_b64 s[34:35], s[20:21]
	s_xor_b64 s[20:21], exec, s[34:35]
	s_cbranch_execz .LBB553_9
; %bb.8:                                ;   in Loop: Header=BB553_3 Depth=1
	v_fma_f32 v17, |v16|, s22, v11
	v_fma_f32 v17, |v16|, v17, s23
	;; [unrolled: 1-line block ×6, first 2 shown]
	v_fma_f32 v17, |v16|, v17, |v16|
	v_mul_f32_e32 v18, 0xbfb8aa3b, v17
	v_fma_f32 v19, v17, s28, -v18
	v_rndne_f32_e32 v20, v18
	v_fmac_f32_e32 v19, 0xb2a5705f, v17
	v_sub_f32_e32 v18, v18, v20
	v_add_f32_e32 v18, v18, v19
	v_cvt_i32_f32_e32 v19, v20
	v_exp_f32_e32 v18, v18
	v_cmp_nlt_f32_e32 vcc, s29, v17
	v_ldexp_f32 v18, v18, v19
	s_nop 0
	v_cndmask_b32_e32 v18, 0, v18, vcc
	v_cmp_ngt_f32_e32 vcc, s30, v17
	s_nop 1
	v_cndmask_b32_e32 v17, v12, v18, vcc
	v_sub_f32_e32 v17, 1.0, v17
.LBB553_9:                              ;   in Loop: Header=BB553_3 Depth=1
	s_andn2_saveexec_b64 s[20:21], s[20:21]
; %bb.10:                               ;   in Loop: Header=BB553_3 Depth=1
	v_mul_f32_e32 v17, v16, v16
	v_fmamk_f32 v18, v17, 0xba1345e1, v10
	v_fmaak_f32 v18, v17, v18, 0xbcdac9b8
	v_fmaak_f32 v18, v17, v18, 0x3de703be
	;; [unrolled: 1-line block ×4, first 2 shown]
	v_fma_f32 v17, |v16|, v17, |v16|
; %bb.11:                               ;   in Loop: Header=BB553_3 Depth=1
	s_or_b64 exec, exec, s[20:21]
	v_bfi_b32 v14, s31, v15, v14
	v_mul_f32_e32 v4, 0.5, v4
	v_add_f32_e32 v14, 1.0, v14
	v_mul_f32_e32 v4, v4, v14
	v_bfi_b32 v14, s31, v17, v16
	v_mul_f32_e32 v5, 0.5, v5
	v_add_f32_e32 v14, 1.0, v14
	v_mul_f32_e32 v5, v5, v14
	s_waitcnt vmcnt(0)
	;;#ASMSTART
	v_pk_mul_f32 v[0:1], v[4:5], v[0:1]
	;;#ASMEND
	v_mul_f32_e32 v4, 0x3f3504f3, v6
	v_cmp_nlt_f32_e64 s[20:21], |v4|, 1.0
                                        ; implicit-def: $vgpr5
	s_and_saveexec_b64 s[34:35], s[20:21]
	s_xor_b64 s[20:21], exec, s[34:35]
	s_cbranch_execz .LBB553_13
; %bb.12:                               ;   in Loop: Header=BB553_3 Depth=1
	v_fma_f32 v5, |v4|, s22, v11
	v_fma_f32 v5, |v4|, v5, s23
	;; [unrolled: 1-line block ×6, first 2 shown]
	v_fma_f32 v5, |v4|, v5, |v4|
	v_mul_f32_e32 v14, 0xbfb8aa3b, v5
	v_fma_f32 v15, v5, s28, -v14
	v_rndne_f32_e32 v16, v14
	v_fmac_f32_e32 v15, 0xb2a5705f, v5
	v_sub_f32_e32 v14, v14, v16
	v_add_f32_e32 v14, v14, v15
	v_cvt_i32_f32_e32 v15, v16
	v_exp_f32_e32 v14, v14
	v_cmp_nlt_f32_e32 vcc, s29, v5
	v_ldexp_f32 v14, v14, v15
	s_nop 0
	v_cndmask_b32_e32 v14, 0, v14, vcc
	v_cmp_ngt_f32_e32 vcc, s30, v5
	s_nop 1
	v_cndmask_b32_e32 v5, v12, v14, vcc
	v_sub_f32_e32 v5, 1.0, v5
.LBB553_13:                             ;   in Loop: Header=BB553_3 Depth=1
	s_andn2_saveexec_b64 s[20:21], s[20:21]
; %bb.14:                               ;   in Loop: Header=BB553_3 Depth=1
	v_mul_f32_e32 v5, v4, v4
	v_fmamk_f32 v14, v5, 0xba1345e1, v10
	v_fmaak_f32 v14, v5, v14, 0xbcdac9b8
	v_fmaak_f32 v14, v5, v14, 0x3de703be
	;; [unrolled: 1-line block ×4, first 2 shown]
	v_fma_f32 v5, |v4|, v5, |v4|
; %bb.15:                               ;   in Loop: Header=BB553_3 Depth=1
	s_or_b64 exec, exec, s[20:21]
	v_mul_f32_e32 v14, 0x3f3504f3, v7
	v_cmp_nlt_f32_e64 s[20:21], |v14|, 1.0
                                        ; implicit-def: $vgpr15
	s_and_saveexec_b64 s[34:35], s[20:21]
	s_xor_b64 s[20:21], exec, s[34:35]
	s_cbranch_execz .LBB553_17
; %bb.16:                               ;   in Loop: Header=BB553_3 Depth=1
	v_fma_f32 v15, |v14|, s22, v11
	v_fma_f32 v15, |v14|, v15, s23
	;; [unrolled: 1-line block ×6, first 2 shown]
	v_fma_f32 v15, |v14|, v15, |v14|
	v_mul_f32_e32 v16, 0xbfb8aa3b, v15
	v_fma_f32 v17, v15, s28, -v16
	v_rndne_f32_e32 v18, v16
	v_fmac_f32_e32 v17, 0xb2a5705f, v15
	v_sub_f32_e32 v16, v16, v18
	v_add_f32_e32 v16, v16, v17
	v_cvt_i32_f32_e32 v17, v18
	v_exp_f32_e32 v16, v16
	v_cmp_nlt_f32_e32 vcc, s29, v15
	v_ldexp_f32 v16, v16, v17
	s_nop 0
	v_cndmask_b32_e32 v16, 0, v16, vcc
	v_cmp_ngt_f32_e32 vcc, s30, v15
	s_nop 1
	v_cndmask_b32_e32 v15, v12, v16, vcc
	v_sub_f32_e32 v15, 1.0, v15
.LBB553_17:                             ;   in Loop: Header=BB553_3 Depth=1
	s_andn2_saveexec_b64 s[20:21], s[20:21]
	s_cbranch_execz .LBB553_2
; %bb.18:                               ;   in Loop: Header=BB553_3 Depth=1
	v_mul_f32_e32 v15, v14, v14
	v_fmamk_f32 v16, v15, 0xba1345e1, v10
	v_fmaak_f32 v16, v15, v16, 0xbcdac9b8
	v_fmaak_f32 v16, v15, v16, 0x3de703be
	;; [unrolled: 1-line block ×4, first 2 shown]
	v_fma_f32 v15, |v14|, v15, |v14|
	s_branch .LBB553_2
.LBB553_19:
	s_endpgm
	.section	.rodata,"a",@progbits
	.p2align	6, 0x0
	.amdhsa_kernel _ZN5aiter18act_and_mul_kernelIffTnPFfRKT_EXadL_ZNS_11gelu_kernelIfEEfS3_EELi4ELb0ELi0EEEvPT0_PS2_if
		.amdhsa_group_segment_fixed_size 0
		.amdhsa_private_segment_fixed_size 0
		.amdhsa_kernarg_size 280
		.amdhsa_user_sgpr_count 2
		.amdhsa_user_sgpr_dispatch_ptr 0
		.amdhsa_user_sgpr_queue_ptr 0
		.amdhsa_user_sgpr_kernarg_segment_ptr 1
		.amdhsa_user_sgpr_dispatch_id 0
		.amdhsa_user_sgpr_kernarg_preload_length 0
		.amdhsa_user_sgpr_kernarg_preload_offset 0
		.amdhsa_user_sgpr_private_segment_size 0
		.amdhsa_uses_dynamic_stack 0
		.amdhsa_enable_private_segment 0
		.amdhsa_system_sgpr_workgroup_id_x 1
		.amdhsa_system_sgpr_workgroup_id_y 0
		.amdhsa_system_sgpr_workgroup_id_z 0
		.amdhsa_system_sgpr_workgroup_info 0
		.amdhsa_system_vgpr_workitem_id 0
		.amdhsa_next_free_vgpr 21
		.amdhsa_next_free_sgpr 36
		.amdhsa_accum_offset 24
		.amdhsa_reserve_vcc 1
		.amdhsa_float_round_mode_32 0
		.amdhsa_float_round_mode_16_64 0
		.amdhsa_float_denorm_mode_32 3
		.amdhsa_float_denorm_mode_16_64 3
		.amdhsa_dx10_clamp 1
		.amdhsa_ieee_mode 1
		.amdhsa_fp16_overflow 0
		.amdhsa_tg_split 0
		.amdhsa_exception_fp_ieee_invalid_op 0
		.amdhsa_exception_fp_denorm_src 0
		.amdhsa_exception_fp_ieee_div_zero 0
		.amdhsa_exception_fp_ieee_overflow 0
		.amdhsa_exception_fp_ieee_underflow 0
		.amdhsa_exception_fp_ieee_inexact 0
		.amdhsa_exception_int_div_zero 0
	.end_amdhsa_kernel
	.section	.text._ZN5aiter18act_and_mul_kernelIffTnPFfRKT_EXadL_ZNS_11gelu_kernelIfEEfS3_EELi4ELb0ELi0EEEvPT0_PS2_if,"axG",@progbits,_ZN5aiter18act_and_mul_kernelIffTnPFfRKT_EXadL_ZNS_11gelu_kernelIfEEfS3_EELi4ELb0ELi0EEEvPT0_PS2_if,comdat
.Lfunc_end553:
	.size	_ZN5aiter18act_and_mul_kernelIffTnPFfRKT_EXadL_ZNS_11gelu_kernelIfEEfS3_EELi4ELb0ELi0EEEvPT0_PS2_if, .Lfunc_end553-_ZN5aiter18act_and_mul_kernelIffTnPFfRKT_EXadL_ZNS_11gelu_kernelIfEEfS3_EELi4ELb0ELi0EEEvPT0_PS2_if
                                        ; -- End function
	.section	.AMDGPU.csdata,"",@progbits
; Kernel info:
; codeLenInByte = 1360
; NumSgprs: 42
; NumVgprs: 21
; NumAgprs: 0
; TotalNumVgprs: 21
; ScratchSize: 0
; MemoryBound: 0
; FloatMode: 240
; IeeeMode: 1
; LDSByteSize: 0 bytes/workgroup (compile time only)
; SGPRBlocks: 5
; VGPRBlocks: 2
; NumSGPRsForWavesPerEU: 42
; NumVGPRsForWavesPerEU: 21
; AccumOffset: 24
; Occupancy: 8
; WaveLimiterHint : 0
; COMPUTE_PGM_RSRC2:SCRATCH_EN: 0
; COMPUTE_PGM_RSRC2:USER_SGPR: 2
; COMPUTE_PGM_RSRC2:TRAP_HANDLER: 0
; COMPUTE_PGM_RSRC2:TGID_X_EN: 1
; COMPUTE_PGM_RSRC2:TGID_Y_EN: 0
; COMPUTE_PGM_RSRC2:TGID_Z_EN: 0
; COMPUTE_PGM_RSRC2:TIDIG_COMP_CNT: 0
; COMPUTE_PGM_RSRC3_GFX90A:ACCUM_OFFSET: 5
; COMPUTE_PGM_RSRC3_GFX90A:TG_SPLIT: 0
	.section	.text._ZN5aiter18act_and_mul_kernelIffTnPFfRKT_EXadL_ZNS_11gelu_kernelIfEEfS3_EELi2ELb0ELi0EEEvPT0_PS2_if,"axG",@progbits,_ZN5aiter18act_and_mul_kernelIffTnPFfRKT_EXadL_ZNS_11gelu_kernelIfEEfS3_EELi2ELb0ELi0EEEvPT0_PS2_if,comdat
	.protected	_ZN5aiter18act_and_mul_kernelIffTnPFfRKT_EXadL_ZNS_11gelu_kernelIfEEfS3_EELi2ELb0ELi0EEEvPT0_PS2_if ; -- Begin function _ZN5aiter18act_and_mul_kernelIffTnPFfRKT_EXadL_ZNS_11gelu_kernelIfEEfS3_EELi2ELb0ELi0EEEvPT0_PS2_if
	.globl	_ZN5aiter18act_and_mul_kernelIffTnPFfRKT_EXadL_ZNS_11gelu_kernelIfEEfS3_EELi2ELb0ELi0EEEvPT0_PS2_if
	.p2align	8
	.type	_ZN5aiter18act_and_mul_kernelIffTnPFfRKT_EXadL_ZNS_11gelu_kernelIfEEfS3_EELi2ELb0ELi0EEEvPT0_PS2_if,@function
_ZN5aiter18act_and_mul_kernelIffTnPFfRKT_EXadL_ZNS_11gelu_kernelIfEEfS3_EELi2ELb0ELi0EEEvPT0_PS2_if: ; @_ZN5aiter18act_and_mul_kernelIffTnPFfRKT_EXadL_ZNS_11gelu_kernelIfEEfS3_EELi2ELb0ELi0EEEvPT0_PS2_if
; %bb.0:
	s_load_dword s16, s[0:1], 0x10
	v_lshlrev_b32_e32 v0, 1, v0
	s_waitcnt lgkmcnt(0)
	v_cmp_gt_i32_e32 vcc, s16, v0
	s_and_saveexec_b64 s[4:5], vcc
	s_cbranch_execz .LBB554_7
; %bb.1:
	s_load_dwordx4 s[12:15], s[0:1], 0x0
	s_ashr_i32 s17, s16, 31
	s_mul_hi_u32 s3, s16, s2
	s_mul_i32 s4, s17, s2
	s_add_i32 s3, s3, s4
	s_mul_i32 s2, s16, s2
	s_lshl_b64 s[4:5], s[2:3], 3
	s_waitcnt lgkmcnt(0)
	s_add_u32 s4, s14, s4
	s_addc_u32 s5, s15, s5
	s_lshl_b64 s[6:7], s[16:17], 2
	s_add_u32 s8, s4, s6
	s_addc_u32 s9, s5, s7
	s_lshl_b32 s6, s16, 2
	s_and_b32 s5, s5, 0xffff
	s_and_b32 s9, s9, 0xffff
	s_lshl_b64 s[2:3], s[2:3], 2
	s_add_u32 s12, s12, s2
	s_addc_u32 s2, s13, s3
	s_and_b32 s13, s2, 0xffff
	s_mov_b32 s7, 0x20000
	s_add_u32 s0, s0, 24
	v_mov_b32_e32 v1, 0
	s_addc_u32 s1, s1, 0
	s_mov_b64 s[2:3], 0
	s_mov_b32 s19, 0
	s_mov_b32 s10, s6
	;; [unrolled: 1-line block ×13, first 2 shown]
	v_mov_b32_e32 v10, 0x3ba10414
	v_mov_b32_e32 v11, 0xb9c68948
	;; [unrolled: 1-line block ×3, first 2 shown]
	s_brev_b32 s33, -2
	s_mov_b32 s14, s6
	s_mov_b32 s15, s7
                                        ; implicit-def: $vgpr2
                                        ; implicit-def: $vgpr2
	;; [unrolled: 1-line block ×4, first 2 shown]
	s_branch .LBB554_3
.LBB554_2:                              ;   in Loop: Header=BB554_3 Depth=1
	s_or_b64 exec, exec, s[22:23]
	v_fma_f32 v8, |v5|, s21, v11
	v_fma_f32 v8, |v5|, v8, s24
	;; [unrolled: 1-line block ×6, first 2 shown]
	v_fma_f32 v8, |v5|, v8, |v5|
	v_mul_f32_e32 v15, 0xbfb8aa3b, v8
	v_fma_f32 v16, v8, s29, -v15
	v_rndne_f32_e32 v17, v15
	v_fmac_f32_e32 v16, 0xb2a5705f, v8
	v_sub_f32_e32 v15, v15, v17
	v_add_f32_e32 v15, v15, v16
	v_exp_f32_e32 v15, v15
	v_cvt_i32_f32_e32 v16, v17
	v_cmp_nlt_f32_e32 vcc, s30, v8
	v_bfi_b32 v4, s33, v14, v4
	v_mul_f32_e32 v7, 0.5, v7
	v_ldexp_f32 v15, v15, v16
	v_cndmask_b32_e32 v15, 0, v15, vcc
	v_cmp_ngt_f32_e32 vcc, s31, v8
	v_mul_f32_e32 v6, 0.5, v6
	s_nop 0
	v_cndmask_b32_e32 v8, v12, v15, vcc
	v_fmamk_f32 v15, v9, 0xba1345e1, v10
	v_fmaak_f32 v15, v9, v15, 0xbcdac9b8
	v_fmaak_f32 v15, v9, v15, 0x3de703be
	;; [unrolled: 1-line block ×4, first 2 shown]
	v_sub_f32_e32 v8, 1.0, v8
	v_fma_f32 v9, |v5|, v9, |v5|
	v_cmp_lt_f32_e64 vcc, |v5|, 1.0
	s_nop 1
	v_cndmask_b32_e32 v8, v8, v9, vcc
	v_bfi_b32 v5, s33, v8, v5
	v_pk_add_f32 v[4:5], v[4:5], 1.0 op_sel_hi:[1,0]
	s_nop 0
	v_pk_mul_f32 v[4:5], v[6:7], v[4:5]
	s_waitcnt vmcnt(0)
	;;#ASMSTART
	v_pk_mul_f32 v[2:3], v[4:5], v[2:3]
	;;#ASMEND
	s_load_dword s18, s[0:1], 0xc
	buffer_store_dwordx2 v[2:3], v13, s[12:15], 0 offen
	s_waitcnt lgkmcnt(0)
	s_and_b32 s18, s18, 0xffff
	s_lshl_b32 s18, s18, 1
	v_lshl_add_u64 v[0:1], s[18:19], 0, v[0:1]
	v_cmp_le_i64_e32 vcc, s[16:17], v[0:1]
	s_or_b64 s[2:3], vcc, s[2:3]
	s_andn2_b64 exec, exec, s[2:3]
	s_cbranch_execz .LBB554_7
.LBB554_3:                              ; =>This Inner Loop Header: Depth=1
	v_lshlrev_b32_e32 v13, 2, v0
	buffer_load_dwordx2 v[6:7], v13, s[4:7], 0 offen
	buffer_load_dwordx2 v[2:3], v13, s[8:11], 0 offen
                                        ; implicit-def: $vgpr14
	s_waitcnt vmcnt(1)
	v_pk_mul_f32 v[4:5], v[6:7], s[20:21] op_sel_hi:[1,0]
	s_nop 0
	v_cmp_nlt_f32_e64 s[22:23], |v4|, 1.0
	s_and_saveexec_b64 s[34:35], s[22:23]
	s_xor_b64 s[22:23], exec, s[34:35]
	s_cbranch_execz .LBB554_5
; %bb.4:                                ;   in Loop: Header=BB554_3 Depth=1
	v_fma_f32 v8, |v4|, s21, v11
	v_fma_f32 v8, |v4|, v8, s24
	;; [unrolled: 1-line block ×6, first 2 shown]
	v_fma_f32 v8, |v4|, v8, |v4|
	v_mul_f32_e32 v9, 0xbfb8aa3b, v8
	v_fma_f32 v14, v8, s29, -v9
	v_rndne_f32_e32 v15, v9
	v_fmac_f32_e32 v14, 0xb2a5705f, v8
	v_sub_f32_e32 v9, v9, v15
	v_add_f32_e32 v9, v9, v14
	v_cvt_i32_f32_e32 v14, v15
	v_exp_f32_e32 v9, v9
	v_cmp_nlt_f32_e32 vcc, s30, v8
	v_ldexp_f32 v9, v9, v14
	s_nop 0
	v_cndmask_b32_e32 v9, 0, v9, vcc
	v_cmp_ngt_f32_e32 vcc, s31, v8
	s_nop 1
	v_cndmask_b32_e32 v8, v12, v9, vcc
	v_sub_f32_e32 v14, 1.0, v8
.LBB554_5:                              ;   in Loop: Header=BB554_3 Depth=1
	s_or_saveexec_b64 s[22:23], s[22:23]
	v_pk_mul_f32 v[8:9], v[4:5], v[4:5]
	s_xor_b64 exec, exec, s[22:23]
	s_cbranch_execz .LBB554_2
; %bb.6:                                ;   in Loop: Header=BB554_3 Depth=1
	v_fmamk_f32 v14, v8, 0xba1345e1, v10
	v_fmaak_f32 v14, v8, v14, 0xbcdac9b8
	v_fmaak_f32 v14, v8, v14, 0x3de703be
	;; [unrolled: 1-line block ×4, first 2 shown]
	v_fma_f32 v14, |v4|, v8, |v4|
	s_branch .LBB554_2
.LBB554_7:
	s_endpgm
	.section	.rodata,"a",@progbits
	.p2align	6, 0x0
	.amdhsa_kernel _ZN5aiter18act_and_mul_kernelIffTnPFfRKT_EXadL_ZNS_11gelu_kernelIfEEfS3_EELi2ELb0ELi0EEEvPT0_PS2_if
		.amdhsa_group_segment_fixed_size 0
		.amdhsa_private_segment_fixed_size 0
		.amdhsa_kernarg_size 280
		.amdhsa_user_sgpr_count 2
		.amdhsa_user_sgpr_dispatch_ptr 0
		.amdhsa_user_sgpr_queue_ptr 0
		.amdhsa_user_sgpr_kernarg_segment_ptr 1
		.amdhsa_user_sgpr_dispatch_id 0
		.amdhsa_user_sgpr_kernarg_preload_length 0
		.amdhsa_user_sgpr_kernarg_preload_offset 0
		.amdhsa_user_sgpr_private_segment_size 0
		.amdhsa_uses_dynamic_stack 0
		.amdhsa_enable_private_segment 0
		.amdhsa_system_sgpr_workgroup_id_x 1
		.amdhsa_system_sgpr_workgroup_id_y 0
		.amdhsa_system_sgpr_workgroup_id_z 0
		.amdhsa_system_sgpr_workgroup_info 0
		.amdhsa_system_vgpr_workitem_id 0
		.amdhsa_next_free_vgpr 18
		.amdhsa_next_free_sgpr 36
		.amdhsa_accum_offset 20
		.amdhsa_reserve_vcc 1
		.amdhsa_float_round_mode_32 0
		.amdhsa_float_round_mode_16_64 0
		.amdhsa_float_denorm_mode_32 3
		.amdhsa_float_denorm_mode_16_64 3
		.amdhsa_dx10_clamp 1
		.amdhsa_ieee_mode 1
		.amdhsa_fp16_overflow 0
		.amdhsa_tg_split 0
		.amdhsa_exception_fp_ieee_invalid_op 0
		.amdhsa_exception_fp_denorm_src 0
		.amdhsa_exception_fp_ieee_div_zero 0
		.amdhsa_exception_fp_ieee_overflow 0
		.amdhsa_exception_fp_ieee_underflow 0
		.amdhsa_exception_fp_ieee_inexact 0
		.amdhsa_exception_int_div_zero 0
	.end_amdhsa_kernel
	.section	.text._ZN5aiter18act_and_mul_kernelIffTnPFfRKT_EXadL_ZNS_11gelu_kernelIfEEfS3_EELi2ELb0ELi0EEEvPT0_PS2_if,"axG",@progbits,_ZN5aiter18act_and_mul_kernelIffTnPFfRKT_EXadL_ZNS_11gelu_kernelIfEEfS3_EELi2ELb0ELi0EEEvPT0_PS2_if,comdat
.Lfunc_end554:
	.size	_ZN5aiter18act_and_mul_kernelIffTnPFfRKT_EXadL_ZNS_11gelu_kernelIfEEfS3_EELi2ELb0ELi0EEEvPT0_PS2_if, .Lfunc_end554-_ZN5aiter18act_and_mul_kernelIffTnPFfRKT_EXadL_ZNS_11gelu_kernelIfEEfS3_EELi2ELb0ELi0EEEvPT0_PS2_if
                                        ; -- End function
	.section	.AMDGPU.csdata,"",@progbits
; Kernel info:
; codeLenInByte = 860
; NumSgprs: 42
; NumVgprs: 18
; NumAgprs: 0
; TotalNumVgprs: 18
; ScratchSize: 0
; MemoryBound: 0
; FloatMode: 240
; IeeeMode: 1
; LDSByteSize: 0 bytes/workgroup (compile time only)
; SGPRBlocks: 5
; VGPRBlocks: 2
; NumSGPRsForWavesPerEU: 42
; NumVGPRsForWavesPerEU: 18
; AccumOffset: 20
; Occupancy: 8
; WaveLimiterHint : 0
; COMPUTE_PGM_RSRC2:SCRATCH_EN: 0
; COMPUTE_PGM_RSRC2:USER_SGPR: 2
; COMPUTE_PGM_RSRC2:TRAP_HANDLER: 0
; COMPUTE_PGM_RSRC2:TGID_X_EN: 1
; COMPUTE_PGM_RSRC2:TGID_Y_EN: 0
; COMPUTE_PGM_RSRC2:TGID_Z_EN: 0
; COMPUTE_PGM_RSRC2:TIDIG_COMP_CNT: 0
; COMPUTE_PGM_RSRC3_GFX90A:ACCUM_OFFSET: 4
; COMPUTE_PGM_RSRC3_GFX90A:TG_SPLIT: 0
	.section	.text._ZN5aiter18act_and_mul_kernelIffTnPFfRKT_EXadL_ZNS_11gelu_kernelIfEEfS3_EELi1ELb0ELi0EEEvPT0_PS2_if,"axG",@progbits,_ZN5aiter18act_and_mul_kernelIffTnPFfRKT_EXadL_ZNS_11gelu_kernelIfEEfS3_EELi1ELb0ELi0EEEvPT0_PS2_if,comdat
	.protected	_ZN5aiter18act_and_mul_kernelIffTnPFfRKT_EXadL_ZNS_11gelu_kernelIfEEfS3_EELi1ELb0ELi0EEEvPT0_PS2_if ; -- Begin function _ZN5aiter18act_and_mul_kernelIffTnPFfRKT_EXadL_ZNS_11gelu_kernelIfEEfS3_EELi1ELb0ELi0EEEvPT0_PS2_if
	.globl	_ZN5aiter18act_and_mul_kernelIffTnPFfRKT_EXadL_ZNS_11gelu_kernelIfEEfS3_EELi1ELb0ELi0EEEvPT0_PS2_if
	.p2align	8
	.type	_ZN5aiter18act_and_mul_kernelIffTnPFfRKT_EXadL_ZNS_11gelu_kernelIfEEfS3_EELi1ELb0ELi0EEEvPT0_PS2_if,@function
_ZN5aiter18act_and_mul_kernelIffTnPFfRKT_EXadL_ZNS_11gelu_kernelIfEEfS3_EELi1ELb0ELi0EEEvPT0_PS2_if: ; @_ZN5aiter18act_and_mul_kernelIffTnPFfRKT_EXadL_ZNS_11gelu_kernelIfEEfS3_EELi1ELb0ELi0EEEvPT0_PS2_if
; %bb.0:
	s_load_dword s12, s[0:1], 0x10
	s_waitcnt lgkmcnt(0)
	v_cmp_gt_i32_e32 vcc, s12, v0
	s_and_saveexec_b64 s[4:5], vcc
	s_cbranch_execz .LBB555_7
; %bb.1:
	s_load_dwordx4 s[8:11], s[0:1], 0x0
	s_load_dword s14, s[0:1], 0x24
	s_ashr_i32 s13, s12, 31
	s_mul_hi_u32 s3, s12, s2
	s_mul_i32 s4, s13, s2
	s_add_i32 s7, s3, s4
	s_mul_i32 s6, s12, s2
	s_lshl_b64 s[2:3], s[6:7], 3
	s_waitcnt lgkmcnt(0)
	s_add_u32 s0, s10, s2
	s_addc_u32 s1, s11, s3
	s_lshl_b64 s[2:3], s[12:13], 2
	s_add_u32 s4, s0, s2
	s_addc_u32 s5, s1, s3
	s_lshl_b32 s2, s12, 2
	s_and_b32 s1, s1, 0xffff
	s_and_b32 s5, s5, 0xffff
	s_lshl_b64 s[6:7], s[6:7], 2
	s_add_u32 s8, s8, s6
	s_mov_b32 s3, 0x20000
	s_addc_u32 s6, s9, s7
	s_and_b32 s14, s14, 0xffff
                                        ; implicit-def: $vgpr4
                                        ; implicit-def: $vgpr4
	;; [unrolled: 1-line block ×4, first 2 shown]
	s_and_b32 s9, s6, 0xffff
	s_mov_b32 s15, 0
	v_mov_b32_e32 v1, 0
	v_lshlrev_b32_e32 v2, 2, v0
	s_lshl_b32 s20, s14, 2
	s_mov_b64 s[16:17], 0
	s_mov_b32 s6, s2
	s_mov_b32 s7, s3
	;; [unrolled: 1-line block ×11, first 2 shown]
	v_mov_b32_e32 v3, 0x3ba10414
	s_brev_b32 s30, -2
	v_mov_b32_e32 v4, 0xb9c68948
	v_mov_b32_e32 v5, 0x7f800000
	s_mov_b32 s10, s2
	s_mov_b32 s11, s3
	s_branch .LBB555_3
.LBB555_2:                              ;   in Loop: Header=BB555_3 Depth=1
	s_or_b64 exec, exec, s[18:19]
	v_bfi_b32 v8, s30, v9, v8
	v_mul_f32_e32 v7, 0.5, v7
	v_add_f32_e32 v8, 1.0, v8
	v_mul_f32_e32 v7, v7, v8
	v_lshl_add_u64 v[0:1], v[0:1], 0, s[14:15]
	s_waitcnt vmcnt(0)
	v_mul_f32_e32 v6, v7, v6
	v_cmp_le_i64_e32 vcc, s[12:13], v[0:1]
	buffer_store_dword v6, v2, s[8:11], 0 offen
	s_or_b64 s[16:17], vcc, s[16:17]
	v_add_u32_e32 v2, s20, v2
	s_andn2_b64 exec, exec, s[16:17]
	s_cbranch_execz .LBB555_7
.LBB555_3:                              ; =>This Inner Loop Header: Depth=1
	buffer_load_dword v7, v2, s[0:3], 0 offen
	buffer_load_dword v6, v2, s[4:7], 0 offen
                                        ; implicit-def: $vgpr9
	s_waitcnt vmcnt(1)
	v_mul_f32_e32 v8, 0x3f3504f3, v7
	v_cmp_nlt_f32_e64 s[18:19], |v8|, 1.0
	s_and_saveexec_b64 s[34:35], s[18:19]
	s_xor_b64 s[18:19], exec, s[34:35]
	s_cbranch_execz .LBB555_5
; %bb.4:                                ;   in Loop: Header=BB555_3 Depth=1
	v_fma_f32 v9, |v8|, s21, v4
	v_fma_f32 v9, |v8|, v9, s22
	;; [unrolled: 1-line block ×6, first 2 shown]
	v_fma_f32 v9, |v8|, v9, |v8|
	v_mul_f32_e32 v10, 0xbfb8aa3b, v9
	v_fma_f32 v11, v9, s27, -v10
	v_rndne_f32_e32 v12, v10
	v_fmac_f32_e32 v11, 0xb2a5705f, v9
	v_sub_f32_e32 v10, v10, v12
	v_add_f32_e32 v10, v10, v11
	v_cvt_i32_f32_e32 v11, v12
	v_exp_f32_e32 v10, v10
	v_cmp_nlt_f32_e32 vcc, s28, v9
	v_ldexp_f32 v10, v10, v11
	s_nop 0
	v_cndmask_b32_e32 v10, 0, v10, vcc
	v_cmp_ngt_f32_e32 vcc, s29, v9
	s_nop 1
	v_cndmask_b32_e32 v9, v5, v10, vcc
	v_sub_f32_e32 v9, 1.0, v9
.LBB555_5:                              ;   in Loop: Header=BB555_3 Depth=1
	s_andn2_saveexec_b64 s[18:19], s[18:19]
	s_cbranch_execz .LBB555_2
; %bb.6:                                ;   in Loop: Header=BB555_3 Depth=1
	v_mul_f32_e32 v9, v8, v8
	v_fmamk_f32 v10, v9, 0xba1345e1, v3
	v_fmaak_f32 v10, v9, v10, 0xbcdac9b8
	v_fmaak_f32 v10, v9, v10, 0x3de703be
	;; [unrolled: 1-line block ×4, first 2 shown]
	v_fma_f32 v9, |v8|, v9, |v8|
	s_branch .LBB555_2
.LBB555_7:
	s_endpgm
	.section	.rodata,"a",@progbits
	.p2align	6, 0x0
	.amdhsa_kernel _ZN5aiter18act_and_mul_kernelIffTnPFfRKT_EXadL_ZNS_11gelu_kernelIfEEfS3_EELi1ELb0ELi0EEEvPT0_PS2_if
		.amdhsa_group_segment_fixed_size 0
		.amdhsa_private_segment_fixed_size 0
		.amdhsa_kernarg_size 280
		.amdhsa_user_sgpr_count 2
		.amdhsa_user_sgpr_dispatch_ptr 0
		.amdhsa_user_sgpr_queue_ptr 0
		.amdhsa_user_sgpr_kernarg_segment_ptr 1
		.amdhsa_user_sgpr_dispatch_id 0
		.amdhsa_user_sgpr_kernarg_preload_length 0
		.amdhsa_user_sgpr_kernarg_preload_offset 0
		.amdhsa_user_sgpr_private_segment_size 0
		.amdhsa_uses_dynamic_stack 0
		.amdhsa_enable_private_segment 0
		.amdhsa_system_sgpr_workgroup_id_x 1
		.amdhsa_system_sgpr_workgroup_id_y 0
		.amdhsa_system_sgpr_workgroup_id_z 0
		.amdhsa_system_sgpr_workgroup_info 0
		.amdhsa_system_vgpr_workitem_id 0
		.amdhsa_next_free_vgpr 13
		.amdhsa_next_free_sgpr 36
		.amdhsa_accum_offset 16
		.amdhsa_reserve_vcc 1
		.amdhsa_float_round_mode_32 0
		.amdhsa_float_round_mode_16_64 0
		.amdhsa_float_denorm_mode_32 3
		.amdhsa_float_denorm_mode_16_64 3
		.amdhsa_dx10_clamp 1
		.amdhsa_ieee_mode 1
		.amdhsa_fp16_overflow 0
		.amdhsa_tg_split 0
		.amdhsa_exception_fp_ieee_invalid_op 0
		.amdhsa_exception_fp_denorm_src 0
		.amdhsa_exception_fp_ieee_div_zero 0
		.amdhsa_exception_fp_ieee_overflow 0
		.amdhsa_exception_fp_ieee_underflow 0
		.amdhsa_exception_fp_ieee_inexact 0
		.amdhsa_exception_int_div_zero 0
	.end_amdhsa_kernel
	.section	.text._ZN5aiter18act_and_mul_kernelIffTnPFfRKT_EXadL_ZNS_11gelu_kernelIfEEfS3_EELi1ELb0ELi0EEEvPT0_PS2_if,"axG",@progbits,_ZN5aiter18act_and_mul_kernelIffTnPFfRKT_EXadL_ZNS_11gelu_kernelIfEEfS3_EELi1ELb0ELi0EEEvPT0_PS2_if,comdat
.Lfunc_end555:
	.size	_ZN5aiter18act_and_mul_kernelIffTnPFfRKT_EXadL_ZNS_11gelu_kernelIfEEfS3_EELi1ELb0ELi0EEEvPT0_PS2_if, .Lfunc_end555-_ZN5aiter18act_and_mul_kernelIffTnPFfRKT_EXadL_ZNS_11gelu_kernelIfEEfS3_EELi1ELb0ELi0EEEvPT0_PS2_if
                                        ; -- End function
	.section	.AMDGPU.csdata,"",@progbits
; Kernel info:
; codeLenInByte = 604
; NumSgprs: 42
; NumVgprs: 13
; NumAgprs: 0
; TotalNumVgprs: 13
; ScratchSize: 0
; MemoryBound: 0
; FloatMode: 240
; IeeeMode: 1
; LDSByteSize: 0 bytes/workgroup (compile time only)
; SGPRBlocks: 5
; VGPRBlocks: 1
; NumSGPRsForWavesPerEU: 42
; NumVGPRsForWavesPerEU: 13
; AccumOffset: 16
; Occupancy: 8
; WaveLimiterHint : 0
; COMPUTE_PGM_RSRC2:SCRATCH_EN: 0
; COMPUTE_PGM_RSRC2:USER_SGPR: 2
; COMPUTE_PGM_RSRC2:TRAP_HANDLER: 0
; COMPUTE_PGM_RSRC2:TGID_X_EN: 1
; COMPUTE_PGM_RSRC2:TGID_Y_EN: 0
; COMPUTE_PGM_RSRC2:TGID_Z_EN: 0
; COMPUTE_PGM_RSRC2:TIDIG_COMP_CNT: 0
; COMPUTE_PGM_RSRC3_GFX90A:ACCUM_OFFSET: 3
; COMPUTE_PGM_RSRC3_GFX90A:TG_SPLIT: 0
	.section	.text._ZN5aiter18act_and_mul_kernelIDF16_DF16_TnPFfRKT_EXadL_ZNS_11gelu_kernelIDF16_EEfS3_EELi32ELb0ELi3EEEvPT0_PS2_if,"axG",@progbits,_ZN5aiter18act_and_mul_kernelIDF16_DF16_TnPFfRKT_EXadL_ZNS_11gelu_kernelIDF16_EEfS3_EELi32ELb0ELi3EEEvPT0_PS2_if,comdat
	.protected	_ZN5aiter18act_and_mul_kernelIDF16_DF16_TnPFfRKT_EXadL_ZNS_11gelu_kernelIDF16_EEfS3_EELi32ELb0ELi3EEEvPT0_PS2_if ; -- Begin function _ZN5aiter18act_and_mul_kernelIDF16_DF16_TnPFfRKT_EXadL_ZNS_11gelu_kernelIDF16_EEfS3_EELi32ELb0ELi3EEEvPT0_PS2_if
	.globl	_ZN5aiter18act_and_mul_kernelIDF16_DF16_TnPFfRKT_EXadL_ZNS_11gelu_kernelIDF16_EEfS3_EELi32ELb0ELi3EEEvPT0_PS2_if
	.p2align	8
	.type	_ZN5aiter18act_and_mul_kernelIDF16_DF16_TnPFfRKT_EXadL_ZNS_11gelu_kernelIDF16_EEfS3_EELi32ELb0ELi3EEEvPT0_PS2_if,@function
_ZN5aiter18act_and_mul_kernelIDF16_DF16_TnPFfRKT_EXadL_ZNS_11gelu_kernelIDF16_EEfS3_EELi32ELb0ELi3EEEvPT0_PS2_if: ; @_ZN5aiter18act_and_mul_kernelIDF16_DF16_TnPFfRKT_EXadL_ZNS_11gelu_kernelIDF16_EEfS3_EELi32ELb0ELi3EEEvPT0_PS2_if
; %bb.0:
	s_load_dword s16, s[0:1], 0x10
	v_lshlrev_b32_e32 v32, 5, v0
	s_waitcnt lgkmcnt(0)
	v_cmp_gt_i32_e32 vcc, s16, v32
	s_and_saveexec_b64 s[4:5], vcc
	s_cbranch_execz .LBB556_131
; %bb.1:
	s_load_dwordx4 s[12:15], s[0:1], 0x0
	s_ashr_i32 s17, s16, 31
	s_mul_hi_u32 s3, s16, s2
	s_mul_i32 s4, s17, s2
	s_add_i32 s3, s3, s4
	s_mul_i32 s2, s16, s2
	s_lshl_b64 s[10:11], s[2:3], 1
	s_lshl_b64 s[2:3], s[2:3], 2
	s_waitcnt lgkmcnt(0)
	s_add_u32 s4, s14, s2
	s_addc_u32 s5, s15, s3
	s_lshl_b64 s[2:3], s[16:17], 1
	s_add_u32 s8, s4, s2
	s_addc_u32 s2, s5, s3
	s_add_i32 s3, s16, 1
	s_lshr_b32 s6, s3, 31
	s_add_i32 s3, s3, s6
	s_lshl_b32 s3, s3, 1
	s_and_b32 s6, s3, -4
	s_and_b32 s5, s5, 0xffff
	s_and_b32 s9, s2, 0xffff
	s_add_u32 s12, s12, s10
	s_addc_u32 s2, s13, s11
	s_and_b32 s13, s2, 0xffff
	s_mov_b32 s7, 0x20000
	s_add_u32 s0, s0, 24
	v_mov_b32_e32 v33, 0
	s_addc_u32 s1, s1, 0
	s_mov_b64 s[2:3], 0
	s_mov_b32 s19, 0
	s_mov_b32 s22, 0x378e98ab
	;; [unrolled: 1-line block ×10, first 2 shown]
	v_mov_b32_e32 v36, 0x3ba10414
	s_brev_b32 s31, -2
	s_mov_b32 s10, s6
	s_mov_b32 s11, s7
	v_mov_b32_e32 v37, 0xb9c68948
	v_mov_b32_e32 v38, 0x7f800000
	s_mov_b32 s14, s6
	s_mov_b32 s15, s7
                                        ; implicit-def: $vgpr0
                                        ; implicit-def: $vgpr0
	;; [unrolled: 1-line block ×4, first 2 shown]
	s_branch .LBB556_3
.LBB556_2:                              ;   in Loop: Header=BB556_3 Depth=1
	s_or_b64 exec, exec, s[20:21]
	v_bfi_b32 v6, s31, v41, v6
	v_mul_f32_e32 v2, 0.5, v2
	v_add_f32_e32 v6, 1.0, v6
	v_cvt_f16_f32_e32 v41, v1
	v_bfi_b32 v1, s31, v42, v40
	v_mul_f32_e32 v2, v2, v6
	v_cvt_f16_f32_e32 v6, v14
	v_cvt_f16_f32_e32 v14, v15
	;; [unrolled: 1-line block ×3, first 2 shown]
	v_mul_f32_e32 v0, 0.5, v7
	v_add_f32_e32 v1, 1.0, v1
	v_cvt_f32_f16_sdwa v45, v3 dst_sel:DWORD dst_unused:UNUSED_PAD src0_sel:WORD_1
	v_cvt_f32_f16_e32 v44, v3
	v_mul_f32_e32 v3, v0, v1
	;;#ASMSTART
	v_pk_mul_f32 v[0:1], v[2:3], v[44:45]
	;;#ASMEND
	s_load_dword s18, s[0:1], 0xc
	v_cvt_f16_f32_e32 v34, v34
	v_cvt_f16_f32_e32 v35, v35
	v_cvt_f16_f32_e32 v24, v24
	v_cvt_f16_f32_e32 v25, v25
	v_cvt_f16_f32_e32 v28, v28
	v_cvt_f16_f32_e32 v29, v29
	v_cvt_f16_f32_e32 v26, v26
	v_cvt_f16_f32_e32 v27, v27
	v_cvt_f16_f32_e32 v30, v30
	v_cvt_f16_f32_e32 v31, v31
	v_cvt_f16_f32_e32 v16, v16
	v_cvt_f16_f32_e32 v17, v17
	v_cvt_f16_f32_e32 v20, v20
	v_cvt_f16_f32_e32 v21, v21
	v_cvt_f16_f32_e32 v18, v18
	v_cvt_f16_f32_e32 v19, v19
	v_cvt_f16_f32_e32 v22, v22
	v_cvt_f16_f32_e32 v23, v23
	v_cvt_f16_f32_e32 v8, v8
	v_cvt_f16_f32_e32 v9, v9
	v_cvt_f16_f32_e32 v12, v12
	v_cvt_f16_f32_e32 v13, v13
	v_cvt_f16_f32_e32 v10, v10
	v_cvt_f16_f32_e32 v11, v11
	v_cvt_f16_f32_e32 v4, v4
	v_cvt_f16_f32_e32 v5, v5
	v_cvt_f16_f32_e32 v7, v0
	v_cvt_f16_f32_e32 v40, v1
	s_waitcnt lgkmcnt(0)
	s_and_b32 s18, s18, 0xffff
	v_pack_b32_f16 v3, v26, v27
	v_pack_b32_f16 v2, v28, v29
	;; [unrolled: 1-line block ×4, first 2 shown]
	s_lshl_b32 s18, s18, 5
	buffer_store_dwordx4 v[0:3], v39, s[12:15], 0 offen
	v_lshl_add_u64 v[32:33], s[18:19], 0, v[32:33]
	v_cmp_le_i64_e32 vcc, s[16:17], v[32:33]
	v_pack_b32_f16 v3, v18, v19
	v_pack_b32_f16 v2, v20, v21
	;; [unrolled: 1-line block ×4, first 2 shown]
	buffer_store_dwordx4 v[0:3], v39, s[12:15], 16 offen
	s_or_b64 s[2:3], vcc, s[2:3]
	s_nop 0
	v_pack_b32_f16 v3, v10, v11
	v_pack_b32_f16 v2, v12, v13
	;; [unrolled: 1-line block ×4, first 2 shown]
	buffer_store_dwordx4 v[0:3], v39, s[12:15], 32 offen
	s_nop 1
	v_pack_b32_f16 v3, v7, v40
	v_pack_b32_f16 v2, v4, v5
	v_pack_b32_f16 v1, v15, v41
	v_pack_b32_f16 v0, v6, v14
	buffer_store_dwordx4 v[0:3], v39, s[12:15], 48 offen
	s_andn2_b64 exec, exec, s[2:3]
	s_cbranch_execz .LBB556_131
.LBB556_3:                              ; =>This Inner Loop Header: Depth=1
	v_lshlrev_b32_e32 v39, 1, v32
	buffer_load_dwordx4 v[28:31], v39, s[4:7], 0 offen sc0 nt
	buffer_load_dwordx4 v[20:23], v39, s[4:7], 16 offen sc0 nt
	buffer_load_dwordx4 v[12:15], v39, s[4:7], 32 offen sc0 nt
	buffer_load_dwordx4 v[4:7], v39, s[4:7], 48 offen sc0 nt
	buffer_load_dwordx4 v[24:27], v39, s[8:11], 0 offen sc0 nt
	buffer_load_dwordx4 v[16:19], v39, s[8:11], 16 offen sc0 nt
	buffer_load_dwordx4 v[8:11], v39, s[8:11], 32 offen sc0 nt
	buffer_load_dwordx4 v[0:3], v39, s[8:11], 48 offen sc0 nt
                                        ; implicit-def: $vgpr40
	s_waitcnt vmcnt(7)
	v_cvt_f32_f16_e32 v34, v28
	v_mul_f32_e32 v35, 0x3f3504f3, v34
	v_cmp_nlt_f32_e64 s[20:21], |v35|, 1.0
	s_and_saveexec_b64 s[34:35], s[20:21]
	s_xor_b64 s[20:21], exec, s[34:35]
	s_cbranch_execz .LBB556_5
; %bb.4:                                ;   in Loop: Header=BB556_3 Depth=1
	v_fma_f32 v40, |v35|, s22, v37
	v_fma_f32 v40, |v35|, v40, s23
	;; [unrolled: 1-line block ×6, first 2 shown]
	v_fma_f32 v40, |v35|, v40, |v35|
	v_mul_f32_e32 v41, 0xbfb8aa3b, v40
	v_fma_f32 v42, v40, s28, -v41
	v_rndne_f32_e32 v43, v41
	v_fmac_f32_e32 v42, 0xb2a5705f, v40
	v_sub_f32_e32 v41, v41, v43
	v_add_f32_e32 v41, v41, v42
	v_cvt_i32_f32_e32 v42, v43
	v_exp_f32_e32 v41, v41
	v_cmp_nlt_f32_e32 vcc, s29, v40
	v_ldexp_f32 v41, v41, v42
	s_nop 0
	v_cndmask_b32_e32 v41, 0, v41, vcc
	v_cmp_ngt_f32_e32 vcc, s30, v40
	s_nop 1
	v_cndmask_b32_e32 v40, v38, v41, vcc
	v_sub_f32_e32 v40, 1.0, v40
.LBB556_5:                              ;   in Loop: Header=BB556_3 Depth=1
	s_andn2_saveexec_b64 s[20:21], s[20:21]
; %bb.6:                                ;   in Loop: Header=BB556_3 Depth=1
	v_mul_f32_e32 v40, v35, v35
	v_fmamk_f32 v41, v40, 0xba1345e1, v36
	v_fmaak_f32 v41, v40, v41, 0xbcdac9b8
	v_fmaak_f32 v41, v40, v41, 0x3de703be
	;; [unrolled: 1-line block ×4, first 2 shown]
	v_fma_f32 v40, |v35|, v40, |v35|
; %bb.7:                                ;   in Loop: Header=BB556_3 Depth=1
	s_or_b64 exec, exec, s[20:21]
	v_cvt_f32_f16_sdwa v28, v28 dst_sel:DWORD dst_unused:UNUSED_PAD src0_sel:WORD_1
                                        ; implicit-def: $vgpr42
	v_mul_f32_e32 v41, 0x3f3504f3, v28
	v_cmp_nlt_f32_e64 s[20:21], |v41|, 1.0
	s_and_saveexec_b64 s[34:35], s[20:21]
	s_xor_b64 s[20:21], exec, s[34:35]
	s_cbranch_execz .LBB556_9
; %bb.8:                                ;   in Loop: Header=BB556_3 Depth=1
	v_fma_f32 v42, |v41|, s22, v37
	v_fma_f32 v42, |v41|, v42, s23
	;; [unrolled: 1-line block ×6, first 2 shown]
	v_fma_f32 v42, |v41|, v42, |v41|
	v_mul_f32_e32 v43, 0xbfb8aa3b, v42
	v_fma_f32 v44, v42, s28, -v43
	v_rndne_f32_e32 v45, v43
	v_fmac_f32_e32 v44, 0xb2a5705f, v42
	v_sub_f32_e32 v43, v43, v45
	v_add_f32_e32 v43, v43, v44
	v_cvt_i32_f32_e32 v44, v45
	v_exp_f32_e32 v43, v43
	v_cmp_nlt_f32_e32 vcc, s29, v42
	v_ldexp_f32 v43, v43, v44
	s_nop 0
	v_cndmask_b32_e32 v43, 0, v43, vcc
	v_cmp_ngt_f32_e32 vcc, s30, v42
	s_nop 1
	v_cndmask_b32_e32 v42, v38, v43, vcc
	v_sub_f32_e32 v42, 1.0, v42
.LBB556_9:                              ;   in Loop: Header=BB556_3 Depth=1
	s_andn2_saveexec_b64 s[20:21], s[20:21]
; %bb.10:                               ;   in Loop: Header=BB556_3 Depth=1
	v_mul_f32_e32 v42, v41, v41
	v_fmamk_f32 v43, v42, 0xba1345e1, v36
	v_fmaak_f32 v43, v42, v43, 0xbcdac9b8
	v_fmaak_f32 v43, v42, v43, 0x3de703be
	;; [unrolled: 1-line block ×4, first 2 shown]
	v_fma_f32 v42, |v41|, v42, |v41|
; %bb.11:                               ;   in Loop: Header=BB556_3 Depth=1
	s_or_b64 exec, exec, s[20:21]
	v_bfi_b32 v35, s31, v40, v35
	s_waitcnt vmcnt(3)
	v_cvt_f32_f16_sdwa v45, v24 dst_sel:DWORD dst_unused:UNUSED_PAD src0_sel:WORD_1
	v_cvt_f32_f16_e32 v44, v24
	v_cvt_f32_f16_e32 v24, v29
	v_mul_f32_e32 v34, 0.5, v34
	v_add_f32_e32 v35, 1.0, v35
	v_mul_f32_e32 v34, v34, v35
	v_bfi_b32 v35, s31, v42, v41
	v_mul_f32_e32 v28, 0.5, v28
	v_add_f32_e32 v35, 1.0, v35
	v_mul_f32_e32 v35, v28, v35
	v_mul_f32_e32 v28, 0x3f3504f3, v24
	v_cmp_nlt_f32_e64 s[20:21], |v28|, 1.0
	;;#ASMSTART
	v_pk_mul_f32 v[34:35], v[34:35], v[44:45]
	;;#ASMEND
                                        ; implicit-def: $vgpr40
	s_and_saveexec_b64 s[34:35], s[20:21]
	s_xor_b64 s[20:21], exec, s[34:35]
	s_cbranch_execz .LBB556_13
; %bb.12:                               ;   in Loop: Header=BB556_3 Depth=1
	v_fma_f32 v40, |v28|, s22, v37
	v_fma_f32 v40, |v28|, v40, s23
	;; [unrolled: 1-line block ×6, first 2 shown]
	v_fma_f32 v40, |v28|, v40, |v28|
	v_mul_f32_e32 v41, 0xbfb8aa3b, v40
	v_fma_f32 v42, v40, s28, -v41
	v_rndne_f32_e32 v43, v41
	v_fmac_f32_e32 v42, 0xb2a5705f, v40
	v_sub_f32_e32 v41, v41, v43
	v_add_f32_e32 v41, v41, v42
	v_cvt_i32_f32_e32 v42, v43
	v_exp_f32_e32 v41, v41
	v_cmp_nlt_f32_e32 vcc, s29, v40
	v_ldexp_f32 v41, v41, v42
	s_nop 0
	v_cndmask_b32_e32 v41, 0, v41, vcc
	v_cmp_ngt_f32_e32 vcc, s30, v40
	s_nop 1
	v_cndmask_b32_e32 v40, v38, v41, vcc
	v_sub_f32_e32 v40, 1.0, v40
.LBB556_13:                             ;   in Loop: Header=BB556_3 Depth=1
	s_andn2_saveexec_b64 s[20:21], s[20:21]
; %bb.14:                               ;   in Loop: Header=BB556_3 Depth=1
	v_mul_f32_e32 v40, v28, v28
	v_fmamk_f32 v41, v40, 0xba1345e1, v36
	v_fmaak_f32 v41, v40, v41, 0xbcdac9b8
	v_fmaak_f32 v41, v40, v41, 0x3de703be
	;; [unrolled: 1-line block ×4, first 2 shown]
	v_fma_f32 v40, |v28|, v40, |v28|
; %bb.15:                               ;   in Loop: Header=BB556_3 Depth=1
	s_or_b64 exec, exec, s[20:21]
	v_cvt_f32_f16_sdwa v29, v29 dst_sel:DWORD dst_unused:UNUSED_PAD src0_sel:WORD_1
                                        ; implicit-def: $vgpr42
	v_mul_f32_e32 v41, 0x3f3504f3, v29
	v_cmp_nlt_f32_e64 s[20:21], |v41|, 1.0
	s_and_saveexec_b64 s[34:35], s[20:21]
	s_xor_b64 s[20:21], exec, s[34:35]
	s_cbranch_execz .LBB556_17
; %bb.16:                               ;   in Loop: Header=BB556_3 Depth=1
	v_fma_f32 v42, |v41|, s22, v37
	v_fma_f32 v42, |v41|, v42, s23
	;; [unrolled: 1-line block ×6, first 2 shown]
	v_fma_f32 v42, |v41|, v42, |v41|
	v_mul_f32_e32 v43, 0xbfb8aa3b, v42
	v_fma_f32 v44, v42, s28, -v43
	v_rndne_f32_e32 v45, v43
	v_fmac_f32_e32 v44, 0xb2a5705f, v42
	v_sub_f32_e32 v43, v43, v45
	v_add_f32_e32 v43, v43, v44
	v_cvt_i32_f32_e32 v44, v45
	v_exp_f32_e32 v43, v43
	v_cmp_nlt_f32_e32 vcc, s29, v42
	v_ldexp_f32 v43, v43, v44
	s_nop 0
	v_cndmask_b32_e32 v43, 0, v43, vcc
	v_cmp_ngt_f32_e32 vcc, s30, v42
	s_nop 1
	v_cndmask_b32_e32 v42, v38, v43, vcc
	v_sub_f32_e32 v42, 1.0, v42
.LBB556_17:                             ;   in Loop: Header=BB556_3 Depth=1
	s_andn2_saveexec_b64 s[20:21], s[20:21]
; %bb.18:                               ;   in Loop: Header=BB556_3 Depth=1
	v_mul_f32_e32 v42, v41, v41
	v_fmamk_f32 v43, v42, 0xba1345e1, v36
	v_fmaak_f32 v43, v42, v43, 0xbcdac9b8
	v_fmaak_f32 v43, v42, v43, 0x3de703be
	;; [unrolled: 1-line block ×4, first 2 shown]
	v_fma_f32 v42, |v41|, v42, |v41|
; %bb.19:                               ;   in Loop: Header=BB556_3 Depth=1
	s_or_b64 exec, exec, s[20:21]
	v_bfi_b32 v28, s31, v40, v28
	v_mul_f32_e32 v24, 0.5, v24
	v_add_f32_e32 v28, 1.0, v28
	v_mul_f32_e32 v24, v24, v28
	v_cvt_f32_f16_e32 v28, v30
	v_cvt_f32_f16_sdwa v45, v25 dst_sel:DWORD dst_unused:UNUSED_PAD src0_sel:WORD_1
	v_cvt_f32_f16_e32 v44, v25
	v_mul_f32_e32 v25, 0.5, v29
	v_bfi_b32 v29, s31, v42, v41
	v_add_f32_e32 v29, 1.0, v29
	v_mul_f32_e32 v25, v25, v29
	v_mul_f32_e32 v29, 0x3f3504f3, v28
	v_cmp_nlt_f32_e64 s[20:21], |v29|, 1.0
	;;#ASMSTART
	v_pk_mul_f32 v[24:25], v[24:25], v[44:45]
	;;#ASMEND
                                        ; implicit-def: $vgpr40
	s_and_saveexec_b64 s[34:35], s[20:21]
	s_xor_b64 s[20:21], exec, s[34:35]
	s_cbranch_execz .LBB556_21
; %bb.20:                               ;   in Loop: Header=BB556_3 Depth=1
	v_fma_f32 v40, |v29|, s22, v37
	v_fma_f32 v40, |v29|, v40, s23
	;; [unrolled: 1-line block ×6, first 2 shown]
	v_fma_f32 v40, |v29|, v40, |v29|
	v_mul_f32_e32 v41, 0xbfb8aa3b, v40
	v_fma_f32 v42, v40, s28, -v41
	v_rndne_f32_e32 v43, v41
	v_fmac_f32_e32 v42, 0xb2a5705f, v40
	v_sub_f32_e32 v41, v41, v43
	v_add_f32_e32 v41, v41, v42
	v_cvt_i32_f32_e32 v42, v43
	v_exp_f32_e32 v41, v41
	v_cmp_nlt_f32_e32 vcc, s29, v40
	v_ldexp_f32 v41, v41, v42
	s_nop 0
	v_cndmask_b32_e32 v41, 0, v41, vcc
	v_cmp_ngt_f32_e32 vcc, s30, v40
	s_nop 1
	v_cndmask_b32_e32 v40, v38, v41, vcc
	v_sub_f32_e32 v40, 1.0, v40
.LBB556_21:                             ;   in Loop: Header=BB556_3 Depth=1
	s_andn2_saveexec_b64 s[20:21], s[20:21]
; %bb.22:                               ;   in Loop: Header=BB556_3 Depth=1
	v_mul_f32_e32 v40, v29, v29
	v_fmamk_f32 v41, v40, 0xba1345e1, v36
	v_fmaak_f32 v41, v40, v41, 0xbcdac9b8
	v_fmaak_f32 v41, v40, v41, 0x3de703be
	;; [unrolled: 1-line block ×4, first 2 shown]
	v_fma_f32 v40, |v29|, v40, |v29|
; %bb.23:                               ;   in Loop: Header=BB556_3 Depth=1
	s_or_b64 exec, exec, s[20:21]
	v_cvt_f32_f16_sdwa v30, v30 dst_sel:DWORD dst_unused:UNUSED_PAD src0_sel:WORD_1
                                        ; implicit-def: $vgpr42
	v_mul_f32_e32 v41, 0x3f3504f3, v30
	v_cmp_nlt_f32_e64 s[20:21], |v41|, 1.0
	s_and_saveexec_b64 s[34:35], s[20:21]
	s_xor_b64 s[20:21], exec, s[34:35]
	s_cbranch_execz .LBB556_25
; %bb.24:                               ;   in Loop: Header=BB556_3 Depth=1
	v_fma_f32 v42, |v41|, s22, v37
	v_fma_f32 v42, |v41|, v42, s23
	;; [unrolled: 1-line block ×6, first 2 shown]
	v_fma_f32 v42, |v41|, v42, |v41|
	v_mul_f32_e32 v43, 0xbfb8aa3b, v42
	v_fma_f32 v44, v42, s28, -v43
	v_rndne_f32_e32 v45, v43
	v_fmac_f32_e32 v44, 0xb2a5705f, v42
	v_sub_f32_e32 v43, v43, v45
	v_add_f32_e32 v43, v43, v44
	v_cvt_i32_f32_e32 v44, v45
	v_exp_f32_e32 v43, v43
	v_cmp_nlt_f32_e32 vcc, s29, v42
	v_ldexp_f32 v43, v43, v44
	s_nop 0
	v_cndmask_b32_e32 v43, 0, v43, vcc
	v_cmp_ngt_f32_e32 vcc, s30, v42
	s_nop 1
	v_cndmask_b32_e32 v42, v38, v43, vcc
	v_sub_f32_e32 v42, 1.0, v42
.LBB556_25:                             ;   in Loop: Header=BB556_3 Depth=1
	s_andn2_saveexec_b64 s[20:21], s[20:21]
; %bb.26:                               ;   in Loop: Header=BB556_3 Depth=1
	v_mul_f32_e32 v42, v41, v41
	v_fmamk_f32 v43, v42, 0xba1345e1, v36
	v_fmaak_f32 v43, v42, v43, 0xbcdac9b8
	v_fmaak_f32 v43, v42, v43, 0x3de703be
	v_fmaak_f32 v43, v42, v43, 0xbec09330
	v_fmaak_f32 v42, v42, v43, 0x3e0375d0
	v_fma_f32 v42, |v41|, v42, |v41|
; %bb.27:                               ;   in Loop: Header=BB556_3 Depth=1
	s_or_b64 exec, exec, s[20:21]
	v_bfi_b32 v29, s31, v40, v29
	v_cvt_f32_f16_sdwa v45, v26 dst_sel:DWORD dst_unused:UNUSED_PAD src0_sel:WORD_1
	v_cvt_f32_f16_e32 v44, v26
	v_cvt_f32_f16_e32 v26, v31
	v_mul_f32_e32 v28, 0.5, v28
	v_add_f32_e32 v29, 1.0, v29
	v_mul_f32_e32 v28, v28, v29
	v_mul_f32_e32 v29, 0.5, v30
	v_bfi_b32 v30, s31, v42, v41
	v_add_f32_e32 v30, 1.0, v30
	v_mul_f32_e32 v29, v29, v30
	v_mul_f32_e32 v30, 0x3f3504f3, v26
	v_cmp_nlt_f32_e64 s[20:21], |v30|, 1.0
	;;#ASMSTART
	v_pk_mul_f32 v[28:29], v[28:29], v[44:45]
	;;#ASMEND
                                        ; implicit-def: $vgpr40
	s_and_saveexec_b64 s[34:35], s[20:21]
	s_xor_b64 s[20:21], exec, s[34:35]
	s_cbranch_execz .LBB556_29
; %bb.28:                               ;   in Loop: Header=BB556_3 Depth=1
	v_fma_f32 v40, |v30|, s22, v37
	v_fma_f32 v40, |v30|, v40, s23
	;; [unrolled: 1-line block ×6, first 2 shown]
	v_fma_f32 v40, |v30|, v40, |v30|
	v_mul_f32_e32 v41, 0xbfb8aa3b, v40
	v_fma_f32 v42, v40, s28, -v41
	v_rndne_f32_e32 v43, v41
	v_fmac_f32_e32 v42, 0xb2a5705f, v40
	v_sub_f32_e32 v41, v41, v43
	v_add_f32_e32 v41, v41, v42
	v_cvt_i32_f32_e32 v42, v43
	v_exp_f32_e32 v41, v41
	v_cmp_nlt_f32_e32 vcc, s29, v40
	v_ldexp_f32 v41, v41, v42
	s_nop 0
	v_cndmask_b32_e32 v41, 0, v41, vcc
	v_cmp_ngt_f32_e32 vcc, s30, v40
	s_nop 1
	v_cndmask_b32_e32 v40, v38, v41, vcc
	v_sub_f32_e32 v40, 1.0, v40
.LBB556_29:                             ;   in Loop: Header=BB556_3 Depth=1
	s_andn2_saveexec_b64 s[20:21], s[20:21]
; %bb.30:                               ;   in Loop: Header=BB556_3 Depth=1
	v_mul_f32_e32 v40, v30, v30
	v_fmamk_f32 v41, v40, 0xba1345e1, v36
	v_fmaak_f32 v41, v40, v41, 0xbcdac9b8
	v_fmaak_f32 v41, v40, v41, 0x3de703be
	;; [unrolled: 1-line block ×4, first 2 shown]
	v_fma_f32 v40, |v30|, v40, |v30|
; %bb.31:                               ;   in Loop: Header=BB556_3 Depth=1
	s_or_b64 exec, exec, s[20:21]
	v_cvt_f32_f16_sdwa v31, v31 dst_sel:DWORD dst_unused:UNUSED_PAD src0_sel:WORD_1
                                        ; implicit-def: $vgpr42
	v_mul_f32_e32 v41, 0x3f3504f3, v31
	v_cmp_nlt_f32_e64 s[20:21], |v41|, 1.0
	s_and_saveexec_b64 s[34:35], s[20:21]
	s_xor_b64 s[20:21], exec, s[34:35]
	s_cbranch_execz .LBB556_33
; %bb.32:                               ;   in Loop: Header=BB556_3 Depth=1
	v_fma_f32 v42, |v41|, s22, v37
	v_fma_f32 v42, |v41|, v42, s23
	;; [unrolled: 1-line block ×6, first 2 shown]
	v_fma_f32 v42, |v41|, v42, |v41|
	v_mul_f32_e32 v43, 0xbfb8aa3b, v42
	v_fma_f32 v44, v42, s28, -v43
	v_rndne_f32_e32 v45, v43
	v_fmac_f32_e32 v44, 0xb2a5705f, v42
	v_sub_f32_e32 v43, v43, v45
	v_add_f32_e32 v43, v43, v44
	v_cvt_i32_f32_e32 v44, v45
	v_exp_f32_e32 v43, v43
	v_cmp_nlt_f32_e32 vcc, s29, v42
	v_ldexp_f32 v43, v43, v44
	s_nop 0
	v_cndmask_b32_e32 v43, 0, v43, vcc
	v_cmp_ngt_f32_e32 vcc, s30, v42
	s_nop 1
	v_cndmask_b32_e32 v42, v38, v43, vcc
	v_sub_f32_e32 v42, 1.0, v42
.LBB556_33:                             ;   in Loop: Header=BB556_3 Depth=1
	s_andn2_saveexec_b64 s[20:21], s[20:21]
; %bb.34:                               ;   in Loop: Header=BB556_3 Depth=1
	v_mul_f32_e32 v42, v41, v41
	v_fmamk_f32 v43, v42, 0xba1345e1, v36
	v_fmaak_f32 v43, v42, v43, 0xbcdac9b8
	v_fmaak_f32 v43, v42, v43, 0x3de703be
	v_fmaak_f32 v43, v42, v43, 0xbec09330
	v_fmaak_f32 v42, v42, v43, 0x3e0375d0
	v_fma_f32 v42, |v41|, v42, |v41|
; %bb.35:                               ;   in Loop: Header=BB556_3 Depth=1
	s_or_b64 exec, exec, s[20:21]
	v_bfi_b32 v30, s31, v40, v30
	v_mul_f32_e32 v26, 0.5, v26
	v_add_f32_e32 v30, 1.0, v30
	v_mul_f32_e32 v26, v26, v30
	v_cvt_f32_f16_e32 v30, v20
	v_cvt_f32_f16_sdwa v45, v27 dst_sel:DWORD dst_unused:UNUSED_PAD src0_sel:WORD_1
	v_cvt_f32_f16_e32 v44, v27
	v_mul_f32_e32 v27, 0.5, v31
	v_bfi_b32 v31, s31, v42, v41
	v_add_f32_e32 v31, 1.0, v31
	v_mul_f32_e32 v27, v27, v31
	v_mul_f32_e32 v31, 0x3f3504f3, v30
	v_cmp_nlt_f32_e64 s[20:21], |v31|, 1.0
	;;#ASMSTART
	v_pk_mul_f32 v[26:27], v[26:27], v[44:45]
	;;#ASMEND
                                        ; implicit-def: $vgpr40
	s_and_saveexec_b64 s[34:35], s[20:21]
	s_xor_b64 s[20:21], exec, s[34:35]
	s_cbranch_execz .LBB556_37
; %bb.36:                               ;   in Loop: Header=BB556_3 Depth=1
	v_fma_f32 v40, |v31|, s22, v37
	v_fma_f32 v40, |v31|, v40, s23
	;; [unrolled: 1-line block ×6, first 2 shown]
	v_fma_f32 v40, |v31|, v40, |v31|
	v_mul_f32_e32 v41, 0xbfb8aa3b, v40
	v_fma_f32 v42, v40, s28, -v41
	v_rndne_f32_e32 v43, v41
	v_fmac_f32_e32 v42, 0xb2a5705f, v40
	v_sub_f32_e32 v41, v41, v43
	v_add_f32_e32 v41, v41, v42
	v_cvt_i32_f32_e32 v42, v43
	v_exp_f32_e32 v41, v41
	v_cmp_nlt_f32_e32 vcc, s29, v40
	v_ldexp_f32 v41, v41, v42
	s_nop 0
	v_cndmask_b32_e32 v41, 0, v41, vcc
	v_cmp_ngt_f32_e32 vcc, s30, v40
	s_nop 1
	v_cndmask_b32_e32 v40, v38, v41, vcc
	v_sub_f32_e32 v40, 1.0, v40
.LBB556_37:                             ;   in Loop: Header=BB556_3 Depth=1
	s_andn2_saveexec_b64 s[20:21], s[20:21]
; %bb.38:                               ;   in Loop: Header=BB556_3 Depth=1
	v_mul_f32_e32 v40, v31, v31
	v_fmamk_f32 v41, v40, 0xba1345e1, v36
	v_fmaak_f32 v41, v40, v41, 0xbcdac9b8
	v_fmaak_f32 v41, v40, v41, 0x3de703be
	;; [unrolled: 1-line block ×4, first 2 shown]
	v_fma_f32 v40, |v31|, v40, |v31|
; %bb.39:                               ;   in Loop: Header=BB556_3 Depth=1
	s_or_b64 exec, exec, s[20:21]
	v_cvt_f32_f16_sdwa v20, v20 dst_sel:DWORD dst_unused:UNUSED_PAD src0_sel:WORD_1
                                        ; implicit-def: $vgpr42
	v_mul_f32_e32 v41, 0x3f3504f3, v20
	v_cmp_nlt_f32_e64 s[20:21], |v41|, 1.0
	s_and_saveexec_b64 s[34:35], s[20:21]
	s_xor_b64 s[20:21], exec, s[34:35]
	s_cbranch_execz .LBB556_41
; %bb.40:                               ;   in Loop: Header=BB556_3 Depth=1
	v_fma_f32 v42, |v41|, s22, v37
	v_fma_f32 v42, |v41|, v42, s23
	;; [unrolled: 1-line block ×6, first 2 shown]
	v_fma_f32 v42, |v41|, v42, |v41|
	v_mul_f32_e32 v43, 0xbfb8aa3b, v42
	v_fma_f32 v44, v42, s28, -v43
	v_rndne_f32_e32 v45, v43
	v_fmac_f32_e32 v44, 0xb2a5705f, v42
	v_sub_f32_e32 v43, v43, v45
	v_add_f32_e32 v43, v43, v44
	v_cvt_i32_f32_e32 v44, v45
	v_exp_f32_e32 v43, v43
	v_cmp_nlt_f32_e32 vcc, s29, v42
	v_ldexp_f32 v43, v43, v44
	s_nop 0
	v_cndmask_b32_e32 v43, 0, v43, vcc
	v_cmp_ngt_f32_e32 vcc, s30, v42
	s_nop 1
	v_cndmask_b32_e32 v42, v38, v43, vcc
	v_sub_f32_e32 v42, 1.0, v42
.LBB556_41:                             ;   in Loop: Header=BB556_3 Depth=1
	s_andn2_saveexec_b64 s[20:21], s[20:21]
; %bb.42:                               ;   in Loop: Header=BB556_3 Depth=1
	v_mul_f32_e32 v42, v41, v41
	v_fmamk_f32 v43, v42, 0xba1345e1, v36
	v_fmaak_f32 v43, v42, v43, 0xbcdac9b8
	v_fmaak_f32 v43, v42, v43, 0x3de703be
	;; [unrolled: 1-line block ×4, first 2 shown]
	v_fma_f32 v42, |v41|, v42, |v41|
; %bb.43:                               ;   in Loop: Header=BB556_3 Depth=1
	s_or_b64 exec, exec, s[20:21]
	v_bfi_b32 v31, s31, v40, v31
	s_waitcnt vmcnt(2)
	v_cvt_f32_f16_sdwa v45, v16 dst_sel:DWORD dst_unused:UNUSED_PAD src0_sel:WORD_1
	v_cvt_f32_f16_e32 v44, v16
	v_cvt_f32_f16_e32 v16, v21
	v_mul_f32_e32 v30, 0.5, v30
	v_add_f32_e32 v31, 1.0, v31
	v_mul_f32_e32 v30, v30, v31
	v_bfi_b32 v31, s31, v42, v41
	v_mul_f32_e32 v20, 0.5, v20
	v_add_f32_e32 v31, 1.0, v31
	v_mul_f32_e32 v31, v20, v31
	v_mul_f32_e32 v20, 0x3f3504f3, v16
	v_cmp_nlt_f32_e64 s[20:21], |v20|, 1.0
	;;#ASMSTART
	v_pk_mul_f32 v[30:31], v[30:31], v[44:45]
	;;#ASMEND
                                        ; implicit-def: $vgpr40
	s_and_saveexec_b64 s[34:35], s[20:21]
	s_xor_b64 s[20:21], exec, s[34:35]
	s_cbranch_execz .LBB556_45
; %bb.44:                               ;   in Loop: Header=BB556_3 Depth=1
	v_fma_f32 v40, |v20|, s22, v37
	v_fma_f32 v40, |v20|, v40, s23
	;; [unrolled: 1-line block ×6, first 2 shown]
	v_fma_f32 v40, |v20|, v40, |v20|
	v_mul_f32_e32 v41, 0xbfb8aa3b, v40
	v_fma_f32 v42, v40, s28, -v41
	v_rndne_f32_e32 v43, v41
	v_fmac_f32_e32 v42, 0xb2a5705f, v40
	v_sub_f32_e32 v41, v41, v43
	v_add_f32_e32 v41, v41, v42
	v_cvt_i32_f32_e32 v42, v43
	v_exp_f32_e32 v41, v41
	v_cmp_nlt_f32_e32 vcc, s29, v40
	v_ldexp_f32 v41, v41, v42
	s_nop 0
	v_cndmask_b32_e32 v41, 0, v41, vcc
	v_cmp_ngt_f32_e32 vcc, s30, v40
	s_nop 1
	v_cndmask_b32_e32 v40, v38, v41, vcc
	v_sub_f32_e32 v40, 1.0, v40
.LBB556_45:                             ;   in Loop: Header=BB556_3 Depth=1
	s_andn2_saveexec_b64 s[20:21], s[20:21]
; %bb.46:                               ;   in Loop: Header=BB556_3 Depth=1
	v_mul_f32_e32 v40, v20, v20
	v_fmamk_f32 v41, v40, 0xba1345e1, v36
	v_fmaak_f32 v41, v40, v41, 0xbcdac9b8
	v_fmaak_f32 v41, v40, v41, 0x3de703be
	;; [unrolled: 1-line block ×4, first 2 shown]
	v_fma_f32 v40, |v20|, v40, |v20|
; %bb.47:                               ;   in Loop: Header=BB556_3 Depth=1
	s_or_b64 exec, exec, s[20:21]
	v_cvt_f32_f16_sdwa v21, v21 dst_sel:DWORD dst_unused:UNUSED_PAD src0_sel:WORD_1
                                        ; implicit-def: $vgpr42
	v_mul_f32_e32 v41, 0x3f3504f3, v21
	v_cmp_nlt_f32_e64 s[20:21], |v41|, 1.0
	s_and_saveexec_b64 s[34:35], s[20:21]
	s_xor_b64 s[20:21], exec, s[34:35]
	s_cbranch_execz .LBB556_49
; %bb.48:                               ;   in Loop: Header=BB556_3 Depth=1
	v_fma_f32 v42, |v41|, s22, v37
	v_fma_f32 v42, |v41|, v42, s23
	;; [unrolled: 1-line block ×6, first 2 shown]
	v_fma_f32 v42, |v41|, v42, |v41|
	v_mul_f32_e32 v43, 0xbfb8aa3b, v42
	v_fma_f32 v44, v42, s28, -v43
	v_rndne_f32_e32 v45, v43
	v_fmac_f32_e32 v44, 0xb2a5705f, v42
	v_sub_f32_e32 v43, v43, v45
	v_add_f32_e32 v43, v43, v44
	v_cvt_i32_f32_e32 v44, v45
	v_exp_f32_e32 v43, v43
	v_cmp_nlt_f32_e32 vcc, s29, v42
	v_ldexp_f32 v43, v43, v44
	s_nop 0
	v_cndmask_b32_e32 v43, 0, v43, vcc
	v_cmp_ngt_f32_e32 vcc, s30, v42
	s_nop 1
	v_cndmask_b32_e32 v42, v38, v43, vcc
	v_sub_f32_e32 v42, 1.0, v42
.LBB556_49:                             ;   in Loop: Header=BB556_3 Depth=1
	s_andn2_saveexec_b64 s[20:21], s[20:21]
; %bb.50:                               ;   in Loop: Header=BB556_3 Depth=1
	v_mul_f32_e32 v42, v41, v41
	v_fmamk_f32 v43, v42, 0xba1345e1, v36
	v_fmaak_f32 v43, v42, v43, 0xbcdac9b8
	v_fmaak_f32 v43, v42, v43, 0x3de703be
	;; [unrolled: 1-line block ×4, first 2 shown]
	v_fma_f32 v42, |v41|, v42, |v41|
; %bb.51:                               ;   in Loop: Header=BB556_3 Depth=1
	s_or_b64 exec, exec, s[20:21]
	v_bfi_b32 v20, s31, v40, v20
	v_mul_f32_e32 v16, 0.5, v16
	v_add_f32_e32 v20, 1.0, v20
	v_mul_f32_e32 v16, v16, v20
	v_cvt_f32_f16_e32 v20, v22
	v_cvt_f32_f16_sdwa v45, v17 dst_sel:DWORD dst_unused:UNUSED_PAD src0_sel:WORD_1
	v_cvt_f32_f16_e32 v44, v17
	v_mul_f32_e32 v17, 0.5, v21
	v_bfi_b32 v21, s31, v42, v41
	v_add_f32_e32 v21, 1.0, v21
	v_mul_f32_e32 v17, v17, v21
	v_mul_f32_e32 v21, 0x3f3504f3, v20
	v_cmp_nlt_f32_e64 s[20:21], |v21|, 1.0
	;;#ASMSTART
	v_pk_mul_f32 v[16:17], v[16:17], v[44:45]
	;;#ASMEND
                                        ; implicit-def: $vgpr40
	s_and_saveexec_b64 s[34:35], s[20:21]
	s_xor_b64 s[20:21], exec, s[34:35]
	s_cbranch_execz .LBB556_53
; %bb.52:                               ;   in Loop: Header=BB556_3 Depth=1
	v_fma_f32 v40, |v21|, s22, v37
	v_fma_f32 v40, |v21|, v40, s23
	;; [unrolled: 1-line block ×6, first 2 shown]
	v_fma_f32 v40, |v21|, v40, |v21|
	v_mul_f32_e32 v41, 0xbfb8aa3b, v40
	v_fma_f32 v42, v40, s28, -v41
	v_rndne_f32_e32 v43, v41
	v_fmac_f32_e32 v42, 0xb2a5705f, v40
	v_sub_f32_e32 v41, v41, v43
	v_add_f32_e32 v41, v41, v42
	v_cvt_i32_f32_e32 v42, v43
	v_exp_f32_e32 v41, v41
	v_cmp_nlt_f32_e32 vcc, s29, v40
	v_ldexp_f32 v41, v41, v42
	s_nop 0
	v_cndmask_b32_e32 v41, 0, v41, vcc
	v_cmp_ngt_f32_e32 vcc, s30, v40
	s_nop 1
	v_cndmask_b32_e32 v40, v38, v41, vcc
	v_sub_f32_e32 v40, 1.0, v40
.LBB556_53:                             ;   in Loop: Header=BB556_3 Depth=1
	s_andn2_saveexec_b64 s[20:21], s[20:21]
; %bb.54:                               ;   in Loop: Header=BB556_3 Depth=1
	v_mul_f32_e32 v40, v21, v21
	v_fmamk_f32 v41, v40, 0xba1345e1, v36
	v_fmaak_f32 v41, v40, v41, 0xbcdac9b8
	v_fmaak_f32 v41, v40, v41, 0x3de703be
	;; [unrolled: 1-line block ×4, first 2 shown]
	v_fma_f32 v40, |v21|, v40, |v21|
; %bb.55:                               ;   in Loop: Header=BB556_3 Depth=1
	s_or_b64 exec, exec, s[20:21]
	v_cvt_f32_f16_sdwa v22, v22 dst_sel:DWORD dst_unused:UNUSED_PAD src0_sel:WORD_1
                                        ; implicit-def: $vgpr42
	v_mul_f32_e32 v41, 0x3f3504f3, v22
	v_cmp_nlt_f32_e64 s[20:21], |v41|, 1.0
	s_and_saveexec_b64 s[34:35], s[20:21]
	s_xor_b64 s[20:21], exec, s[34:35]
	s_cbranch_execz .LBB556_57
; %bb.56:                               ;   in Loop: Header=BB556_3 Depth=1
	v_fma_f32 v42, |v41|, s22, v37
	v_fma_f32 v42, |v41|, v42, s23
	;; [unrolled: 1-line block ×6, first 2 shown]
	v_fma_f32 v42, |v41|, v42, |v41|
	v_mul_f32_e32 v43, 0xbfb8aa3b, v42
	v_fma_f32 v44, v42, s28, -v43
	v_rndne_f32_e32 v45, v43
	v_fmac_f32_e32 v44, 0xb2a5705f, v42
	v_sub_f32_e32 v43, v43, v45
	v_add_f32_e32 v43, v43, v44
	v_cvt_i32_f32_e32 v44, v45
	v_exp_f32_e32 v43, v43
	v_cmp_nlt_f32_e32 vcc, s29, v42
	v_ldexp_f32 v43, v43, v44
	s_nop 0
	v_cndmask_b32_e32 v43, 0, v43, vcc
	v_cmp_ngt_f32_e32 vcc, s30, v42
	s_nop 1
	v_cndmask_b32_e32 v42, v38, v43, vcc
	v_sub_f32_e32 v42, 1.0, v42
.LBB556_57:                             ;   in Loop: Header=BB556_3 Depth=1
	s_andn2_saveexec_b64 s[20:21], s[20:21]
; %bb.58:                               ;   in Loop: Header=BB556_3 Depth=1
	v_mul_f32_e32 v42, v41, v41
	v_fmamk_f32 v43, v42, 0xba1345e1, v36
	v_fmaak_f32 v43, v42, v43, 0xbcdac9b8
	v_fmaak_f32 v43, v42, v43, 0x3de703be
	;; [unrolled: 1-line block ×4, first 2 shown]
	v_fma_f32 v42, |v41|, v42, |v41|
; %bb.59:                               ;   in Loop: Header=BB556_3 Depth=1
	s_or_b64 exec, exec, s[20:21]
	v_bfi_b32 v21, s31, v40, v21
	v_cvt_f32_f16_sdwa v45, v18 dst_sel:DWORD dst_unused:UNUSED_PAD src0_sel:WORD_1
	v_cvt_f32_f16_e32 v44, v18
	v_cvt_f32_f16_e32 v18, v23
	v_mul_f32_e32 v20, 0.5, v20
	v_add_f32_e32 v21, 1.0, v21
	v_mul_f32_e32 v20, v20, v21
	v_mul_f32_e32 v21, 0.5, v22
	v_bfi_b32 v22, s31, v42, v41
	v_add_f32_e32 v22, 1.0, v22
	v_mul_f32_e32 v21, v21, v22
	v_mul_f32_e32 v22, 0x3f3504f3, v18
	v_cmp_nlt_f32_e64 s[20:21], |v22|, 1.0
	;;#ASMSTART
	v_pk_mul_f32 v[20:21], v[20:21], v[44:45]
	;;#ASMEND
                                        ; implicit-def: $vgpr40
	s_and_saveexec_b64 s[34:35], s[20:21]
	s_xor_b64 s[20:21], exec, s[34:35]
	s_cbranch_execz .LBB556_61
; %bb.60:                               ;   in Loop: Header=BB556_3 Depth=1
	v_fma_f32 v40, |v22|, s22, v37
	v_fma_f32 v40, |v22|, v40, s23
	;; [unrolled: 1-line block ×6, first 2 shown]
	v_fma_f32 v40, |v22|, v40, |v22|
	v_mul_f32_e32 v41, 0xbfb8aa3b, v40
	v_fma_f32 v42, v40, s28, -v41
	v_rndne_f32_e32 v43, v41
	v_fmac_f32_e32 v42, 0xb2a5705f, v40
	v_sub_f32_e32 v41, v41, v43
	v_add_f32_e32 v41, v41, v42
	v_cvt_i32_f32_e32 v42, v43
	v_exp_f32_e32 v41, v41
	v_cmp_nlt_f32_e32 vcc, s29, v40
	v_ldexp_f32 v41, v41, v42
	s_nop 0
	v_cndmask_b32_e32 v41, 0, v41, vcc
	v_cmp_ngt_f32_e32 vcc, s30, v40
	s_nop 1
	v_cndmask_b32_e32 v40, v38, v41, vcc
	v_sub_f32_e32 v40, 1.0, v40
.LBB556_61:                             ;   in Loop: Header=BB556_3 Depth=1
	s_andn2_saveexec_b64 s[20:21], s[20:21]
; %bb.62:                               ;   in Loop: Header=BB556_3 Depth=1
	v_mul_f32_e32 v40, v22, v22
	v_fmamk_f32 v41, v40, 0xba1345e1, v36
	v_fmaak_f32 v41, v40, v41, 0xbcdac9b8
	v_fmaak_f32 v41, v40, v41, 0x3de703be
	;; [unrolled: 1-line block ×4, first 2 shown]
	v_fma_f32 v40, |v22|, v40, |v22|
; %bb.63:                               ;   in Loop: Header=BB556_3 Depth=1
	s_or_b64 exec, exec, s[20:21]
	v_cvt_f32_f16_sdwa v23, v23 dst_sel:DWORD dst_unused:UNUSED_PAD src0_sel:WORD_1
                                        ; implicit-def: $vgpr42
	v_mul_f32_e32 v41, 0x3f3504f3, v23
	v_cmp_nlt_f32_e64 s[20:21], |v41|, 1.0
	s_and_saveexec_b64 s[34:35], s[20:21]
	s_xor_b64 s[20:21], exec, s[34:35]
	s_cbranch_execz .LBB556_65
; %bb.64:                               ;   in Loop: Header=BB556_3 Depth=1
	v_fma_f32 v42, |v41|, s22, v37
	v_fma_f32 v42, |v41|, v42, s23
	;; [unrolled: 1-line block ×6, first 2 shown]
	v_fma_f32 v42, |v41|, v42, |v41|
	v_mul_f32_e32 v43, 0xbfb8aa3b, v42
	v_fma_f32 v44, v42, s28, -v43
	v_rndne_f32_e32 v45, v43
	v_fmac_f32_e32 v44, 0xb2a5705f, v42
	v_sub_f32_e32 v43, v43, v45
	v_add_f32_e32 v43, v43, v44
	v_cvt_i32_f32_e32 v44, v45
	v_exp_f32_e32 v43, v43
	v_cmp_nlt_f32_e32 vcc, s29, v42
	v_ldexp_f32 v43, v43, v44
	s_nop 0
	v_cndmask_b32_e32 v43, 0, v43, vcc
	v_cmp_ngt_f32_e32 vcc, s30, v42
	s_nop 1
	v_cndmask_b32_e32 v42, v38, v43, vcc
	v_sub_f32_e32 v42, 1.0, v42
.LBB556_65:                             ;   in Loop: Header=BB556_3 Depth=1
	s_andn2_saveexec_b64 s[20:21], s[20:21]
; %bb.66:                               ;   in Loop: Header=BB556_3 Depth=1
	v_mul_f32_e32 v42, v41, v41
	v_fmamk_f32 v43, v42, 0xba1345e1, v36
	v_fmaak_f32 v43, v42, v43, 0xbcdac9b8
	v_fmaak_f32 v43, v42, v43, 0x3de703be
	;; [unrolled: 1-line block ×4, first 2 shown]
	v_fma_f32 v42, |v41|, v42, |v41|
; %bb.67:                               ;   in Loop: Header=BB556_3 Depth=1
	s_or_b64 exec, exec, s[20:21]
	v_bfi_b32 v22, s31, v40, v22
	v_mul_f32_e32 v18, 0.5, v18
	v_add_f32_e32 v22, 1.0, v22
	v_mul_f32_e32 v18, v18, v22
	v_cvt_f32_f16_e32 v22, v12
	v_cvt_f32_f16_sdwa v45, v19 dst_sel:DWORD dst_unused:UNUSED_PAD src0_sel:WORD_1
	v_cvt_f32_f16_e32 v44, v19
	v_mul_f32_e32 v19, 0.5, v23
	v_bfi_b32 v23, s31, v42, v41
	v_add_f32_e32 v23, 1.0, v23
	v_mul_f32_e32 v19, v19, v23
	v_mul_f32_e32 v23, 0x3f3504f3, v22
	v_cmp_nlt_f32_e64 s[20:21], |v23|, 1.0
	;;#ASMSTART
	v_pk_mul_f32 v[18:19], v[18:19], v[44:45]
	;;#ASMEND
                                        ; implicit-def: $vgpr40
	s_and_saveexec_b64 s[34:35], s[20:21]
	s_xor_b64 s[20:21], exec, s[34:35]
	s_cbranch_execz .LBB556_69
; %bb.68:                               ;   in Loop: Header=BB556_3 Depth=1
	v_fma_f32 v40, |v23|, s22, v37
	v_fma_f32 v40, |v23|, v40, s23
	;; [unrolled: 1-line block ×6, first 2 shown]
	v_fma_f32 v40, |v23|, v40, |v23|
	v_mul_f32_e32 v41, 0xbfb8aa3b, v40
	v_fma_f32 v42, v40, s28, -v41
	v_rndne_f32_e32 v43, v41
	v_fmac_f32_e32 v42, 0xb2a5705f, v40
	v_sub_f32_e32 v41, v41, v43
	v_add_f32_e32 v41, v41, v42
	v_cvt_i32_f32_e32 v42, v43
	v_exp_f32_e32 v41, v41
	v_cmp_nlt_f32_e32 vcc, s29, v40
	v_ldexp_f32 v41, v41, v42
	s_nop 0
	v_cndmask_b32_e32 v41, 0, v41, vcc
	v_cmp_ngt_f32_e32 vcc, s30, v40
	s_nop 1
	v_cndmask_b32_e32 v40, v38, v41, vcc
	v_sub_f32_e32 v40, 1.0, v40
.LBB556_69:                             ;   in Loop: Header=BB556_3 Depth=1
	s_andn2_saveexec_b64 s[20:21], s[20:21]
; %bb.70:                               ;   in Loop: Header=BB556_3 Depth=1
	v_mul_f32_e32 v40, v23, v23
	v_fmamk_f32 v41, v40, 0xba1345e1, v36
	v_fmaak_f32 v41, v40, v41, 0xbcdac9b8
	v_fmaak_f32 v41, v40, v41, 0x3de703be
	;; [unrolled: 1-line block ×4, first 2 shown]
	v_fma_f32 v40, |v23|, v40, |v23|
; %bb.71:                               ;   in Loop: Header=BB556_3 Depth=1
	s_or_b64 exec, exec, s[20:21]
	v_cvt_f32_f16_sdwa v12, v12 dst_sel:DWORD dst_unused:UNUSED_PAD src0_sel:WORD_1
                                        ; implicit-def: $vgpr42
	v_mul_f32_e32 v41, 0x3f3504f3, v12
	v_cmp_nlt_f32_e64 s[20:21], |v41|, 1.0
	s_and_saveexec_b64 s[34:35], s[20:21]
	s_xor_b64 s[20:21], exec, s[34:35]
	s_cbranch_execz .LBB556_73
; %bb.72:                               ;   in Loop: Header=BB556_3 Depth=1
	v_fma_f32 v42, |v41|, s22, v37
	v_fma_f32 v42, |v41|, v42, s23
	;; [unrolled: 1-line block ×6, first 2 shown]
	v_fma_f32 v42, |v41|, v42, |v41|
	v_mul_f32_e32 v43, 0xbfb8aa3b, v42
	v_fma_f32 v44, v42, s28, -v43
	v_rndne_f32_e32 v45, v43
	v_fmac_f32_e32 v44, 0xb2a5705f, v42
	v_sub_f32_e32 v43, v43, v45
	v_add_f32_e32 v43, v43, v44
	v_cvt_i32_f32_e32 v44, v45
	v_exp_f32_e32 v43, v43
	v_cmp_nlt_f32_e32 vcc, s29, v42
	v_ldexp_f32 v43, v43, v44
	s_nop 0
	v_cndmask_b32_e32 v43, 0, v43, vcc
	v_cmp_ngt_f32_e32 vcc, s30, v42
	s_nop 1
	v_cndmask_b32_e32 v42, v38, v43, vcc
	v_sub_f32_e32 v42, 1.0, v42
.LBB556_73:                             ;   in Loop: Header=BB556_3 Depth=1
	s_andn2_saveexec_b64 s[20:21], s[20:21]
; %bb.74:                               ;   in Loop: Header=BB556_3 Depth=1
	v_mul_f32_e32 v42, v41, v41
	v_fmamk_f32 v43, v42, 0xba1345e1, v36
	v_fmaak_f32 v43, v42, v43, 0xbcdac9b8
	v_fmaak_f32 v43, v42, v43, 0x3de703be
	;; [unrolled: 1-line block ×4, first 2 shown]
	v_fma_f32 v42, |v41|, v42, |v41|
; %bb.75:                               ;   in Loop: Header=BB556_3 Depth=1
	s_or_b64 exec, exec, s[20:21]
	v_bfi_b32 v23, s31, v40, v23
	s_waitcnt vmcnt(1)
	v_cvt_f32_f16_sdwa v45, v8 dst_sel:DWORD dst_unused:UNUSED_PAD src0_sel:WORD_1
	v_cvt_f32_f16_e32 v44, v8
	v_cvt_f32_f16_e32 v8, v13
	v_mul_f32_e32 v22, 0.5, v22
	v_add_f32_e32 v23, 1.0, v23
	v_mul_f32_e32 v22, v22, v23
	v_bfi_b32 v23, s31, v42, v41
	v_mul_f32_e32 v12, 0.5, v12
	v_add_f32_e32 v23, 1.0, v23
	v_mul_f32_e32 v23, v12, v23
	v_mul_f32_e32 v12, 0x3f3504f3, v8
	v_cmp_nlt_f32_e64 s[20:21], |v12|, 1.0
	;;#ASMSTART
	v_pk_mul_f32 v[22:23], v[22:23], v[44:45]
	;;#ASMEND
                                        ; implicit-def: $vgpr40
	s_and_saveexec_b64 s[34:35], s[20:21]
	s_xor_b64 s[20:21], exec, s[34:35]
	s_cbranch_execz .LBB556_77
; %bb.76:                               ;   in Loop: Header=BB556_3 Depth=1
	v_fma_f32 v40, |v12|, s22, v37
	v_fma_f32 v40, |v12|, v40, s23
	;; [unrolled: 1-line block ×6, first 2 shown]
	v_fma_f32 v40, |v12|, v40, |v12|
	v_mul_f32_e32 v41, 0xbfb8aa3b, v40
	v_fma_f32 v42, v40, s28, -v41
	v_rndne_f32_e32 v43, v41
	v_fmac_f32_e32 v42, 0xb2a5705f, v40
	v_sub_f32_e32 v41, v41, v43
	v_add_f32_e32 v41, v41, v42
	v_cvt_i32_f32_e32 v42, v43
	v_exp_f32_e32 v41, v41
	v_cmp_nlt_f32_e32 vcc, s29, v40
	v_ldexp_f32 v41, v41, v42
	s_nop 0
	v_cndmask_b32_e32 v41, 0, v41, vcc
	v_cmp_ngt_f32_e32 vcc, s30, v40
	s_nop 1
	v_cndmask_b32_e32 v40, v38, v41, vcc
	v_sub_f32_e32 v40, 1.0, v40
.LBB556_77:                             ;   in Loop: Header=BB556_3 Depth=1
	s_andn2_saveexec_b64 s[20:21], s[20:21]
; %bb.78:                               ;   in Loop: Header=BB556_3 Depth=1
	v_mul_f32_e32 v40, v12, v12
	v_fmamk_f32 v41, v40, 0xba1345e1, v36
	v_fmaak_f32 v41, v40, v41, 0xbcdac9b8
	v_fmaak_f32 v41, v40, v41, 0x3de703be
	;; [unrolled: 1-line block ×4, first 2 shown]
	v_fma_f32 v40, |v12|, v40, |v12|
; %bb.79:                               ;   in Loop: Header=BB556_3 Depth=1
	s_or_b64 exec, exec, s[20:21]
	v_cvt_f32_f16_sdwa v13, v13 dst_sel:DWORD dst_unused:UNUSED_PAD src0_sel:WORD_1
                                        ; implicit-def: $vgpr42
	v_mul_f32_e32 v41, 0x3f3504f3, v13
	v_cmp_nlt_f32_e64 s[20:21], |v41|, 1.0
	s_and_saveexec_b64 s[34:35], s[20:21]
	s_xor_b64 s[20:21], exec, s[34:35]
	s_cbranch_execz .LBB556_81
; %bb.80:                               ;   in Loop: Header=BB556_3 Depth=1
	v_fma_f32 v42, |v41|, s22, v37
	v_fma_f32 v42, |v41|, v42, s23
	;; [unrolled: 1-line block ×6, first 2 shown]
	v_fma_f32 v42, |v41|, v42, |v41|
	v_mul_f32_e32 v43, 0xbfb8aa3b, v42
	v_fma_f32 v44, v42, s28, -v43
	v_rndne_f32_e32 v45, v43
	v_fmac_f32_e32 v44, 0xb2a5705f, v42
	v_sub_f32_e32 v43, v43, v45
	v_add_f32_e32 v43, v43, v44
	v_cvt_i32_f32_e32 v44, v45
	v_exp_f32_e32 v43, v43
	v_cmp_nlt_f32_e32 vcc, s29, v42
	v_ldexp_f32 v43, v43, v44
	s_nop 0
	v_cndmask_b32_e32 v43, 0, v43, vcc
	v_cmp_ngt_f32_e32 vcc, s30, v42
	s_nop 1
	v_cndmask_b32_e32 v42, v38, v43, vcc
	v_sub_f32_e32 v42, 1.0, v42
.LBB556_81:                             ;   in Loop: Header=BB556_3 Depth=1
	s_andn2_saveexec_b64 s[20:21], s[20:21]
; %bb.82:                               ;   in Loop: Header=BB556_3 Depth=1
	v_mul_f32_e32 v42, v41, v41
	v_fmamk_f32 v43, v42, 0xba1345e1, v36
	v_fmaak_f32 v43, v42, v43, 0xbcdac9b8
	v_fmaak_f32 v43, v42, v43, 0x3de703be
	;; [unrolled: 1-line block ×4, first 2 shown]
	v_fma_f32 v42, |v41|, v42, |v41|
; %bb.83:                               ;   in Loop: Header=BB556_3 Depth=1
	s_or_b64 exec, exec, s[20:21]
	v_bfi_b32 v12, s31, v40, v12
	v_mul_f32_e32 v8, 0.5, v8
	v_add_f32_e32 v12, 1.0, v12
	v_mul_f32_e32 v8, v8, v12
	v_cvt_f32_f16_e32 v12, v14
	v_cvt_f32_f16_sdwa v45, v9 dst_sel:DWORD dst_unused:UNUSED_PAD src0_sel:WORD_1
	v_cvt_f32_f16_e32 v44, v9
	v_mul_f32_e32 v9, 0.5, v13
	v_bfi_b32 v13, s31, v42, v41
	v_add_f32_e32 v13, 1.0, v13
	v_mul_f32_e32 v9, v9, v13
	v_mul_f32_e32 v13, 0x3f3504f3, v12
	v_cmp_nlt_f32_e64 s[20:21], |v13|, 1.0
	;;#ASMSTART
	v_pk_mul_f32 v[8:9], v[8:9], v[44:45]
	;;#ASMEND
                                        ; implicit-def: $vgpr40
	s_and_saveexec_b64 s[34:35], s[20:21]
	s_xor_b64 s[20:21], exec, s[34:35]
	s_cbranch_execz .LBB556_85
; %bb.84:                               ;   in Loop: Header=BB556_3 Depth=1
	v_fma_f32 v40, |v13|, s22, v37
	v_fma_f32 v40, |v13|, v40, s23
	;; [unrolled: 1-line block ×6, first 2 shown]
	v_fma_f32 v40, |v13|, v40, |v13|
	v_mul_f32_e32 v41, 0xbfb8aa3b, v40
	v_fma_f32 v42, v40, s28, -v41
	v_rndne_f32_e32 v43, v41
	v_fmac_f32_e32 v42, 0xb2a5705f, v40
	v_sub_f32_e32 v41, v41, v43
	v_add_f32_e32 v41, v41, v42
	v_cvt_i32_f32_e32 v42, v43
	v_exp_f32_e32 v41, v41
	v_cmp_nlt_f32_e32 vcc, s29, v40
	v_ldexp_f32 v41, v41, v42
	s_nop 0
	v_cndmask_b32_e32 v41, 0, v41, vcc
	v_cmp_ngt_f32_e32 vcc, s30, v40
	s_nop 1
	v_cndmask_b32_e32 v40, v38, v41, vcc
	v_sub_f32_e32 v40, 1.0, v40
.LBB556_85:                             ;   in Loop: Header=BB556_3 Depth=1
	s_andn2_saveexec_b64 s[20:21], s[20:21]
; %bb.86:                               ;   in Loop: Header=BB556_3 Depth=1
	v_mul_f32_e32 v40, v13, v13
	v_fmamk_f32 v41, v40, 0xba1345e1, v36
	v_fmaak_f32 v41, v40, v41, 0xbcdac9b8
	v_fmaak_f32 v41, v40, v41, 0x3de703be
	;; [unrolled: 1-line block ×4, first 2 shown]
	v_fma_f32 v40, |v13|, v40, |v13|
; %bb.87:                               ;   in Loop: Header=BB556_3 Depth=1
	s_or_b64 exec, exec, s[20:21]
	v_cvt_f32_f16_sdwa v14, v14 dst_sel:DWORD dst_unused:UNUSED_PAD src0_sel:WORD_1
                                        ; implicit-def: $vgpr42
	v_mul_f32_e32 v41, 0x3f3504f3, v14
	v_cmp_nlt_f32_e64 s[20:21], |v41|, 1.0
	s_and_saveexec_b64 s[34:35], s[20:21]
	s_xor_b64 s[20:21], exec, s[34:35]
	s_cbranch_execz .LBB556_89
; %bb.88:                               ;   in Loop: Header=BB556_3 Depth=1
	v_fma_f32 v42, |v41|, s22, v37
	v_fma_f32 v42, |v41|, v42, s23
	;; [unrolled: 1-line block ×6, first 2 shown]
	v_fma_f32 v42, |v41|, v42, |v41|
	v_mul_f32_e32 v43, 0xbfb8aa3b, v42
	v_fma_f32 v44, v42, s28, -v43
	v_rndne_f32_e32 v45, v43
	v_fmac_f32_e32 v44, 0xb2a5705f, v42
	v_sub_f32_e32 v43, v43, v45
	v_add_f32_e32 v43, v43, v44
	v_cvt_i32_f32_e32 v44, v45
	v_exp_f32_e32 v43, v43
	v_cmp_nlt_f32_e32 vcc, s29, v42
	v_ldexp_f32 v43, v43, v44
	s_nop 0
	v_cndmask_b32_e32 v43, 0, v43, vcc
	v_cmp_ngt_f32_e32 vcc, s30, v42
	s_nop 1
	v_cndmask_b32_e32 v42, v38, v43, vcc
	v_sub_f32_e32 v42, 1.0, v42
.LBB556_89:                             ;   in Loop: Header=BB556_3 Depth=1
	s_andn2_saveexec_b64 s[20:21], s[20:21]
; %bb.90:                               ;   in Loop: Header=BB556_3 Depth=1
	v_mul_f32_e32 v42, v41, v41
	v_fmamk_f32 v43, v42, 0xba1345e1, v36
	v_fmaak_f32 v43, v42, v43, 0xbcdac9b8
	v_fmaak_f32 v43, v42, v43, 0x3de703be
	;; [unrolled: 1-line block ×4, first 2 shown]
	v_fma_f32 v42, |v41|, v42, |v41|
; %bb.91:                               ;   in Loop: Header=BB556_3 Depth=1
	s_or_b64 exec, exec, s[20:21]
	v_bfi_b32 v13, s31, v40, v13
	v_cvt_f32_f16_sdwa v45, v10 dst_sel:DWORD dst_unused:UNUSED_PAD src0_sel:WORD_1
	v_cvt_f32_f16_e32 v44, v10
	v_cvt_f32_f16_e32 v10, v15
	v_mul_f32_e32 v12, 0.5, v12
	v_add_f32_e32 v13, 1.0, v13
	v_mul_f32_e32 v12, v12, v13
	v_mul_f32_e32 v13, 0.5, v14
	v_bfi_b32 v14, s31, v42, v41
	v_add_f32_e32 v14, 1.0, v14
	v_mul_f32_e32 v13, v13, v14
	v_mul_f32_e32 v14, 0x3f3504f3, v10
	v_cmp_nlt_f32_e64 s[20:21], |v14|, 1.0
	;;#ASMSTART
	v_pk_mul_f32 v[12:13], v[12:13], v[44:45]
	;;#ASMEND
                                        ; implicit-def: $vgpr40
	s_and_saveexec_b64 s[34:35], s[20:21]
	s_xor_b64 s[20:21], exec, s[34:35]
	s_cbranch_execz .LBB556_93
; %bb.92:                               ;   in Loop: Header=BB556_3 Depth=1
	v_fma_f32 v40, |v14|, s22, v37
	v_fma_f32 v40, |v14|, v40, s23
	;; [unrolled: 1-line block ×6, first 2 shown]
	v_fma_f32 v40, |v14|, v40, |v14|
	v_mul_f32_e32 v41, 0xbfb8aa3b, v40
	v_fma_f32 v42, v40, s28, -v41
	v_rndne_f32_e32 v43, v41
	v_fmac_f32_e32 v42, 0xb2a5705f, v40
	v_sub_f32_e32 v41, v41, v43
	v_add_f32_e32 v41, v41, v42
	v_cvt_i32_f32_e32 v42, v43
	v_exp_f32_e32 v41, v41
	v_cmp_nlt_f32_e32 vcc, s29, v40
	v_ldexp_f32 v41, v41, v42
	s_nop 0
	v_cndmask_b32_e32 v41, 0, v41, vcc
	v_cmp_ngt_f32_e32 vcc, s30, v40
	s_nop 1
	v_cndmask_b32_e32 v40, v38, v41, vcc
	v_sub_f32_e32 v40, 1.0, v40
.LBB556_93:                             ;   in Loop: Header=BB556_3 Depth=1
	s_andn2_saveexec_b64 s[20:21], s[20:21]
; %bb.94:                               ;   in Loop: Header=BB556_3 Depth=1
	v_mul_f32_e32 v40, v14, v14
	v_fmamk_f32 v41, v40, 0xba1345e1, v36
	v_fmaak_f32 v41, v40, v41, 0xbcdac9b8
	v_fmaak_f32 v41, v40, v41, 0x3de703be
	;; [unrolled: 1-line block ×4, first 2 shown]
	v_fma_f32 v40, |v14|, v40, |v14|
; %bb.95:                               ;   in Loop: Header=BB556_3 Depth=1
	s_or_b64 exec, exec, s[20:21]
	v_cvt_f32_f16_sdwa v15, v15 dst_sel:DWORD dst_unused:UNUSED_PAD src0_sel:WORD_1
                                        ; implicit-def: $vgpr42
	v_mul_f32_e32 v41, 0x3f3504f3, v15
	v_cmp_nlt_f32_e64 s[20:21], |v41|, 1.0
	s_and_saveexec_b64 s[34:35], s[20:21]
	s_xor_b64 s[20:21], exec, s[34:35]
	s_cbranch_execz .LBB556_97
; %bb.96:                               ;   in Loop: Header=BB556_3 Depth=1
	v_fma_f32 v42, |v41|, s22, v37
	v_fma_f32 v42, |v41|, v42, s23
	;; [unrolled: 1-line block ×6, first 2 shown]
	v_fma_f32 v42, |v41|, v42, |v41|
	v_mul_f32_e32 v43, 0xbfb8aa3b, v42
	v_fma_f32 v44, v42, s28, -v43
	v_rndne_f32_e32 v45, v43
	v_fmac_f32_e32 v44, 0xb2a5705f, v42
	v_sub_f32_e32 v43, v43, v45
	v_add_f32_e32 v43, v43, v44
	v_cvt_i32_f32_e32 v44, v45
	v_exp_f32_e32 v43, v43
	v_cmp_nlt_f32_e32 vcc, s29, v42
	v_ldexp_f32 v43, v43, v44
	s_nop 0
	v_cndmask_b32_e32 v43, 0, v43, vcc
	v_cmp_ngt_f32_e32 vcc, s30, v42
	s_nop 1
	v_cndmask_b32_e32 v42, v38, v43, vcc
	v_sub_f32_e32 v42, 1.0, v42
.LBB556_97:                             ;   in Loop: Header=BB556_3 Depth=1
	s_andn2_saveexec_b64 s[20:21], s[20:21]
; %bb.98:                               ;   in Loop: Header=BB556_3 Depth=1
	v_mul_f32_e32 v42, v41, v41
	v_fmamk_f32 v43, v42, 0xba1345e1, v36
	v_fmaak_f32 v43, v42, v43, 0xbcdac9b8
	v_fmaak_f32 v43, v42, v43, 0x3de703be
	v_fmaak_f32 v43, v42, v43, 0xbec09330
	v_fmaak_f32 v42, v42, v43, 0x3e0375d0
	v_fma_f32 v42, |v41|, v42, |v41|
; %bb.99:                               ;   in Loop: Header=BB556_3 Depth=1
	s_or_b64 exec, exec, s[20:21]
	v_bfi_b32 v14, s31, v40, v14
	v_mul_f32_e32 v10, 0.5, v10
	v_add_f32_e32 v14, 1.0, v14
	v_mul_f32_e32 v10, v10, v14
	v_cvt_f32_f16_e32 v14, v4
	v_cvt_f32_f16_sdwa v45, v11 dst_sel:DWORD dst_unused:UNUSED_PAD src0_sel:WORD_1
	v_cvt_f32_f16_e32 v44, v11
	v_mul_f32_e32 v11, 0.5, v15
	v_bfi_b32 v15, s31, v42, v41
	v_add_f32_e32 v15, 1.0, v15
	v_mul_f32_e32 v11, v11, v15
	v_mul_f32_e32 v15, 0x3f3504f3, v14
	v_cmp_nlt_f32_e64 s[20:21], |v15|, 1.0
	;;#ASMSTART
	v_pk_mul_f32 v[10:11], v[10:11], v[44:45]
	;;#ASMEND
                                        ; implicit-def: $vgpr40
	s_and_saveexec_b64 s[34:35], s[20:21]
	s_xor_b64 s[20:21], exec, s[34:35]
	s_cbranch_execz .LBB556_101
; %bb.100:                              ;   in Loop: Header=BB556_3 Depth=1
	v_fma_f32 v40, |v15|, s22, v37
	v_fma_f32 v40, |v15|, v40, s23
	;; [unrolled: 1-line block ×6, first 2 shown]
	v_fma_f32 v40, |v15|, v40, |v15|
	v_mul_f32_e32 v41, 0xbfb8aa3b, v40
	v_fma_f32 v42, v40, s28, -v41
	v_rndne_f32_e32 v43, v41
	v_fmac_f32_e32 v42, 0xb2a5705f, v40
	v_sub_f32_e32 v41, v41, v43
	v_add_f32_e32 v41, v41, v42
	v_cvt_i32_f32_e32 v42, v43
	v_exp_f32_e32 v41, v41
	v_cmp_nlt_f32_e32 vcc, s29, v40
	v_ldexp_f32 v41, v41, v42
	s_nop 0
	v_cndmask_b32_e32 v41, 0, v41, vcc
	v_cmp_ngt_f32_e32 vcc, s30, v40
	s_nop 1
	v_cndmask_b32_e32 v40, v38, v41, vcc
	v_sub_f32_e32 v40, 1.0, v40
.LBB556_101:                            ;   in Loop: Header=BB556_3 Depth=1
	s_andn2_saveexec_b64 s[20:21], s[20:21]
; %bb.102:                              ;   in Loop: Header=BB556_3 Depth=1
	v_mul_f32_e32 v40, v15, v15
	v_fmamk_f32 v41, v40, 0xba1345e1, v36
	v_fmaak_f32 v41, v40, v41, 0xbcdac9b8
	v_fmaak_f32 v41, v40, v41, 0x3de703be
	;; [unrolled: 1-line block ×4, first 2 shown]
	v_fma_f32 v40, |v15|, v40, |v15|
; %bb.103:                              ;   in Loop: Header=BB556_3 Depth=1
	s_or_b64 exec, exec, s[20:21]
	v_cvt_f32_f16_sdwa v4, v4 dst_sel:DWORD dst_unused:UNUSED_PAD src0_sel:WORD_1
                                        ; implicit-def: $vgpr42
	v_mul_f32_e32 v41, 0x3f3504f3, v4
	v_cmp_nlt_f32_e64 s[20:21], |v41|, 1.0
	s_and_saveexec_b64 s[34:35], s[20:21]
	s_xor_b64 s[20:21], exec, s[34:35]
	s_cbranch_execz .LBB556_105
; %bb.104:                              ;   in Loop: Header=BB556_3 Depth=1
	v_fma_f32 v42, |v41|, s22, v37
	v_fma_f32 v42, |v41|, v42, s23
	;; [unrolled: 1-line block ×6, first 2 shown]
	v_fma_f32 v42, |v41|, v42, |v41|
	v_mul_f32_e32 v43, 0xbfb8aa3b, v42
	v_fma_f32 v44, v42, s28, -v43
	v_rndne_f32_e32 v45, v43
	v_fmac_f32_e32 v44, 0xb2a5705f, v42
	v_sub_f32_e32 v43, v43, v45
	v_add_f32_e32 v43, v43, v44
	v_cvt_i32_f32_e32 v44, v45
	v_exp_f32_e32 v43, v43
	v_cmp_nlt_f32_e32 vcc, s29, v42
	v_ldexp_f32 v43, v43, v44
	s_nop 0
	v_cndmask_b32_e32 v43, 0, v43, vcc
	v_cmp_ngt_f32_e32 vcc, s30, v42
	s_nop 1
	v_cndmask_b32_e32 v42, v38, v43, vcc
	v_sub_f32_e32 v42, 1.0, v42
.LBB556_105:                            ;   in Loop: Header=BB556_3 Depth=1
	s_andn2_saveexec_b64 s[20:21], s[20:21]
; %bb.106:                              ;   in Loop: Header=BB556_3 Depth=1
	v_mul_f32_e32 v42, v41, v41
	v_fmamk_f32 v43, v42, 0xba1345e1, v36
	v_fmaak_f32 v43, v42, v43, 0xbcdac9b8
	v_fmaak_f32 v43, v42, v43, 0x3de703be
	;; [unrolled: 1-line block ×4, first 2 shown]
	v_fma_f32 v42, |v41|, v42, |v41|
; %bb.107:                              ;   in Loop: Header=BB556_3 Depth=1
	s_or_b64 exec, exec, s[20:21]
	v_bfi_b32 v15, s31, v40, v15
	s_waitcnt vmcnt(0)
	v_cvt_f32_f16_sdwa v45, v0 dst_sel:DWORD dst_unused:UNUSED_PAD src0_sel:WORD_1
	v_cvt_f32_f16_e32 v44, v0
	v_cvt_f32_f16_e32 v0, v5
	v_mul_f32_e32 v14, 0.5, v14
	v_add_f32_e32 v15, 1.0, v15
	v_mul_f32_e32 v14, v14, v15
	v_bfi_b32 v15, s31, v42, v41
	v_mul_f32_e32 v4, 0.5, v4
	v_add_f32_e32 v15, 1.0, v15
	v_mul_f32_e32 v15, v4, v15
	v_mul_f32_e32 v4, 0x3f3504f3, v0
	v_cmp_nlt_f32_e64 s[20:21], |v4|, 1.0
	;;#ASMSTART
	v_pk_mul_f32 v[14:15], v[14:15], v[44:45]
	;;#ASMEND
                                        ; implicit-def: $vgpr40
	s_and_saveexec_b64 s[34:35], s[20:21]
	s_xor_b64 s[20:21], exec, s[34:35]
	s_cbranch_execz .LBB556_109
; %bb.108:                              ;   in Loop: Header=BB556_3 Depth=1
	v_fma_f32 v40, |v4|, s22, v37
	v_fma_f32 v40, |v4|, v40, s23
	;; [unrolled: 1-line block ×6, first 2 shown]
	v_fma_f32 v40, |v4|, v40, |v4|
	v_mul_f32_e32 v41, 0xbfb8aa3b, v40
	v_fma_f32 v42, v40, s28, -v41
	v_rndne_f32_e32 v43, v41
	v_fmac_f32_e32 v42, 0xb2a5705f, v40
	v_sub_f32_e32 v41, v41, v43
	v_add_f32_e32 v41, v41, v42
	v_cvt_i32_f32_e32 v42, v43
	v_exp_f32_e32 v41, v41
	v_cmp_nlt_f32_e32 vcc, s29, v40
	v_ldexp_f32 v41, v41, v42
	s_nop 0
	v_cndmask_b32_e32 v41, 0, v41, vcc
	v_cmp_ngt_f32_e32 vcc, s30, v40
	s_nop 1
	v_cndmask_b32_e32 v40, v38, v41, vcc
	v_sub_f32_e32 v40, 1.0, v40
.LBB556_109:                            ;   in Loop: Header=BB556_3 Depth=1
	s_andn2_saveexec_b64 s[20:21], s[20:21]
; %bb.110:                              ;   in Loop: Header=BB556_3 Depth=1
	v_mul_f32_e32 v40, v4, v4
	v_fmamk_f32 v41, v40, 0xba1345e1, v36
	v_fmaak_f32 v41, v40, v41, 0xbcdac9b8
	v_fmaak_f32 v41, v40, v41, 0x3de703be
	;; [unrolled: 1-line block ×4, first 2 shown]
	v_fma_f32 v40, |v4|, v40, |v4|
; %bb.111:                              ;   in Loop: Header=BB556_3 Depth=1
	s_or_b64 exec, exec, s[20:21]
	v_cvt_f32_f16_sdwa v5, v5 dst_sel:DWORD dst_unused:UNUSED_PAD src0_sel:WORD_1
                                        ; implicit-def: $vgpr42
	v_mul_f32_e32 v41, 0x3f3504f3, v5
	v_cmp_nlt_f32_e64 s[20:21], |v41|, 1.0
	s_and_saveexec_b64 s[34:35], s[20:21]
	s_xor_b64 s[20:21], exec, s[34:35]
	s_cbranch_execz .LBB556_113
; %bb.112:                              ;   in Loop: Header=BB556_3 Depth=1
	v_fma_f32 v42, |v41|, s22, v37
	v_fma_f32 v42, |v41|, v42, s23
	;; [unrolled: 1-line block ×6, first 2 shown]
	v_fma_f32 v42, |v41|, v42, |v41|
	v_mul_f32_e32 v43, 0xbfb8aa3b, v42
	v_fma_f32 v44, v42, s28, -v43
	v_rndne_f32_e32 v45, v43
	v_fmac_f32_e32 v44, 0xb2a5705f, v42
	v_sub_f32_e32 v43, v43, v45
	v_add_f32_e32 v43, v43, v44
	v_cvt_i32_f32_e32 v44, v45
	v_exp_f32_e32 v43, v43
	v_cmp_nlt_f32_e32 vcc, s29, v42
	v_ldexp_f32 v43, v43, v44
	s_nop 0
	v_cndmask_b32_e32 v43, 0, v43, vcc
	v_cmp_ngt_f32_e32 vcc, s30, v42
	s_nop 1
	v_cndmask_b32_e32 v42, v38, v43, vcc
	v_sub_f32_e32 v42, 1.0, v42
.LBB556_113:                            ;   in Loop: Header=BB556_3 Depth=1
	s_andn2_saveexec_b64 s[20:21], s[20:21]
; %bb.114:                              ;   in Loop: Header=BB556_3 Depth=1
	v_mul_f32_e32 v42, v41, v41
	v_fmamk_f32 v43, v42, 0xba1345e1, v36
	v_fmaak_f32 v43, v42, v43, 0xbcdac9b8
	v_fmaak_f32 v43, v42, v43, 0x3de703be
	;; [unrolled: 1-line block ×4, first 2 shown]
	v_fma_f32 v42, |v41|, v42, |v41|
; %bb.115:                              ;   in Loop: Header=BB556_3 Depth=1
	s_or_b64 exec, exec, s[20:21]
	v_bfi_b32 v4, s31, v40, v4
	v_mul_f32_e32 v0, 0.5, v0
	v_add_f32_e32 v4, 1.0, v4
	v_mul_f32_e32 v0, v0, v4
	v_cvt_f32_f16_e32 v4, v6
	v_cvt_f32_f16_sdwa v45, v1 dst_sel:DWORD dst_unused:UNUSED_PAD src0_sel:WORD_1
	v_cvt_f32_f16_e32 v44, v1
	v_mul_f32_e32 v1, 0.5, v5
	v_bfi_b32 v5, s31, v42, v41
	v_add_f32_e32 v5, 1.0, v5
	v_mul_f32_e32 v1, v1, v5
	v_mul_f32_e32 v5, 0x3f3504f3, v4
	v_cmp_nlt_f32_e64 s[20:21], |v5|, 1.0
	;;#ASMSTART
	v_pk_mul_f32 v[0:1], v[0:1], v[44:45]
	;;#ASMEND
                                        ; implicit-def: $vgpr40
	s_and_saveexec_b64 s[34:35], s[20:21]
	s_xor_b64 s[20:21], exec, s[34:35]
	s_cbranch_execz .LBB556_117
; %bb.116:                              ;   in Loop: Header=BB556_3 Depth=1
	v_fma_f32 v40, |v5|, s22, v37
	v_fma_f32 v40, |v5|, v40, s23
	;; [unrolled: 1-line block ×6, first 2 shown]
	v_fma_f32 v40, |v5|, v40, |v5|
	v_mul_f32_e32 v41, 0xbfb8aa3b, v40
	v_fma_f32 v42, v40, s28, -v41
	v_rndne_f32_e32 v43, v41
	v_fmac_f32_e32 v42, 0xb2a5705f, v40
	v_sub_f32_e32 v41, v41, v43
	v_add_f32_e32 v41, v41, v42
	v_cvt_i32_f32_e32 v42, v43
	v_exp_f32_e32 v41, v41
	v_cmp_nlt_f32_e32 vcc, s29, v40
	v_ldexp_f32 v41, v41, v42
	s_nop 0
	v_cndmask_b32_e32 v41, 0, v41, vcc
	v_cmp_ngt_f32_e32 vcc, s30, v40
	s_nop 1
	v_cndmask_b32_e32 v40, v38, v41, vcc
	v_sub_f32_e32 v40, 1.0, v40
.LBB556_117:                            ;   in Loop: Header=BB556_3 Depth=1
	s_andn2_saveexec_b64 s[20:21], s[20:21]
; %bb.118:                              ;   in Loop: Header=BB556_3 Depth=1
	v_mul_f32_e32 v40, v5, v5
	v_fmamk_f32 v41, v40, 0xba1345e1, v36
	v_fmaak_f32 v41, v40, v41, 0xbcdac9b8
	v_fmaak_f32 v41, v40, v41, 0x3de703be
	;; [unrolled: 1-line block ×4, first 2 shown]
	v_fma_f32 v40, |v5|, v40, |v5|
; %bb.119:                              ;   in Loop: Header=BB556_3 Depth=1
	s_or_b64 exec, exec, s[20:21]
	v_cvt_f32_f16_sdwa v6, v6 dst_sel:DWORD dst_unused:UNUSED_PAD src0_sel:WORD_1
                                        ; implicit-def: $vgpr42
	v_mul_f32_e32 v41, 0x3f3504f3, v6
	v_cmp_nlt_f32_e64 s[20:21], |v41|, 1.0
	s_and_saveexec_b64 s[34:35], s[20:21]
	s_xor_b64 s[20:21], exec, s[34:35]
	s_cbranch_execz .LBB556_121
; %bb.120:                              ;   in Loop: Header=BB556_3 Depth=1
	v_fma_f32 v42, |v41|, s22, v37
	v_fma_f32 v42, |v41|, v42, s23
	;; [unrolled: 1-line block ×6, first 2 shown]
	v_fma_f32 v42, |v41|, v42, |v41|
	v_mul_f32_e32 v43, 0xbfb8aa3b, v42
	v_fma_f32 v44, v42, s28, -v43
	v_rndne_f32_e32 v45, v43
	v_fmac_f32_e32 v44, 0xb2a5705f, v42
	v_sub_f32_e32 v43, v43, v45
	v_add_f32_e32 v43, v43, v44
	v_cvt_i32_f32_e32 v44, v45
	v_exp_f32_e32 v43, v43
	v_cmp_nlt_f32_e32 vcc, s29, v42
	v_ldexp_f32 v43, v43, v44
	s_nop 0
	v_cndmask_b32_e32 v43, 0, v43, vcc
	v_cmp_ngt_f32_e32 vcc, s30, v42
	s_nop 1
	v_cndmask_b32_e32 v42, v38, v43, vcc
	v_sub_f32_e32 v42, 1.0, v42
.LBB556_121:                            ;   in Loop: Header=BB556_3 Depth=1
	s_andn2_saveexec_b64 s[20:21], s[20:21]
; %bb.122:                              ;   in Loop: Header=BB556_3 Depth=1
	v_mul_f32_e32 v42, v41, v41
	v_fmamk_f32 v43, v42, 0xba1345e1, v36
	v_fmaak_f32 v43, v42, v43, 0xbcdac9b8
	v_fmaak_f32 v43, v42, v43, 0x3de703be
	;; [unrolled: 1-line block ×4, first 2 shown]
	v_fma_f32 v42, |v41|, v42, |v41|
; %bb.123:                              ;   in Loop: Header=BB556_3 Depth=1
	s_or_b64 exec, exec, s[20:21]
	v_bfi_b32 v5, s31, v40, v5
	v_cvt_f32_f16_sdwa v45, v2 dst_sel:DWORD dst_unused:UNUSED_PAD src0_sel:WORD_1
	v_cvt_f32_f16_e32 v44, v2
	v_cvt_f32_f16_e32 v2, v7
	v_mul_f32_e32 v4, 0.5, v4
	v_add_f32_e32 v5, 1.0, v5
	v_mul_f32_e32 v4, v4, v5
	v_mul_f32_e32 v5, 0.5, v6
	v_bfi_b32 v6, s31, v42, v41
	v_add_f32_e32 v6, 1.0, v6
	v_mul_f32_e32 v5, v5, v6
	v_mul_f32_e32 v6, 0x3f3504f3, v2
	v_cmp_nlt_f32_e64 s[20:21], |v6|, 1.0
	;;#ASMSTART
	v_pk_mul_f32 v[4:5], v[4:5], v[44:45]
	;;#ASMEND
                                        ; implicit-def: $vgpr41
	s_and_saveexec_b64 s[34:35], s[20:21]
	s_xor_b64 s[20:21], exec, s[34:35]
	s_cbranch_execz .LBB556_125
; %bb.124:                              ;   in Loop: Header=BB556_3 Depth=1
	v_fma_f32 v40, |v6|, s22, v37
	v_fma_f32 v40, |v6|, v40, s23
	;; [unrolled: 1-line block ×6, first 2 shown]
	v_fma_f32 v40, |v6|, v40, |v6|
	v_mul_f32_e32 v41, 0xbfb8aa3b, v40
	v_fma_f32 v42, v40, s28, -v41
	v_rndne_f32_e32 v43, v41
	v_fmac_f32_e32 v42, 0xb2a5705f, v40
	v_sub_f32_e32 v41, v41, v43
	v_add_f32_e32 v41, v41, v42
	v_cvt_i32_f32_e32 v42, v43
	v_exp_f32_e32 v41, v41
	v_cmp_nlt_f32_e32 vcc, s29, v40
	v_ldexp_f32 v41, v41, v42
	s_nop 0
	v_cndmask_b32_e32 v41, 0, v41, vcc
	v_cmp_ngt_f32_e32 vcc, s30, v40
	s_nop 1
	v_cndmask_b32_e32 v40, v38, v41, vcc
	v_sub_f32_e32 v41, 1.0, v40
.LBB556_125:                            ;   in Loop: Header=BB556_3 Depth=1
	s_andn2_saveexec_b64 s[20:21], s[20:21]
; %bb.126:                              ;   in Loop: Header=BB556_3 Depth=1
	v_mul_f32_e32 v40, v6, v6
	v_fmamk_f32 v41, v40, 0xba1345e1, v36
	v_fmaak_f32 v41, v40, v41, 0xbcdac9b8
	v_fmaak_f32 v41, v40, v41, 0x3de703be
	;; [unrolled: 1-line block ×4, first 2 shown]
	v_fma_f32 v41, |v6|, v40, |v6|
; %bb.127:                              ;   in Loop: Header=BB556_3 Depth=1
	s_or_b64 exec, exec, s[20:21]
	v_cvt_f32_f16_sdwa v7, v7 dst_sel:DWORD dst_unused:UNUSED_PAD src0_sel:WORD_1
                                        ; implicit-def: $vgpr42
	v_mul_f32_e32 v40, 0x3f3504f3, v7
	v_cmp_nlt_f32_e64 s[20:21], |v40|, 1.0
	s_and_saveexec_b64 s[34:35], s[20:21]
	s_xor_b64 s[20:21], exec, s[34:35]
	s_cbranch_execz .LBB556_129
; %bb.128:                              ;   in Loop: Header=BB556_3 Depth=1
	v_fma_f32 v42, |v40|, s22, v37
	v_fma_f32 v42, |v40|, v42, s23
	v_fma_f32 v42, |v40|, v42, s24
	v_fma_f32 v42, |v40|, v42, s25
	v_fma_f32 v42, |v40|, v42, s26
	v_fma_f32 v42, |v40|, v42, s27
	v_fma_f32 v42, |v40|, v42, |v40|
	v_mul_f32_e32 v43, 0xbfb8aa3b, v42
	v_fma_f32 v44, v42, s28, -v43
	v_rndne_f32_e32 v45, v43
	v_fmac_f32_e32 v44, 0xb2a5705f, v42
	v_sub_f32_e32 v43, v43, v45
	v_add_f32_e32 v43, v43, v44
	v_cvt_i32_f32_e32 v44, v45
	v_exp_f32_e32 v43, v43
	v_cmp_nlt_f32_e32 vcc, s29, v42
	v_ldexp_f32 v43, v43, v44
	s_nop 0
	v_cndmask_b32_e32 v43, 0, v43, vcc
	v_cmp_ngt_f32_e32 vcc, s30, v42
	s_nop 1
	v_cndmask_b32_e32 v42, v38, v43, vcc
	v_sub_f32_e32 v42, 1.0, v42
.LBB556_129:                            ;   in Loop: Header=BB556_3 Depth=1
	s_andn2_saveexec_b64 s[20:21], s[20:21]
	s_cbranch_execz .LBB556_2
; %bb.130:                              ;   in Loop: Header=BB556_3 Depth=1
	v_mul_f32_e32 v42, v40, v40
	v_fmamk_f32 v43, v42, 0xba1345e1, v36
	v_fmaak_f32 v43, v42, v43, 0xbcdac9b8
	v_fmaak_f32 v43, v42, v43, 0x3de703be
	v_fmaak_f32 v43, v42, v43, 0xbec09330
	v_fmaak_f32 v42, v42, v43, 0x3e0375d0
	v_fma_f32 v42, |v40|, v42, |v40|
	s_branch .LBB556_2
.LBB556_131:
	s_endpgm
	.section	.rodata,"a",@progbits
	.p2align	6, 0x0
	.amdhsa_kernel _ZN5aiter18act_and_mul_kernelIDF16_DF16_TnPFfRKT_EXadL_ZNS_11gelu_kernelIDF16_EEfS3_EELi32ELb0ELi3EEEvPT0_PS2_if
		.amdhsa_group_segment_fixed_size 0
		.amdhsa_private_segment_fixed_size 0
		.amdhsa_kernarg_size 280
		.amdhsa_user_sgpr_count 2
		.amdhsa_user_sgpr_dispatch_ptr 0
		.amdhsa_user_sgpr_queue_ptr 0
		.amdhsa_user_sgpr_kernarg_segment_ptr 1
		.amdhsa_user_sgpr_dispatch_id 0
		.amdhsa_user_sgpr_kernarg_preload_length 0
		.amdhsa_user_sgpr_kernarg_preload_offset 0
		.amdhsa_user_sgpr_private_segment_size 0
		.amdhsa_uses_dynamic_stack 0
		.amdhsa_enable_private_segment 0
		.amdhsa_system_sgpr_workgroup_id_x 1
		.amdhsa_system_sgpr_workgroup_id_y 0
		.amdhsa_system_sgpr_workgroup_id_z 0
		.amdhsa_system_sgpr_workgroup_info 0
		.amdhsa_system_vgpr_workitem_id 0
		.amdhsa_next_free_vgpr 46
		.amdhsa_next_free_sgpr 36
		.amdhsa_accum_offset 48
		.amdhsa_reserve_vcc 1
		.amdhsa_float_round_mode_32 0
		.amdhsa_float_round_mode_16_64 0
		.amdhsa_float_denorm_mode_32 3
		.amdhsa_float_denorm_mode_16_64 3
		.amdhsa_dx10_clamp 1
		.amdhsa_ieee_mode 1
		.amdhsa_fp16_overflow 0
		.amdhsa_tg_split 0
		.amdhsa_exception_fp_ieee_invalid_op 0
		.amdhsa_exception_fp_denorm_src 0
		.amdhsa_exception_fp_ieee_div_zero 0
		.amdhsa_exception_fp_ieee_overflow 0
		.amdhsa_exception_fp_ieee_underflow 0
		.amdhsa_exception_fp_ieee_inexact 0
		.amdhsa_exception_int_div_zero 0
	.end_amdhsa_kernel
	.section	.text._ZN5aiter18act_and_mul_kernelIDF16_DF16_TnPFfRKT_EXadL_ZNS_11gelu_kernelIDF16_EEfS3_EELi32ELb0ELi3EEEvPT0_PS2_if,"axG",@progbits,_ZN5aiter18act_and_mul_kernelIDF16_DF16_TnPFfRKT_EXadL_ZNS_11gelu_kernelIDF16_EEfS3_EELi32ELb0ELi3EEEvPT0_PS2_if,comdat
.Lfunc_end556:
	.size	_ZN5aiter18act_and_mul_kernelIDF16_DF16_TnPFfRKT_EXadL_ZNS_11gelu_kernelIDF16_EEfS3_EELi32ELb0ELi3EEEvPT0_PS2_if, .Lfunc_end556-_ZN5aiter18act_and_mul_kernelIDF16_DF16_TnPFfRKT_EXadL_ZNS_11gelu_kernelIDF16_EEfS3_EELi32ELb0ELi3EEEvPT0_PS2_if
                                        ; -- End function
	.section	.AMDGPU.csdata,"",@progbits
; Kernel info:
; codeLenInByte = 9052
; NumSgprs: 42
; NumVgprs: 46
; NumAgprs: 0
; TotalNumVgprs: 46
; ScratchSize: 0
; MemoryBound: 0
; FloatMode: 240
; IeeeMode: 1
; LDSByteSize: 0 bytes/workgroup (compile time only)
; SGPRBlocks: 5
; VGPRBlocks: 5
; NumSGPRsForWavesPerEU: 42
; NumVGPRsForWavesPerEU: 46
; AccumOffset: 48
; Occupancy: 8
; WaveLimiterHint : 0
; COMPUTE_PGM_RSRC2:SCRATCH_EN: 0
; COMPUTE_PGM_RSRC2:USER_SGPR: 2
; COMPUTE_PGM_RSRC2:TRAP_HANDLER: 0
; COMPUTE_PGM_RSRC2:TGID_X_EN: 1
; COMPUTE_PGM_RSRC2:TGID_Y_EN: 0
; COMPUTE_PGM_RSRC2:TGID_Z_EN: 0
; COMPUTE_PGM_RSRC2:TIDIG_COMP_CNT: 0
; COMPUTE_PGM_RSRC3_GFX90A:ACCUM_OFFSET: 11
; COMPUTE_PGM_RSRC3_GFX90A:TG_SPLIT: 0
	.section	.text._ZN5aiter18act_and_mul_kernelIDF16_DF16_TnPFfRKT_EXadL_ZNS_11gelu_kernelIDF16_EEfS3_EELi16ELb0ELi3EEEvPT0_PS2_if,"axG",@progbits,_ZN5aiter18act_and_mul_kernelIDF16_DF16_TnPFfRKT_EXadL_ZNS_11gelu_kernelIDF16_EEfS3_EELi16ELb0ELi3EEEvPT0_PS2_if,comdat
	.protected	_ZN5aiter18act_and_mul_kernelIDF16_DF16_TnPFfRKT_EXadL_ZNS_11gelu_kernelIDF16_EEfS3_EELi16ELb0ELi3EEEvPT0_PS2_if ; -- Begin function _ZN5aiter18act_and_mul_kernelIDF16_DF16_TnPFfRKT_EXadL_ZNS_11gelu_kernelIDF16_EEfS3_EELi16ELb0ELi3EEEvPT0_PS2_if
	.globl	_ZN5aiter18act_and_mul_kernelIDF16_DF16_TnPFfRKT_EXadL_ZNS_11gelu_kernelIDF16_EEfS3_EELi16ELb0ELi3EEEvPT0_PS2_if
	.p2align	8
	.type	_ZN5aiter18act_and_mul_kernelIDF16_DF16_TnPFfRKT_EXadL_ZNS_11gelu_kernelIDF16_EEfS3_EELi16ELb0ELi3EEEvPT0_PS2_if,@function
_ZN5aiter18act_and_mul_kernelIDF16_DF16_TnPFfRKT_EXadL_ZNS_11gelu_kernelIDF16_EEfS3_EELi16ELb0ELi3EEEvPT0_PS2_if: ; @_ZN5aiter18act_and_mul_kernelIDF16_DF16_TnPFfRKT_EXadL_ZNS_11gelu_kernelIDF16_EEfS3_EELi16ELb0ELi3EEEvPT0_PS2_if
; %bb.0:
	s_load_dword s16, s[0:1], 0x10
	v_lshlrev_b32_e32 v16, 4, v0
	s_waitcnt lgkmcnt(0)
	v_cmp_gt_i32_e32 vcc, s16, v16
	s_and_saveexec_b64 s[4:5], vcc
	s_cbranch_execz .LBB557_67
; %bb.1:
	s_load_dwordx4 s[12:15], s[0:1], 0x0
	s_ashr_i32 s17, s16, 31
	s_mul_hi_u32 s3, s16, s2
	s_mul_i32 s4, s17, s2
	s_add_i32 s3, s3, s4
	s_mul_i32 s2, s16, s2
	s_lshl_b64 s[10:11], s[2:3], 1
	s_lshl_b64 s[2:3], s[2:3], 2
	s_waitcnt lgkmcnt(0)
	s_add_u32 s4, s14, s2
	s_addc_u32 s5, s15, s3
	s_lshl_b64 s[2:3], s[16:17], 1
	s_add_u32 s8, s4, s2
	s_addc_u32 s2, s5, s3
	s_add_i32 s3, s16, 1
	s_lshr_b32 s6, s3, 31
	s_add_i32 s3, s3, s6
	s_lshl_b32 s3, s3, 1
	s_and_b32 s6, s3, -4
	s_and_b32 s5, s5, 0xffff
	s_and_b32 s9, s2, 0xffff
	s_add_u32 s12, s12, s10
	s_addc_u32 s2, s13, s11
	s_and_b32 s13, s2, 0xffff
	s_mov_b32 s7, 0x20000
	s_add_u32 s0, s0, 24
	v_mov_b32_e32 v17, 0
	s_addc_u32 s1, s1, 0
	s_mov_b64 s[2:3], 0
	s_mov_b32 s19, 0
	s_mov_b32 s10, s6
	;; [unrolled: 1-line block ×12, first 2 shown]
	v_mov_b32_e32 v20, 0x3ba10414
	s_brev_b32 s31, -2
	v_mov_b32_e32 v21, 0xb9c68948
	v_mov_b32_e32 v22, 0x7f800000
	s_mov_b32 s14, s6
	s_mov_b32 s15, s7
                                        ; implicit-def: $vgpr0
                                        ; implicit-def: $vgpr0
	;; [unrolled: 1-line block ×4, first 2 shown]
	s_branch .LBB557_3
.LBB557_2:                              ;   in Loop: Header=BB557_3 Depth=1
	s_or_b64 exec, exec, s[20:21]
	v_bfi_b32 v6, s31, v24, v6
	v_mul_f32_e32 v2, 0.5, v2
	v_add_f32_e32 v6, 1.0, v6
	v_cvt_f16_f32_e32 v24, v1
	v_bfi_b32 v1, s31, v26, v25
	v_mul_f32_e32 v2, v2, v6
	v_cvt_f16_f32_e32 v6, v14
	v_cvt_f16_f32_e32 v14, v15
	;; [unrolled: 1-line block ×3, first 2 shown]
	v_mul_f32_e32 v0, 0.5, v7
	v_add_f32_e32 v1, 1.0, v1
	v_cvt_f32_f16_sdwa v29, v3 dst_sel:DWORD dst_unused:UNUSED_PAD src0_sel:WORD_1
	v_cvt_f32_f16_e32 v28, v3
	v_mul_f32_e32 v3, v0, v1
	;;#ASMSTART
	v_pk_mul_f32 v[0:1], v[2:3], v[28:29]
	;;#ASMEND
	s_load_dword s18, s[0:1], 0xc
	v_cvt_f16_f32_e32 v18, v18
	v_cvt_f16_f32_e32 v19, v19
	;; [unrolled: 1-line block ×12, first 2 shown]
	s_waitcnt lgkmcnt(0)
	s_and_b32 s18, s18, 0xffff
	s_lshl_b32 s18, s18, 4
	v_lshl_add_u64 v[16:17], s[18:19], 0, v[16:17]
	v_pack_b32_f16 v3, v10, v11
	v_pack_b32_f16 v2, v12, v13
	;; [unrolled: 1-line block ×4, first 2 shown]
	v_cmp_le_i64_e32 vcc, s[16:17], v[16:17]
	buffer_store_dwordx4 v[0:3], v23, s[12:15], 0 offen
	s_or_b64 s[2:3], vcc, s[2:3]
	s_nop 0
	v_pack_b32_f16 v3, v7, v25
	v_pack_b32_f16 v2, v4, v5
	;; [unrolled: 1-line block ×4, first 2 shown]
	buffer_store_dwordx4 v[0:3], v23, s[12:15], 16 offen
	s_andn2_b64 exec, exec, s[2:3]
	s_cbranch_execz .LBB557_67
.LBB557_3:                              ; =>This Inner Loop Header: Depth=1
	v_lshlrev_b32_e32 v23, 1, v16
	buffer_load_dwordx4 v[12:15], v23, s[4:7], 0 offen sc0 nt
	buffer_load_dwordx4 v[4:7], v23, s[4:7], 16 offen sc0 nt
	;; [unrolled: 1-line block ×4, first 2 shown]
                                        ; implicit-def: $vgpr24
	s_waitcnt vmcnt(3)
	v_cvt_f32_f16_e32 v18, v12
	v_mul_f32_e32 v19, 0x3f3504f3, v18
	v_cmp_nlt_f32_e64 s[20:21], |v19|, 1.0
	s_and_saveexec_b64 s[34:35], s[20:21]
	s_xor_b64 s[20:21], exec, s[34:35]
	s_cbranch_execz .LBB557_5
; %bb.4:                                ;   in Loop: Header=BB557_3 Depth=1
	v_fma_f32 v24, |v19|, s22, v21
	v_fma_f32 v24, |v19|, v24, s23
	v_fma_f32 v24, |v19|, v24, s24
	v_fma_f32 v24, |v19|, v24, s25
	v_fma_f32 v24, |v19|, v24, s26
	v_fma_f32 v24, |v19|, v24, s27
	v_fma_f32 v24, |v19|, v24, |v19|
	v_mul_f32_e32 v25, 0xbfb8aa3b, v24
	v_fma_f32 v26, v24, s28, -v25
	v_rndne_f32_e32 v27, v25
	v_fmac_f32_e32 v26, 0xb2a5705f, v24
	v_sub_f32_e32 v25, v25, v27
	v_add_f32_e32 v25, v25, v26
	v_cvt_i32_f32_e32 v26, v27
	v_exp_f32_e32 v25, v25
	v_cmp_nlt_f32_e32 vcc, s29, v24
	v_ldexp_f32 v25, v25, v26
	s_nop 0
	v_cndmask_b32_e32 v25, 0, v25, vcc
	v_cmp_ngt_f32_e32 vcc, s30, v24
	s_nop 1
	v_cndmask_b32_e32 v24, v22, v25, vcc
	v_sub_f32_e32 v24, 1.0, v24
.LBB557_5:                              ;   in Loop: Header=BB557_3 Depth=1
	s_andn2_saveexec_b64 s[20:21], s[20:21]
; %bb.6:                                ;   in Loop: Header=BB557_3 Depth=1
	v_mul_f32_e32 v24, v19, v19
	v_fmamk_f32 v25, v24, 0xba1345e1, v20
	v_fmaak_f32 v25, v24, v25, 0xbcdac9b8
	v_fmaak_f32 v25, v24, v25, 0x3de703be
	;; [unrolled: 1-line block ×4, first 2 shown]
	v_fma_f32 v24, |v19|, v24, |v19|
; %bb.7:                                ;   in Loop: Header=BB557_3 Depth=1
	s_or_b64 exec, exec, s[20:21]
	v_cvt_f32_f16_sdwa v12, v12 dst_sel:DWORD dst_unused:UNUSED_PAD src0_sel:WORD_1
                                        ; implicit-def: $vgpr26
	v_mul_f32_e32 v25, 0x3f3504f3, v12
	v_cmp_nlt_f32_e64 s[20:21], |v25|, 1.0
	s_and_saveexec_b64 s[34:35], s[20:21]
	s_xor_b64 s[20:21], exec, s[34:35]
	s_cbranch_execz .LBB557_9
; %bb.8:                                ;   in Loop: Header=BB557_3 Depth=1
	v_fma_f32 v26, |v25|, s22, v21
	v_fma_f32 v26, |v25|, v26, s23
	;; [unrolled: 1-line block ×6, first 2 shown]
	v_fma_f32 v26, |v25|, v26, |v25|
	v_mul_f32_e32 v27, 0xbfb8aa3b, v26
	v_fma_f32 v28, v26, s28, -v27
	v_rndne_f32_e32 v29, v27
	v_fmac_f32_e32 v28, 0xb2a5705f, v26
	v_sub_f32_e32 v27, v27, v29
	v_add_f32_e32 v27, v27, v28
	v_cvt_i32_f32_e32 v28, v29
	v_exp_f32_e32 v27, v27
	v_cmp_nlt_f32_e32 vcc, s29, v26
	v_ldexp_f32 v27, v27, v28
	s_nop 0
	v_cndmask_b32_e32 v27, 0, v27, vcc
	v_cmp_ngt_f32_e32 vcc, s30, v26
	s_nop 1
	v_cndmask_b32_e32 v26, v22, v27, vcc
	v_sub_f32_e32 v26, 1.0, v26
.LBB557_9:                              ;   in Loop: Header=BB557_3 Depth=1
	s_andn2_saveexec_b64 s[20:21], s[20:21]
; %bb.10:                               ;   in Loop: Header=BB557_3 Depth=1
	v_mul_f32_e32 v26, v25, v25
	v_fmamk_f32 v27, v26, 0xba1345e1, v20
	v_fmaak_f32 v27, v26, v27, 0xbcdac9b8
	v_fmaak_f32 v27, v26, v27, 0x3de703be
	;; [unrolled: 1-line block ×4, first 2 shown]
	v_fma_f32 v26, |v25|, v26, |v25|
; %bb.11:                               ;   in Loop: Header=BB557_3 Depth=1
	s_or_b64 exec, exec, s[20:21]
	v_bfi_b32 v19, s31, v24, v19
	s_waitcnt vmcnt(1)
	v_cvt_f32_f16_sdwa v29, v8 dst_sel:DWORD dst_unused:UNUSED_PAD src0_sel:WORD_1
	v_cvt_f32_f16_e32 v28, v8
	v_cvt_f32_f16_e32 v8, v13
	v_mul_f32_e32 v18, 0.5, v18
	v_add_f32_e32 v19, 1.0, v19
	v_mul_f32_e32 v18, v18, v19
	v_bfi_b32 v19, s31, v26, v25
	v_mul_f32_e32 v12, 0.5, v12
	v_add_f32_e32 v19, 1.0, v19
	v_mul_f32_e32 v19, v12, v19
	v_mul_f32_e32 v12, 0x3f3504f3, v8
	v_cmp_nlt_f32_e64 s[20:21], |v12|, 1.0
	;;#ASMSTART
	v_pk_mul_f32 v[18:19], v[18:19], v[28:29]
	;;#ASMEND
                                        ; implicit-def: $vgpr24
	s_and_saveexec_b64 s[34:35], s[20:21]
	s_xor_b64 s[20:21], exec, s[34:35]
	s_cbranch_execz .LBB557_13
; %bb.12:                               ;   in Loop: Header=BB557_3 Depth=1
	v_fma_f32 v24, |v12|, s22, v21
	v_fma_f32 v24, |v12|, v24, s23
	;; [unrolled: 1-line block ×6, first 2 shown]
	v_fma_f32 v24, |v12|, v24, |v12|
	v_mul_f32_e32 v25, 0xbfb8aa3b, v24
	v_fma_f32 v26, v24, s28, -v25
	v_rndne_f32_e32 v27, v25
	v_fmac_f32_e32 v26, 0xb2a5705f, v24
	v_sub_f32_e32 v25, v25, v27
	v_add_f32_e32 v25, v25, v26
	v_cvt_i32_f32_e32 v26, v27
	v_exp_f32_e32 v25, v25
	v_cmp_nlt_f32_e32 vcc, s29, v24
	v_ldexp_f32 v25, v25, v26
	s_nop 0
	v_cndmask_b32_e32 v25, 0, v25, vcc
	v_cmp_ngt_f32_e32 vcc, s30, v24
	s_nop 1
	v_cndmask_b32_e32 v24, v22, v25, vcc
	v_sub_f32_e32 v24, 1.0, v24
.LBB557_13:                             ;   in Loop: Header=BB557_3 Depth=1
	s_andn2_saveexec_b64 s[20:21], s[20:21]
; %bb.14:                               ;   in Loop: Header=BB557_3 Depth=1
	v_mul_f32_e32 v24, v12, v12
	v_fmamk_f32 v25, v24, 0xba1345e1, v20
	v_fmaak_f32 v25, v24, v25, 0xbcdac9b8
	v_fmaak_f32 v25, v24, v25, 0x3de703be
	;; [unrolled: 1-line block ×4, first 2 shown]
	v_fma_f32 v24, |v12|, v24, |v12|
; %bb.15:                               ;   in Loop: Header=BB557_3 Depth=1
	s_or_b64 exec, exec, s[20:21]
	v_cvt_f32_f16_sdwa v13, v13 dst_sel:DWORD dst_unused:UNUSED_PAD src0_sel:WORD_1
                                        ; implicit-def: $vgpr26
	v_mul_f32_e32 v25, 0x3f3504f3, v13
	v_cmp_nlt_f32_e64 s[20:21], |v25|, 1.0
	s_and_saveexec_b64 s[34:35], s[20:21]
	s_xor_b64 s[20:21], exec, s[34:35]
	s_cbranch_execz .LBB557_17
; %bb.16:                               ;   in Loop: Header=BB557_3 Depth=1
	v_fma_f32 v26, |v25|, s22, v21
	v_fma_f32 v26, |v25|, v26, s23
	;; [unrolled: 1-line block ×6, first 2 shown]
	v_fma_f32 v26, |v25|, v26, |v25|
	v_mul_f32_e32 v27, 0xbfb8aa3b, v26
	v_fma_f32 v28, v26, s28, -v27
	v_rndne_f32_e32 v29, v27
	v_fmac_f32_e32 v28, 0xb2a5705f, v26
	v_sub_f32_e32 v27, v27, v29
	v_add_f32_e32 v27, v27, v28
	v_cvt_i32_f32_e32 v28, v29
	v_exp_f32_e32 v27, v27
	v_cmp_nlt_f32_e32 vcc, s29, v26
	v_ldexp_f32 v27, v27, v28
	s_nop 0
	v_cndmask_b32_e32 v27, 0, v27, vcc
	v_cmp_ngt_f32_e32 vcc, s30, v26
	s_nop 1
	v_cndmask_b32_e32 v26, v22, v27, vcc
	v_sub_f32_e32 v26, 1.0, v26
.LBB557_17:                             ;   in Loop: Header=BB557_3 Depth=1
	s_andn2_saveexec_b64 s[20:21], s[20:21]
; %bb.18:                               ;   in Loop: Header=BB557_3 Depth=1
	v_mul_f32_e32 v26, v25, v25
	v_fmamk_f32 v27, v26, 0xba1345e1, v20
	v_fmaak_f32 v27, v26, v27, 0xbcdac9b8
	v_fmaak_f32 v27, v26, v27, 0x3de703be
	;; [unrolled: 1-line block ×4, first 2 shown]
	v_fma_f32 v26, |v25|, v26, |v25|
; %bb.19:                               ;   in Loop: Header=BB557_3 Depth=1
	s_or_b64 exec, exec, s[20:21]
	v_bfi_b32 v12, s31, v24, v12
	v_mul_f32_e32 v8, 0.5, v8
	v_add_f32_e32 v12, 1.0, v12
	v_mul_f32_e32 v8, v8, v12
	v_cvt_f32_f16_e32 v12, v14
	v_cvt_f32_f16_sdwa v29, v9 dst_sel:DWORD dst_unused:UNUSED_PAD src0_sel:WORD_1
	v_cvt_f32_f16_e32 v28, v9
	v_mul_f32_e32 v9, 0.5, v13
	v_bfi_b32 v13, s31, v26, v25
	v_add_f32_e32 v13, 1.0, v13
	v_mul_f32_e32 v9, v9, v13
	v_mul_f32_e32 v13, 0x3f3504f3, v12
	v_cmp_nlt_f32_e64 s[20:21], |v13|, 1.0
	;;#ASMSTART
	v_pk_mul_f32 v[8:9], v[8:9], v[28:29]
	;;#ASMEND
                                        ; implicit-def: $vgpr24
	s_and_saveexec_b64 s[34:35], s[20:21]
	s_xor_b64 s[20:21], exec, s[34:35]
	s_cbranch_execz .LBB557_21
; %bb.20:                               ;   in Loop: Header=BB557_3 Depth=1
	v_fma_f32 v24, |v13|, s22, v21
	v_fma_f32 v24, |v13|, v24, s23
	v_fma_f32 v24, |v13|, v24, s24
	v_fma_f32 v24, |v13|, v24, s25
	v_fma_f32 v24, |v13|, v24, s26
	v_fma_f32 v24, |v13|, v24, s27
	v_fma_f32 v24, |v13|, v24, |v13|
	v_mul_f32_e32 v25, 0xbfb8aa3b, v24
	v_fma_f32 v26, v24, s28, -v25
	v_rndne_f32_e32 v27, v25
	v_fmac_f32_e32 v26, 0xb2a5705f, v24
	v_sub_f32_e32 v25, v25, v27
	v_add_f32_e32 v25, v25, v26
	v_cvt_i32_f32_e32 v26, v27
	v_exp_f32_e32 v25, v25
	v_cmp_nlt_f32_e32 vcc, s29, v24
	v_ldexp_f32 v25, v25, v26
	s_nop 0
	v_cndmask_b32_e32 v25, 0, v25, vcc
	v_cmp_ngt_f32_e32 vcc, s30, v24
	s_nop 1
	v_cndmask_b32_e32 v24, v22, v25, vcc
	v_sub_f32_e32 v24, 1.0, v24
.LBB557_21:                             ;   in Loop: Header=BB557_3 Depth=1
	s_andn2_saveexec_b64 s[20:21], s[20:21]
; %bb.22:                               ;   in Loop: Header=BB557_3 Depth=1
	v_mul_f32_e32 v24, v13, v13
	v_fmamk_f32 v25, v24, 0xba1345e1, v20
	v_fmaak_f32 v25, v24, v25, 0xbcdac9b8
	v_fmaak_f32 v25, v24, v25, 0x3de703be
	;; [unrolled: 1-line block ×4, first 2 shown]
	v_fma_f32 v24, |v13|, v24, |v13|
; %bb.23:                               ;   in Loop: Header=BB557_3 Depth=1
	s_or_b64 exec, exec, s[20:21]
	v_cvt_f32_f16_sdwa v14, v14 dst_sel:DWORD dst_unused:UNUSED_PAD src0_sel:WORD_1
                                        ; implicit-def: $vgpr26
	v_mul_f32_e32 v25, 0x3f3504f3, v14
	v_cmp_nlt_f32_e64 s[20:21], |v25|, 1.0
	s_and_saveexec_b64 s[34:35], s[20:21]
	s_xor_b64 s[20:21], exec, s[34:35]
	s_cbranch_execz .LBB557_25
; %bb.24:                               ;   in Loop: Header=BB557_3 Depth=1
	v_fma_f32 v26, |v25|, s22, v21
	v_fma_f32 v26, |v25|, v26, s23
	;; [unrolled: 1-line block ×6, first 2 shown]
	v_fma_f32 v26, |v25|, v26, |v25|
	v_mul_f32_e32 v27, 0xbfb8aa3b, v26
	v_fma_f32 v28, v26, s28, -v27
	v_rndne_f32_e32 v29, v27
	v_fmac_f32_e32 v28, 0xb2a5705f, v26
	v_sub_f32_e32 v27, v27, v29
	v_add_f32_e32 v27, v27, v28
	v_cvt_i32_f32_e32 v28, v29
	v_exp_f32_e32 v27, v27
	v_cmp_nlt_f32_e32 vcc, s29, v26
	v_ldexp_f32 v27, v27, v28
	s_nop 0
	v_cndmask_b32_e32 v27, 0, v27, vcc
	v_cmp_ngt_f32_e32 vcc, s30, v26
	s_nop 1
	v_cndmask_b32_e32 v26, v22, v27, vcc
	v_sub_f32_e32 v26, 1.0, v26
.LBB557_25:                             ;   in Loop: Header=BB557_3 Depth=1
	s_andn2_saveexec_b64 s[20:21], s[20:21]
; %bb.26:                               ;   in Loop: Header=BB557_3 Depth=1
	v_mul_f32_e32 v26, v25, v25
	v_fmamk_f32 v27, v26, 0xba1345e1, v20
	v_fmaak_f32 v27, v26, v27, 0xbcdac9b8
	v_fmaak_f32 v27, v26, v27, 0x3de703be
	;; [unrolled: 1-line block ×4, first 2 shown]
	v_fma_f32 v26, |v25|, v26, |v25|
; %bb.27:                               ;   in Loop: Header=BB557_3 Depth=1
	s_or_b64 exec, exec, s[20:21]
	v_bfi_b32 v13, s31, v24, v13
	v_cvt_f32_f16_sdwa v29, v10 dst_sel:DWORD dst_unused:UNUSED_PAD src0_sel:WORD_1
	v_cvt_f32_f16_e32 v28, v10
	v_cvt_f32_f16_e32 v10, v15
	v_mul_f32_e32 v12, 0.5, v12
	v_add_f32_e32 v13, 1.0, v13
	v_mul_f32_e32 v12, v12, v13
	v_mul_f32_e32 v13, 0.5, v14
	v_bfi_b32 v14, s31, v26, v25
	v_add_f32_e32 v14, 1.0, v14
	v_mul_f32_e32 v13, v13, v14
	v_mul_f32_e32 v14, 0x3f3504f3, v10
	v_cmp_nlt_f32_e64 s[20:21], |v14|, 1.0
	;;#ASMSTART
	v_pk_mul_f32 v[12:13], v[12:13], v[28:29]
	;;#ASMEND
                                        ; implicit-def: $vgpr24
	s_and_saveexec_b64 s[34:35], s[20:21]
	s_xor_b64 s[20:21], exec, s[34:35]
	s_cbranch_execz .LBB557_29
; %bb.28:                               ;   in Loop: Header=BB557_3 Depth=1
	v_fma_f32 v24, |v14|, s22, v21
	v_fma_f32 v24, |v14|, v24, s23
	;; [unrolled: 1-line block ×6, first 2 shown]
	v_fma_f32 v24, |v14|, v24, |v14|
	v_mul_f32_e32 v25, 0xbfb8aa3b, v24
	v_fma_f32 v26, v24, s28, -v25
	v_rndne_f32_e32 v27, v25
	v_fmac_f32_e32 v26, 0xb2a5705f, v24
	v_sub_f32_e32 v25, v25, v27
	v_add_f32_e32 v25, v25, v26
	v_cvt_i32_f32_e32 v26, v27
	v_exp_f32_e32 v25, v25
	v_cmp_nlt_f32_e32 vcc, s29, v24
	v_ldexp_f32 v25, v25, v26
	s_nop 0
	v_cndmask_b32_e32 v25, 0, v25, vcc
	v_cmp_ngt_f32_e32 vcc, s30, v24
	s_nop 1
	v_cndmask_b32_e32 v24, v22, v25, vcc
	v_sub_f32_e32 v24, 1.0, v24
.LBB557_29:                             ;   in Loop: Header=BB557_3 Depth=1
	s_andn2_saveexec_b64 s[20:21], s[20:21]
; %bb.30:                               ;   in Loop: Header=BB557_3 Depth=1
	v_mul_f32_e32 v24, v14, v14
	v_fmamk_f32 v25, v24, 0xba1345e1, v20
	v_fmaak_f32 v25, v24, v25, 0xbcdac9b8
	v_fmaak_f32 v25, v24, v25, 0x3de703be
	;; [unrolled: 1-line block ×4, first 2 shown]
	v_fma_f32 v24, |v14|, v24, |v14|
; %bb.31:                               ;   in Loop: Header=BB557_3 Depth=1
	s_or_b64 exec, exec, s[20:21]
	v_cvt_f32_f16_sdwa v15, v15 dst_sel:DWORD dst_unused:UNUSED_PAD src0_sel:WORD_1
                                        ; implicit-def: $vgpr26
	v_mul_f32_e32 v25, 0x3f3504f3, v15
	v_cmp_nlt_f32_e64 s[20:21], |v25|, 1.0
	s_and_saveexec_b64 s[34:35], s[20:21]
	s_xor_b64 s[20:21], exec, s[34:35]
	s_cbranch_execz .LBB557_33
; %bb.32:                               ;   in Loop: Header=BB557_3 Depth=1
	v_fma_f32 v26, |v25|, s22, v21
	v_fma_f32 v26, |v25|, v26, s23
	;; [unrolled: 1-line block ×6, first 2 shown]
	v_fma_f32 v26, |v25|, v26, |v25|
	v_mul_f32_e32 v27, 0xbfb8aa3b, v26
	v_fma_f32 v28, v26, s28, -v27
	v_rndne_f32_e32 v29, v27
	v_fmac_f32_e32 v28, 0xb2a5705f, v26
	v_sub_f32_e32 v27, v27, v29
	v_add_f32_e32 v27, v27, v28
	v_cvt_i32_f32_e32 v28, v29
	v_exp_f32_e32 v27, v27
	v_cmp_nlt_f32_e32 vcc, s29, v26
	v_ldexp_f32 v27, v27, v28
	s_nop 0
	v_cndmask_b32_e32 v27, 0, v27, vcc
	v_cmp_ngt_f32_e32 vcc, s30, v26
	s_nop 1
	v_cndmask_b32_e32 v26, v22, v27, vcc
	v_sub_f32_e32 v26, 1.0, v26
.LBB557_33:                             ;   in Loop: Header=BB557_3 Depth=1
	s_andn2_saveexec_b64 s[20:21], s[20:21]
; %bb.34:                               ;   in Loop: Header=BB557_3 Depth=1
	v_mul_f32_e32 v26, v25, v25
	v_fmamk_f32 v27, v26, 0xba1345e1, v20
	v_fmaak_f32 v27, v26, v27, 0xbcdac9b8
	v_fmaak_f32 v27, v26, v27, 0x3de703be
	;; [unrolled: 1-line block ×4, first 2 shown]
	v_fma_f32 v26, |v25|, v26, |v25|
; %bb.35:                               ;   in Loop: Header=BB557_3 Depth=1
	s_or_b64 exec, exec, s[20:21]
	v_bfi_b32 v14, s31, v24, v14
	v_mul_f32_e32 v10, 0.5, v10
	v_add_f32_e32 v14, 1.0, v14
	v_mul_f32_e32 v10, v10, v14
	v_cvt_f32_f16_e32 v14, v4
	v_cvt_f32_f16_sdwa v29, v11 dst_sel:DWORD dst_unused:UNUSED_PAD src0_sel:WORD_1
	v_cvt_f32_f16_e32 v28, v11
	v_mul_f32_e32 v11, 0.5, v15
	v_bfi_b32 v15, s31, v26, v25
	v_add_f32_e32 v15, 1.0, v15
	v_mul_f32_e32 v11, v11, v15
	v_mul_f32_e32 v15, 0x3f3504f3, v14
	v_cmp_nlt_f32_e64 s[20:21], |v15|, 1.0
	;;#ASMSTART
	v_pk_mul_f32 v[10:11], v[10:11], v[28:29]
	;;#ASMEND
                                        ; implicit-def: $vgpr24
	s_and_saveexec_b64 s[34:35], s[20:21]
	s_xor_b64 s[20:21], exec, s[34:35]
	s_cbranch_execz .LBB557_37
; %bb.36:                               ;   in Loop: Header=BB557_3 Depth=1
	v_fma_f32 v24, |v15|, s22, v21
	v_fma_f32 v24, |v15|, v24, s23
	;; [unrolled: 1-line block ×6, first 2 shown]
	v_fma_f32 v24, |v15|, v24, |v15|
	v_mul_f32_e32 v25, 0xbfb8aa3b, v24
	v_fma_f32 v26, v24, s28, -v25
	v_rndne_f32_e32 v27, v25
	v_fmac_f32_e32 v26, 0xb2a5705f, v24
	v_sub_f32_e32 v25, v25, v27
	v_add_f32_e32 v25, v25, v26
	v_cvt_i32_f32_e32 v26, v27
	v_exp_f32_e32 v25, v25
	v_cmp_nlt_f32_e32 vcc, s29, v24
	v_ldexp_f32 v25, v25, v26
	s_nop 0
	v_cndmask_b32_e32 v25, 0, v25, vcc
	v_cmp_ngt_f32_e32 vcc, s30, v24
	s_nop 1
	v_cndmask_b32_e32 v24, v22, v25, vcc
	v_sub_f32_e32 v24, 1.0, v24
.LBB557_37:                             ;   in Loop: Header=BB557_3 Depth=1
	s_andn2_saveexec_b64 s[20:21], s[20:21]
; %bb.38:                               ;   in Loop: Header=BB557_3 Depth=1
	v_mul_f32_e32 v24, v15, v15
	v_fmamk_f32 v25, v24, 0xba1345e1, v20
	v_fmaak_f32 v25, v24, v25, 0xbcdac9b8
	v_fmaak_f32 v25, v24, v25, 0x3de703be
	;; [unrolled: 1-line block ×4, first 2 shown]
	v_fma_f32 v24, |v15|, v24, |v15|
; %bb.39:                               ;   in Loop: Header=BB557_3 Depth=1
	s_or_b64 exec, exec, s[20:21]
	v_cvt_f32_f16_sdwa v4, v4 dst_sel:DWORD dst_unused:UNUSED_PAD src0_sel:WORD_1
                                        ; implicit-def: $vgpr26
	v_mul_f32_e32 v25, 0x3f3504f3, v4
	v_cmp_nlt_f32_e64 s[20:21], |v25|, 1.0
	s_and_saveexec_b64 s[34:35], s[20:21]
	s_xor_b64 s[20:21], exec, s[34:35]
	s_cbranch_execz .LBB557_41
; %bb.40:                               ;   in Loop: Header=BB557_3 Depth=1
	v_fma_f32 v26, |v25|, s22, v21
	v_fma_f32 v26, |v25|, v26, s23
	;; [unrolled: 1-line block ×6, first 2 shown]
	v_fma_f32 v26, |v25|, v26, |v25|
	v_mul_f32_e32 v27, 0xbfb8aa3b, v26
	v_fma_f32 v28, v26, s28, -v27
	v_rndne_f32_e32 v29, v27
	v_fmac_f32_e32 v28, 0xb2a5705f, v26
	v_sub_f32_e32 v27, v27, v29
	v_add_f32_e32 v27, v27, v28
	v_cvt_i32_f32_e32 v28, v29
	v_exp_f32_e32 v27, v27
	v_cmp_nlt_f32_e32 vcc, s29, v26
	v_ldexp_f32 v27, v27, v28
	s_nop 0
	v_cndmask_b32_e32 v27, 0, v27, vcc
	v_cmp_ngt_f32_e32 vcc, s30, v26
	s_nop 1
	v_cndmask_b32_e32 v26, v22, v27, vcc
	v_sub_f32_e32 v26, 1.0, v26
.LBB557_41:                             ;   in Loop: Header=BB557_3 Depth=1
	s_andn2_saveexec_b64 s[20:21], s[20:21]
; %bb.42:                               ;   in Loop: Header=BB557_3 Depth=1
	v_mul_f32_e32 v26, v25, v25
	v_fmamk_f32 v27, v26, 0xba1345e1, v20
	v_fmaak_f32 v27, v26, v27, 0xbcdac9b8
	v_fmaak_f32 v27, v26, v27, 0x3de703be
	;; [unrolled: 1-line block ×4, first 2 shown]
	v_fma_f32 v26, |v25|, v26, |v25|
; %bb.43:                               ;   in Loop: Header=BB557_3 Depth=1
	s_or_b64 exec, exec, s[20:21]
	v_bfi_b32 v15, s31, v24, v15
	s_waitcnt vmcnt(0)
	v_cvt_f32_f16_sdwa v29, v0 dst_sel:DWORD dst_unused:UNUSED_PAD src0_sel:WORD_1
	v_cvt_f32_f16_e32 v28, v0
	v_cvt_f32_f16_e32 v0, v5
	v_mul_f32_e32 v14, 0.5, v14
	v_add_f32_e32 v15, 1.0, v15
	v_mul_f32_e32 v14, v14, v15
	v_bfi_b32 v15, s31, v26, v25
	v_mul_f32_e32 v4, 0.5, v4
	v_add_f32_e32 v15, 1.0, v15
	v_mul_f32_e32 v15, v4, v15
	v_mul_f32_e32 v4, 0x3f3504f3, v0
	v_cmp_nlt_f32_e64 s[20:21], |v4|, 1.0
	;;#ASMSTART
	v_pk_mul_f32 v[14:15], v[14:15], v[28:29]
	;;#ASMEND
                                        ; implicit-def: $vgpr24
	s_and_saveexec_b64 s[34:35], s[20:21]
	s_xor_b64 s[20:21], exec, s[34:35]
	s_cbranch_execz .LBB557_45
; %bb.44:                               ;   in Loop: Header=BB557_3 Depth=1
	v_fma_f32 v24, |v4|, s22, v21
	v_fma_f32 v24, |v4|, v24, s23
	;; [unrolled: 1-line block ×6, first 2 shown]
	v_fma_f32 v24, |v4|, v24, |v4|
	v_mul_f32_e32 v25, 0xbfb8aa3b, v24
	v_fma_f32 v26, v24, s28, -v25
	v_rndne_f32_e32 v27, v25
	v_fmac_f32_e32 v26, 0xb2a5705f, v24
	v_sub_f32_e32 v25, v25, v27
	v_add_f32_e32 v25, v25, v26
	v_cvt_i32_f32_e32 v26, v27
	v_exp_f32_e32 v25, v25
	v_cmp_nlt_f32_e32 vcc, s29, v24
	v_ldexp_f32 v25, v25, v26
	s_nop 0
	v_cndmask_b32_e32 v25, 0, v25, vcc
	v_cmp_ngt_f32_e32 vcc, s30, v24
	s_nop 1
	v_cndmask_b32_e32 v24, v22, v25, vcc
	v_sub_f32_e32 v24, 1.0, v24
.LBB557_45:                             ;   in Loop: Header=BB557_3 Depth=1
	s_andn2_saveexec_b64 s[20:21], s[20:21]
; %bb.46:                               ;   in Loop: Header=BB557_3 Depth=1
	v_mul_f32_e32 v24, v4, v4
	v_fmamk_f32 v25, v24, 0xba1345e1, v20
	v_fmaak_f32 v25, v24, v25, 0xbcdac9b8
	v_fmaak_f32 v25, v24, v25, 0x3de703be
	;; [unrolled: 1-line block ×4, first 2 shown]
	v_fma_f32 v24, |v4|, v24, |v4|
; %bb.47:                               ;   in Loop: Header=BB557_3 Depth=1
	s_or_b64 exec, exec, s[20:21]
	v_cvt_f32_f16_sdwa v5, v5 dst_sel:DWORD dst_unused:UNUSED_PAD src0_sel:WORD_1
                                        ; implicit-def: $vgpr26
	v_mul_f32_e32 v25, 0x3f3504f3, v5
	v_cmp_nlt_f32_e64 s[20:21], |v25|, 1.0
	s_and_saveexec_b64 s[34:35], s[20:21]
	s_xor_b64 s[20:21], exec, s[34:35]
	s_cbranch_execz .LBB557_49
; %bb.48:                               ;   in Loop: Header=BB557_3 Depth=1
	v_fma_f32 v26, |v25|, s22, v21
	v_fma_f32 v26, |v25|, v26, s23
	;; [unrolled: 1-line block ×6, first 2 shown]
	v_fma_f32 v26, |v25|, v26, |v25|
	v_mul_f32_e32 v27, 0xbfb8aa3b, v26
	v_fma_f32 v28, v26, s28, -v27
	v_rndne_f32_e32 v29, v27
	v_fmac_f32_e32 v28, 0xb2a5705f, v26
	v_sub_f32_e32 v27, v27, v29
	v_add_f32_e32 v27, v27, v28
	v_cvt_i32_f32_e32 v28, v29
	v_exp_f32_e32 v27, v27
	v_cmp_nlt_f32_e32 vcc, s29, v26
	v_ldexp_f32 v27, v27, v28
	s_nop 0
	v_cndmask_b32_e32 v27, 0, v27, vcc
	v_cmp_ngt_f32_e32 vcc, s30, v26
	s_nop 1
	v_cndmask_b32_e32 v26, v22, v27, vcc
	v_sub_f32_e32 v26, 1.0, v26
.LBB557_49:                             ;   in Loop: Header=BB557_3 Depth=1
	s_andn2_saveexec_b64 s[20:21], s[20:21]
; %bb.50:                               ;   in Loop: Header=BB557_3 Depth=1
	v_mul_f32_e32 v26, v25, v25
	v_fmamk_f32 v27, v26, 0xba1345e1, v20
	v_fmaak_f32 v27, v26, v27, 0xbcdac9b8
	v_fmaak_f32 v27, v26, v27, 0x3de703be
	;; [unrolled: 1-line block ×4, first 2 shown]
	v_fma_f32 v26, |v25|, v26, |v25|
; %bb.51:                               ;   in Loop: Header=BB557_3 Depth=1
	s_or_b64 exec, exec, s[20:21]
	v_bfi_b32 v4, s31, v24, v4
	v_mul_f32_e32 v0, 0.5, v0
	v_add_f32_e32 v4, 1.0, v4
	v_mul_f32_e32 v0, v0, v4
	v_cvt_f32_f16_e32 v4, v6
	v_cvt_f32_f16_sdwa v29, v1 dst_sel:DWORD dst_unused:UNUSED_PAD src0_sel:WORD_1
	v_cvt_f32_f16_e32 v28, v1
	v_mul_f32_e32 v1, 0.5, v5
	v_bfi_b32 v5, s31, v26, v25
	v_add_f32_e32 v5, 1.0, v5
	v_mul_f32_e32 v1, v1, v5
	v_mul_f32_e32 v5, 0x3f3504f3, v4
	v_cmp_nlt_f32_e64 s[20:21], |v5|, 1.0
	;;#ASMSTART
	v_pk_mul_f32 v[0:1], v[0:1], v[28:29]
	;;#ASMEND
                                        ; implicit-def: $vgpr24
	s_and_saveexec_b64 s[34:35], s[20:21]
	s_xor_b64 s[20:21], exec, s[34:35]
	s_cbranch_execz .LBB557_53
; %bb.52:                               ;   in Loop: Header=BB557_3 Depth=1
	v_fma_f32 v24, |v5|, s22, v21
	v_fma_f32 v24, |v5|, v24, s23
	;; [unrolled: 1-line block ×6, first 2 shown]
	v_fma_f32 v24, |v5|, v24, |v5|
	v_mul_f32_e32 v25, 0xbfb8aa3b, v24
	v_fma_f32 v26, v24, s28, -v25
	v_rndne_f32_e32 v27, v25
	v_fmac_f32_e32 v26, 0xb2a5705f, v24
	v_sub_f32_e32 v25, v25, v27
	v_add_f32_e32 v25, v25, v26
	v_cvt_i32_f32_e32 v26, v27
	v_exp_f32_e32 v25, v25
	v_cmp_nlt_f32_e32 vcc, s29, v24
	v_ldexp_f32 v25, v25, v26
	s_nop 0
	v_cndmask_b32_e32 v25, 0, v25, vcc
	v_cmp_ngt_f32_e32 vcc, s30, v24
	s_nop 1
	v_cndmask_b32_e32 v24, v22, v25, vcc
	v_sub_f32_e32 v24, 1.0, v24
.LBB557_53:                             ;   in Loop: Header=BB557_3 Depth=1
	s_andn2_saveexec_b64 s[20:21], s[20:21]
; %bb.54:                               ;   in Loop: Header=BB557_3 Depth=1
	v_mul_f32_e32 v24, v5, v5
	v_fmamk_f32 v25, v24, 0xba1345e1, v20
	v_fmaak_f32 v25, v24, v25, 0xbcdac9b8
	v_fmaak_f32 v25, v24, v25, 0x3de703be
	v_fmaak_f32 v25, v24, v25, 0xbec09330
	v_fmaak_f32 v24, v24, v25, 0x3e0375d0
	v_fma_f32 v24, |v5|, v24, |v5|
; %bb.55:                               ;   in Loop: Header=BB557_3 Depth=1
	s_or_b64 exec, exec, s[20:21]
	v_cvt_f32_f16_sdwa v6, v6 dst_sel:DWORD dst_unused:UNUSED_PAD src0_sel:WORD_1
                                        ; implicit-def: $vgpr26
	v_mul_f32_e32 v25, 0x3f3504f3, v6
	v_cmp_nlt_f32_e64 s[20:21], |v25|, 1.0
	s_and_saveexec_b64 s[34:35], s[20:21]
	s_xor_b64 s[20:21], exec, s[34:35]
	s_cbranch_execz .LBB557_57
; %bb.56:                               ;   in Loop: Header=BB557_3 Depth=1
	v_fma_f32 v26, |v25|, s22, v21
	v_fma_f32 v26, |v25|, v26, s23
	;; [unrolled: 1-line block ×6, first 2 shown]
	v_fma_f32 v26, |v25|, v26, |v25|
	v_mul_f32_e32 v27, 0xbfb8aa3b, v26
	v_fma_f32 v28, v26, s28, -v27
	v_rndne_f32_e32 v29, v27
	v_fmac_f32_e32 v28, 0xb2a5705f, v26
	v_sub_f32_e32 v27, v27, v29
	v_add_f32_e32 v27, v27, v28
	v_cvt_i32_f32_e32 v28, v29
	v_exp_f32_e32 v27, v27
	v_cmp_nlt_f32_e32 vcc, s29, v26
	v_ldexp_f32 v27, v27, v28
	s_nop 0
	v_cndmask_b32_e32 v27, 0, v27, vcc
	v_cmp_ngt_f32_e32 vcc, s30, v26
	s_nop 1
	v_cndmask_b32_e32 v26, v22, v27, vcc
	v_sub_f32_e32 v26, 1.0, v26
.LBB557_57:                             ;   in Loop: Header=BB557_3 Depth=1
	s_andn2_saveexec_b64 s[20:21], s[20:21]
; %bb.58:                               ;   in Loop: Header=BB557_3 Depth=1
	v_mul_f32_e32 v26, v25, v25
	v_fmamk_f32 v27, v26, 0xba1345e1, v20
	v_fmaak_f32 v27, v26, v27, 0xbcdac9b8
	v_fmaak_f32 v27, v26, v27, 0x3de703be
	;; [unrolled: 1-line block ×4, first 2 shown]
	v_fma_f32 v26, |v25|, v26, |v25|
; %bb.59:                               ;   in Loop: Header=BB557_3 Depth=1
	s_or_b64 exec, exec, s[20:21]
	v_bfi_b32 v5, s31, v24, v5
	v_cvt_f32_f16_sdwa v29, v2 dst_sel:DWORD dst_unused:UNUSED_PAD src0_sel:WORD_1
	v_cvt_f32_f16_e32 v28, v2
	v_cvt_f32_f16_e32 v2, v7
	v_mul_f32_e32 v4, 0.5, v4
	v_add_f32_e32 v5, 1.0, v5
	v_mul_f32_e32 v4, v4, v5
	v_mul_f32_e32 v5, 0.5, v6
	v_bfi_b32 v6, s31, v26, v25
	v_add_f32_e32 v6, 1.0, v6
	v_mul_f32_e32 v5, v5, v6
	v_mul_f32_e32 v6, 0x3f3504f3, v2
	v_cmp_nlt_f32_e64 s[20:21], |v6|, 1.0
	;;#ASMSTART
	v_pk_mul_f32 v[4:5], v[4:5], v[28:29]
	;;#ASMEND
                                        ; implicit-def: $vgpr24
	s_and_saveexec_b64 s[34:35], s[20:21]
	s_xor_b64 s[20:21], exec, s[34:35]
	s_cbranch_execz .LBB557_61
; %bb.60:                               ;   in Loop: Header=BB557_3 Depth=1
	v_fma_f32 v24, |v6|, s22, v21
	v_fma_f32 v24, |v6|, v24, s23
	;; [unrolled: 1-line block ×6, first 2 shown]
	v_fma_f32 v24, |v6|, v24, |v6|
	v_mul_f32_e32 v25, 0xbfb8aa3b, v24
	v_fma_f32 v26, v24, s28, -v25
	v_rndne_f32_e32 v27, v25
	v_fmac_f32_e32 v26, 0xb2a5705f, v24
	v_sub_f32_e32 v25, v25, v27
	v_add_f32_e32 v25, v25, v26
	v_cvt_i32_f32_e32 v26, v27
	v_exp_f32_e32 v25, v25
	v_cmp_nlt_f32_e32 vcc, s29, v24
	v_ldexp_f32 v25, v25, v26
	s_nop 0
	v_cndmask_b32_e32 v25, 0, v25, vcc
	v_cmp_ngt_f32_e32 vcc, s30, v24
	s_nop 1
	v_cndmask_b32_e32 v24, v22, v25, vcc
	v_sub_f32_e32 v24, 1.0, v24
.LBB557_61:                             ;   in Loop: Header=BB557_3 Depth=1
	s_andn2_saveexec_b64 s[20:21], s[20:21]
; %bb.62:                               ;   in Loop: Header=BB557_3 Depth=1
	v_mul_f32_e32 v24, v6, v6
	v_fmamk_f32 v25, v24, 0xba1345e1, v20
	v_fmaak_f32 v25, v24, v25, 0xbcdac9b8
	v_fmaak_f32 v25, v24, v25, 0x3de703be
	;; [unrolled: 1-line block ×4, first 2 shown]
	v_fma_f32 v24, |v6|, v24, |v6|
; %bb.63:                               ;   in Loop: Header=BB557_3 Depth=1
	s_or_b64 exec, exec, s[20:21]
	v_cvt_f32_f16_sdwa v7, v7 dst_sel:DWORD dst_unused:UNUSED_PAD src0_sel:WORD_1
                                        ; implicit-def: $vgpr26
	v_mul_f32_e32 v25, 0x3f3504f3, v7
	v_cmp_nlt_f32_e64 s[20:21], |v25|, 1.0
	s_and_saveexec_b64 s[34:35], s[20:21]
	s_xor_b64 s[20:21], exec, s[34:35]
	s_cbranch_execz .LBB557_65
; %bb.64:                               ;   in Loop: Header=BB557_3 Depth=1
	v_fma_f32 v26, |v25|, s22, v21
	v_fma_f32 v26, |v25|, v26, s23
	;; [unrolled: 1-line block ×6, first 2 shown]
	v_fma_f32 v26, |v25|, v26, |v25|
	v_mul_f32_e32 v27, 0xbfb8aa3b, v26
	v_fma_f32 v28, v26, s28, -v27
	v_rndne_f32_e32 v29, v27
	v_fmac_f32_e32 v28, 0xb2a5705f, v26
	v_sub_f32_e32 v27, v27, v29
	v_add_f32_e32 v27, v27, v28
	v_cvt_i32_f32_e32 v28, v29
	v_exp_f32_e32 v27, v27
	v_cmp_nlt_f32_e32 vcc, s29, v26
	v_ldexp_f32 v27, v27, v28
	s_nop 0
	v_cndmask_b32_e32 v27, 0, v27, vcc
	v_cmp_ngt_f32_e32 vcc, s30, v26
	s_nop 1
	v_cndmask_b32_e32 v26, v22, v27, vcc
	v_sub_f32_e32 v26, 1.0, v26
.LBB557_65:                             ;   in Loop: Header=BB557_3 Depth=1
	s_andn2_saveexec_b64 s[20:21], s[20:21]
	s_cbranch_execz .LBB557_2
; %bb.66:                               ;   in Loop: Header=BB557_3 Depth=1
	v_mul_f32_e32 v26, v25, v25
	v_fmamk_f32 v27, v26, 0xba1345e1, v20
	v_fmaak_f32 v27, v26, v27, 0xbcdac9b8
	v_fmaak_f32 v27, v26, v27, 0x3de703be
	;; [unrolled: 1-line block ×4, first 2 shown]
	v_fma_f32 v26, |v25|, v26, |v25|
	s_branch .LBB557_2
.LBB557_67:
	s_endpgm
	.section	.rodata,"a",@progbits
	.p2align	6, 0x0
	.amdhsa_kernel _ZN5aiter18act_and_mul_kernelIDF16_DF16_TnPFfRKT_EXadL_ZNS_11gelu_kernelIDF16_EEfS3_EELi16ELb0ELi3EEEvPT0_PS2_if
		.amdhsa_group_segment_fixed_size 0
		.amdhsa_private_segment_fixed_size 0
		.amdhsa_kernarg_size 280
		.amdhsa_user_sgpr_count 2
		.amdhsa_user_sgpr_dispatch_ptr 0
		.amdhsa_user_sgpr_queue_ptr 0
		.amdhsa_user_sgpr_kernarg_segment_ptr 1
		.amdhsa_user_sgpr_dispatch_id 0
		.amdhsa_user_sgpr_kernarg_preload_length 0
		.amdhsa_user_sgpr_kernarg_preload_offset 0
		.amdhsa_user_sgpr_private_segment_size 0
		.amdhsa_uses_dynamic_stack 0
		.amdhsa_enable_private_segment 0
		.amdhsa_system_sgpr_workgroup_id_x 1
		.amdhsa_system_sgpr_workgroup_id_y 0
		.amdhsa_system_sgpr_workgroup_id_z 0
		.amdhsa_system_sgpr_workgroup_info 0
		.amdhsa_system_vgpr_workitem_id 0
		.amdhsa_next_free_vgpr 30
		.amdhsa_next_free_sgpr 36
		.amdhsa_accum_offset 32
		.amdhsa_reserve_vcc 1
		.amdhsa_float_round_mode_32 0
		.amdhsa_float_round_mode_16_64 0
		.amdhsa_float_denorm_mode_32 3
		.amdhsa_float_denorm_mode_16_64 3
		.amdhsa_dx10_clamp 1
		.amdhsa_ieee_mode 1
		.amdhsa_fp16_overflow 0
		.amdhsa_tg_split 0
		.amdhsa_exception_fp_ieee_invalid_op 0
		.amdhsa_exception_fp_denorm_src 0
		.amdhsa_exception_fp_ieee_div_zero 0
		.amdhsa_exception_fp_ieee_overflow 0
		.amdhsa_exception_fp_ieee_underflow 0
		.amdhsa_exception_fp_ieee_inexact 0
		.amdhsa_exception_int_div_zero 0
	.end_amdhsa_kernel
	.section	.text._ZN5aiter18act_and_mul_kernelIDF16_DF16_TnPFfRKT_EXadL_ZNS_11gelu_kernelIDF16_EEfS3_EELi16ELb0ELi3EEEvPT0_PS2_if,"axG",@progbits,_ZN5aiter18act_and_mul_kernelIDF16_DF16_TnPFfRKT_EXadL_ZNS_11gelu_kernelIDF16_EEfS3_EELi16ELb0ELi3EEEvPT0_PS2_if,comdat
.Lfunc_end557:
	.size	_ZN5aiter18act_and_mul_kernelIDF16_DF16_TnPFfRKT_EXadL_ZNS_11gelu_kernelIDF16_EEfS3_EELi16ELb0ELi3EEEvPT0_PS2_if, .Lfunc_end557-_ZN5aiter18act_and_mul_kernelIDF16_DF16_TnPFfRKT_EXadL_ZNS_11gelu_kernelIDF16_EEfS3_EELi16ELb0ELi3EEEvPT0_PS2_if
                                        ; -- End function
	.section	.AMDGPU.csdata,"",@progbits
; Kernel info:
; codeLenInByte = 4704
; NumSgprs: 42
; NumVgprs: 30
; NumAgprs: 0
; TotalNumVgprs: 30
; ScratchSize: 0
; MemoryBound: 0
; FloatMode: 240
; IeeeMode: 1
; LDSByteSize: 0 bytes/workgroup (compile time only)
; SGPRBlocks: 5
; VGPRBlocks: 3
; NumSGPRsForWavesPerEU: 42
; NumVGPRsForWavesPerEU: 30
; AccumOffset: 32
; Occupancy: 8
; WaveLimiterHint : 0
; COMPUTE_PGM_RSRC2:SCRATCH_EN: 0
; COMPUTE_PGM_RSRC2:USER_SGPR: 2
; COMPUTE_PGM_RSRC2:TRAP_HANDLER: 0
; COMPUTE_PGM_RSRC2:TGID_X_EN: 1
; COMPUTE_PGM_RSRC2:TGID_Y_EN: 0
; COMPUTE_PGM_RSRC2:TGID_Z_EN: 0
; COMPUTE_PGM_RSRC2:TIDIG_COMP_CNT: 0
; COMPUTE_PGM_RSRC3_GFX90A:ACCUM_OFFSET: 7
; COMPUTE_PGM_RSRC3_GFX90A:TG_SPLIT: 0
	.section	.text._ZN5aiter18act_and_mul_kernelIDF16_DF16_TnPFfRKT_EXadL_ZNS_11gelu_kernelIDF16_EEfS3_EELi8ELb0ELi3EEEvPT0_PS2_if,"axG",@progbits,_ZN5aiter18act_and_mul_kernelIDF16_DF16_TnPFfRKT_EXadL_ZNS_11gelu_kernelIDF16_EEfS3_EELi8ELb0ELi3EEEvPT0_PS2_if,comdat
	.protected	_ZN5aiter18act_and_mul_kernelIDF16_DF16_TnPFfRKT_EXadL_ZNS_11gelu_kernelIDF16_EEfS3_EELi8ELb0ELi3EEEvPT0_PS2_if ; -- Begin function _ZN5aiter18act_and_mul_kernelIDF16_DF16_TnPFfRKT_EXadL_ZNS_11gelu_kernelIDF16_EEfS3_EELi8ELb0ELi3EEEvPT0_PS2_if
	.globl	_ZN5aiter18act_and_mul_kernelIDF16_DF16_TnPFfRKT_EXadL_ZNS_11gelu_kernelIDF16_EEfS3_EELi8ELb0ELi3EEEvPT0_PS2_if
	.p2align	8
	.type	_ZN5aiter18act_and_mul_kernelIDF16_DF16_TnPFfRKT_EXadL_ZNS_11gelu_kernelIDF16_EEfS3_EELi8ELb0ELi3EEEvPT0_PS2_if,@function
_ZN5aiter18act_and_mul_kernelIDF16_DF16_TnPFfRKT_EXadL_ZNS_11gelu_kernelIDF16_EEfS3_EELi8ELb0ELi3EEEvPT0_PS2_if: ; @_ZN5aiter18act_and_mul_kernelIDF16_DF16_TnPFfRKT_EXadL_ZNS_11gelu_kernelIDF16_EEfS3_EELi8ELb0ELi3EEEvPT0_PS2_if
; %bb.0:
	s_load_dword s16, s[0:1], 0x10
	v_lshlrev_b32_e32 v8, 3, v0
	s_waitcnt lgkmcnt(0)
	v_cmp_gt_i32_e32 vcc, s16, v8
	s_and_saveexec_b64 s[4:5], vcc
	s_cbranch_execz .LBB558_35
; %bb.1:
	s_load_dwordx4 s[12:15], s[0:1], 0x0
	s_ashr_i32 s17, s16, 31
	s_mul_hi_u32 s3, s16, s2
	s_mul_i32 s4, s17, s2
	s_add_i32 s3, s3, s4
	s_mul_i32 s2, s16, s2
	s_lshl_b64 s[10:11], s[2:3], 1
	s_lshl_b64 s[2:3], s[2:3], 2
	s_waitcnt lgkmcnt(0)
	s_add_u32 s4, s14, s2
	s_addc_u32 s5, s15, s3
	s_lshl_b64 s[2:3], s[16:17], 1
	s_add_u32 s8, s4, s2
	s_addc_u32 s2, s5, s3
	s_add_i32 s3, s16, 1
	s_lshr_b32 s6, s3, 31
	s_add_i32 s3, s3, s6
	s_lshl_b32 s3, s3, 1
	s_and_b32 s6, s3, -4
	s_and_b32 s5, s5, 0xffff
	s_and_b32 s9, s2, 0xffff
	s_add_u32 s12, s12, s10
	s_addc_u32 s2, s13, s11
	s_and_b32 s13, s2, 0xffff
	s_mov_b32 s7, 0x20000
	s_add_u32 s0, s0, 24
	v_mov_b32_e32 v9, 0
	s_addc_u32 s1, s1, 0
	s_mov_b64 s[2:3], 0
	s_mov_b32 s19, 0
	s_mov_b32 s10, s6
	;; [unrolled: 1-line block ×12, first 2 shown]
	v_mov_b32_e32 v12, 0x3ba10414
	s_brev_b32 s31, -2
	v_mov_b32_e32 v13, 0xb9c68948
	v_mov_b32_e32 v14, 0x7f800000
	s_mov_b32 s14, s6
	s_mov_b32 s15, s7
                                        ; implicit-def: $vgpr0
                                        ; implicit-def: $vgpr0
	;; [unrolled: 1-line block ×4, first 2 shown]
	s_branch .LBB558_3
.LBB558_2:                              ;   in Loop: Header=BB558_3 Depth=1
	s_or_b64 exec, exec, s[20:21]
	v_bfi_b32 v6, s31, v16, v6
	v_cvt_f32_f16_sdwa v21, v3 dst_sel:DWORD dst_unused:UNUSED_PAD src0_sel:WORD_1
	v_cvt_f32_f16_e32 v20, v3
	v_mul_f32_e32 v3, 0.5, v7
	v_bfi_b32 v7, s31, v18, v17
	v_mul_f32_e32 v2, 0.5, v2
	v_add_f32_e32 v6, 1.0, v6
	v_add_f32_e32 v7, 1.0, v7
	v_mul_f32_e32 v2, v2, v6
	v_mul_f32_e32 v3, v3, v7
	;;#ASMSTART
	v_pk_mul_f32 v[2:3], v[2:3], v[20:21]
	;;#ASMEND
	s_load_dword s18, s[0:1], 0xc
	v_cvt_f16_f32_e32 v6, v10
	v_cvt_f16_f32_e32 v10, v11
	v_cvt_f16_f32_e32 v0, v0
	v_cvt_f16_f32_e32 v4, v4
	v_cvt_f16_f32_e32 v2, v2
	v_cvt_f16_f32_e32 v3, v3
	v_cvt_f16_f32_e32 v5, v5
	v_cvt_f16_f32_e32 v1, v1
	s_waitcnt lgkmcnt(0)
	s_and_b32 s18, s18, 0xffff
	s_lshl_b32 s18, s18, 3
	v_lshl_add_u64 v[8:9], s[18:19], 0, v[8:9]
	v_cmp_le_i64_e32 vcc, s[16:17], v[8:9]
	v_pack_b32_f16 v3, v2, v3
	v_pack_b32_f16 v2, v4, v5
	;; [unrolled: 1-line block ×4, first 2 shown]
	s_or_b64 s[2:3], vcc, s[2:3]
	buffer_store_dwordx4 v[0:3], v15, s[12:15], 0 offen
	s_andn2_b64 exec, exec, s[2:3]
	s_cbranch_execz .LBB558_35
.LBB558_3:                              ; =>This Inner Loop Header: Depth=1
	v_lshlrev_b32_e32 v15, 1, v8
	buffer_load_dwordx4 v[4:7], v15, s[4:7], 0 offen sc0 nt
	buffer_load_dwordx4 v[0:3], v15, s[8:11], 0 offen sc0 nt
                                        ; implicit-def: $vgpr16
	s_waitcnt vmcnt(1)
	v_cvt_f32_f16_e32 v10, v4
	v_mul_f32_e32 v11, 0x3f3504f3, v10
	v_cmp_nlt_f32_e64 s[20:21], |v11|, 1.0
	s_and_saveexec_b64 s[34:35], s[20:21]
	s_xor_b64 s[20:21], exec, s[34:35]
	s_cbranch_execz .LBB558_5
; %bb.4:                                ;   in Loop: Header=BB558_3 Depth=1
	v_fma_f32 v16, |v11|, s22, v13
	v_fma_f32 v16, |v11|, v16, s23
	;; [unrolled: 1-line block ×6, first 2 shown]
	v_fma_f32 v16, |v11|, v16, |v11|
	v_mul_f32_e32 v17, 0xbfb8aa3b, v16
	v_fma_f32 v18, v16, s28, -v17
	v_rndne_f32_e32 v19, v17
	v_fmac_f32_e32 v18, 0xb2a5705f, v16
	v_sub_f32_e32 v17, v17, v19
	v_add_f32_e32 v17, v17, v18
	v_cvt_i32_f32_e32 v18, v19
	v_exp_f32_e32 v17, v17
	v_cmp_nlt_f32_e32 vcc, s29, v16
	v_ldexp_f32 v17, v17, v18
	s_nop 0
	v_cndmask_b32_e32 v17, 0, v17, vcc
	v_cmp_ngt_f32_e32 vcc, s30, v16
	s_nop 1
	v_cndmask_b32_e32 v16, v14, v17, vcc
	v_sub_f32_e32 v16, 1.0, v16
.LBB558_5:                              ;   in Loop: Header=BB558_3 Depth=1
	s_andn2_saveexec_b64 s[20:21], s[20:21]
; %bb.6:                                ;   in Loop: Header=BB558_3 Depth=1
	v_mul_f32_e32 v16, v11, v11
	v_fmamk_f32 v17, v16, 0xba1345e1, v12
	v_fmaak_f32 v17, v16, v17, 0xbcdac9b8
	v_fmaak_f32 v17, v16, v17, 0x3de703be
	;; [unrolled: 1-line block ×4, first 2 shown]
	v_fma_f32 v16, |v11|, v16, |v11|
; %bb.7:                                ;   in Loop: Header=BB558_3 Depth=1
	s_or_b64 exec, exec, s[20:21]
	v_cvt_f32_f16_sdwa v4, v4 dst_sel:DWORD dst_unused:UNUSED_PAD src0_sel:WORD_1
                                        ; implicit-def: $vgpr18
	v_mul_f32_e32 v17, 0x3f3504f3, v4
	v_cmp_nlt_f32_e64 s[20:21], |v17|, 1.0
	s_and_saveexec_b64 s[34:35], s[20:21]
	s_xor_b64 s[20:21], exec, s[34:35]
	s_cbranch_execz .LBB558_9
; %bb.8:                                ;   in Loop: Header=BB558_3 Depth=1
	v_fma_f32 v18, |v17|, s22, v13
	v_fma_f32 v18, |v17|, v18, s23
	v_fma_f32 v18, |v17|, v18, s24
	v_fma_f32 v18, |v17|, v18, s25
	v_fma_f32 v18, |v17|, v18, s26
	v_fma_f32 v18, |v17|, v18, s27
	v_fma_f32 v18, |v17|, v18, |v17|
	v_mul_f32_e32 v19, 0xbfb8aa3b, v18
	v_fma_f32 v20, v18, s28, -v19
	v_rndne_f32_e32 v21, v19
	v_fmac_f32_e32 v20, 0xb2a5705f, v18
	v_sub_f32_e32 v19, v19, v21
	v_add_f32_e32 v19, v19, v20
	v_cvt_i32_f32_e32 v20, v21
	v_exp_f32_e32 v19, v19
	v_cmp_nlt_f32_e32 vcc, s29, v18
	v_ldexp_f32 v19, v19, v20
	s_nop 0
	v_cndmask_b32_e32 v19, 0, v19, vcc
	v_cmp_ngt_f32_e32 vcc, s30, v18
	s_nop 1
	v_cndmask_b32_e32 v18, v14, v19, vcc
	v_sub_f32_e32 v18, 1.0, v18
.LBB558_9:                              ;   in Loop: Header=BB558_3 Depth=1
	s_andn2_saveexec_b64 s[20:21], s[20:21]
; %bb.10:                               ;   in Loop: Header=BB558_3 Depth=1
	v_mul_f32_e32 v18, v17, v17
	v_fmamk_f32 v19, v18, 0xba1345e1, v12
	v_fmaak_f32 v19, v18, v19, 0xbcdac9b8
	v_fmaak_f32 v19, v18, v19, 0x3de703be
	;; [unrolled: 1-line block ×4, first 2 shown]
	v_fma_f32 v18, |v17|, v18, |v17|
; %bb.11:                               ;   in Loop: Header=BB558_3 Depth=1
	s_or_b64 exec, exec, s[20:21]
	v_bfi_b32 v11, s31, v16, v11
	s_waitcnt vmcnt(0)
	v_cvt_f32_f16_sdwa v21, v0 dst_sel:DWORD dst_unused:UNUSED_PAD src0_sel:WORD_1
	v_cvt_f32_f16_e32 v20, v0
	v_cvt_f32_f16_e32 v0, v5
	v_mul_f32_e32 v10, 0.5, v10
	v_add_f32_e32 v11, 1.0, v11
	v_mul_f32_e32 v10, v10, v11
	v_bfi_b32 v11, s31, v18, v17
	v_mul_f32_e32 v4, 0.5, v4
	v_add_f32_e32 v11, 1.0, v11
	v_mul_f32_e32 v11, v4, v11
	v_mul_f32_e32 v4, 0x3f3504f3, v0
	v_cmp_nlt_f32_e64 s[20:21], |v4|, 1.0
	;;#ASMSTART
	v_pk_mul_f32 v[10:11], v[10:11], v[20:21]
	;;#ASMEND
                                        ; implicit-def: $vgpr16
	s_and_saveexec_b64 s[34:35], s[20:21]
	s_xor_b64 s[20:21], exec, s[34:35]
	s_cbranch_execz .LBB558_13
; %bb.12:                               ;   in Loop: Header=BB558_3 Depth=1
	v_fma_f32 v16, |v4|, s22, v13
	v_fma_f32 v16, |v4|, v16, s23
	;; [unrolled: 1-line block ×6, first 2 shown]
	v_fma_f32 v16, |v4|, v16, |v4|
	v_mul_f32_e32 v17, 0xbfb8aa3b, v16
	v_fma_f32 v18, v16, s28, -v17
	v_rndne_f32_e32 v19, v17
	v_fmac_f32_e32 v18, 0xb2a5705f, v16
	v_sub_f32_e32 v17, v17, v19
	v_add_f32_e32 v17, v17, v18
	v_cvt_i32_f32_e32 v18, v19
	v_exp_f32_e32 v17, v17
	v_cmp_nlt_f32_e32 vcc, s29, v16
	v_ldexp_f32 v17, v17, v18
	s_nop 0
	v_cndmask_b32_e32 v17, 0, v17, vcc
	v_cmp_ngt_f32_e32 vcc, s30, v16
	s_nop 1
	v_cndmask_b32_e32 v16, v14, v17, vcc
	v_sub_f32_e32 v16, 1.0, v16
.LBB558_13:                             ;   in Loop: Header=BB558_3 Depth=1
	s_andn2_saveexec_b64 s[20:21], s[20:21]
; %bb.14:                               ;   in Loop: Header=BB558_3 Depth=1
	v_mul_f32_e32 v16, v4, v4
	v_fmamk_f32 v17, v16, 0xba1345e1, v12
	v_fmaak_f32 v17, v16, v17, 0xbcdac9b8
	v_fmaak_f32 v17, v16, v17, 0x3de703be
	;; [unrolled: 1-line block ×4, first 2 shown]
	v_fma_f32 v16, |v4|, v16, |v4|
; %bb.15:                               ;   in Loop: Header=BB558_3 Depth=1
	s_or_b64 exec, exec, s[20:21]
	v_cvt_f32_f16_sdwa v5, v5 dst_sel:DWORD dst_unused:UNUSED_PAD src0_sel:WORD_1
                                        ; implicit-def: $vgpr18
	v_mul_f32_e32 v17, 0x3f3504f3, v5
	v_cmp_nlt_f32_e64 s[20:21], |v17|, 1.0
	s_and_saveexec_b64 s[34:35], s[20:21]
	s_xor_b64 s[20:21], exec, s[34:35]
	s_cbranch_execz .LBB558_17
; %bb.16:                               ;   in Loop: Header=BB558_3 Depth=1
	v_fma_f32 v18, |v17|, s22, v13
	v_fma_f32 v18, |v17|, v18, s23
	;; [unrolled: 1-line block ×6, first 2 shown]
	v_fma_f32 v18, |v17|, v18, |v17|
	v_mul_f32_e32 v19, 0xbfb8aa3b, v18
	v_fma_f32 v20, v18, s28, -v19
	v_rndne_f32_e32 v21, v19
	v_fmac_f32_e32 v20, 0xb2a5705f, v18
	v_sub_f32_e32 v19, v19, v21
	v_add_f32_e32 v19, v19, v20
	v_cvt_i32_f32_e32 v20, v21
	v_exp_f32_e32 v19, v19
	v_cmp_nlt_f32_e32 vcc, s29, v18
	v_ldexp_f32 v19, v19, v20
	s_nop 0
	v_cndmask_b32_e32 v19, 0, v19, vcc
	v_cmp_ngt_f32_e32 vcc, s30, v18
	s_nop 1
	v_cndmask_b32_e32 v18, v14, v19, vcc
	v_sub_f32_e32 v18, 1.0, v18
.LBB558_17:                             ;   in Loop: Header=BB558_3 Depth=1
	s_andn2_saveexec_b64 s[20:21], s[20:21]
; %bb.18:                               ;   in Loop: Header=BB558_3 Depth=1
	v_mul_f32_e32 v18, v17, v17
	v_fmamk_f32 v19, v18, 0xba1345e1, v12
	v_fmaak_f32 v19, v18, v19, 0xbcdac9b8
	v_fmaak_f32 v19, v18, v19, 0x3de703be
	;; [unrolled: 1-line block ×4, first 2 shown]
	v_fma_f32 v18, |v17|, v18, |v17|
; %bb.19:                               ;   in Loop: Header=BB558_3 Depth=1
	s_or_b64 exec, exec, s[20:21]
	v_bfi_b32 v4, s31, v16, v4
	v_mul_f32_e32 v0, 0.5, v0
	v_add_f32_e32 v4, 1.0, v4
	v_mul_f32_e32 v0, v0, v4
	v_cvt_f32_f16_e32 v4, v6
	v_cvt_f32_f16_sdwa v21, v1 dst_sel:DWORD dst_unused:UNUSED_PAD src0_sel:WORD_1
	v_cvt_f32_f16_e32 v20, v1
	v_mul_f32_e32 v1, 0.5, v5
	v_bfi_b32 v5, s31, v18, v17
	v_add_f32_e32 v5, 1.0, v5
	v_mul_f32_e32 v1, v1, v5
	v_mul_f32_e32 v5, 0x3f3504f3, v4
	v_cmp_nlt_f32_e64 s[20:21], |v5|, 1.0
	;;#ASMSTART
	v_pk_mul_f32 v[0:1], v[0:1], v[20:21]
	;;#ASMEND
                                        ; implicit-def: $vgpr16
	s_and_saveexec_b64 s[34:35], s[20:21]
	s_xor_b64 s[20:21], exec, s[34:35]
	s_cbranch_execz .LBB558_21
; %bb.20:                               ;   in Loop: Header=BB558_3 Depth=1
	v_fma_f32 v16, |v5|, s22, v13
	v_fma_f32 v16, |v5|, v16, s23
	;; [unrolled: 1-line block ×6, first 2 shown]
	v_fma_f32 v16, |v5|, v16, |v5|
	v_mul_f32_e32 v17, 0xbfb8aa3b, v16
	v_fma_f32 v18, v16, s28, -v17
	v_rndne_f32_e32 v19, v17
	v_fmac_f32_e32 v18, 0xb2a5705f, v16
	v_sub_f32_e32 v17, v17, v19
	v_add_f32_e32 v17, v17, v18
	v_cvt_i32_f32_e32 v18, v19
	v_exp_f32_e32 v17, v17
	v_cmp_nlt_f32_e32 vcc, s29, v16
	v_ldexp_f32 v17, v17, v18
	s_nop 0
	v_cndmask_b32_e32 v17, 0, v17, vcc
	v_cmp_ngt_f32_e32 vcc, s30, v16
	s_nop 1
	v_cndmask_b32_e32 v16, v14, v17, vcc
	v_sub_f32_e32 v16, 1.0, v16
.LBB558_21:                             ;   in Loop: Header=BB558_3 Depth=1
	s_andn2_saveexec_b64 s[20:21], s[20:21]
; %bb.22:                               ;   in Loop: Header=BB558_3 Depth=1
	v_mul_f32_e32 v16, v5, v5
	v_fmamk_f32 v17, v16, 0xba1345e1, v12
	v_fmaak_f32 v17, v16, v17, 0xbcdac9b8
	v_fmaak_f32 v17, v16, v17, 0x3de703be
	v_fmaak_f32 v17, v16, v17, 0xbec09330
	v_fmaak_f32 v16, v16, v17, 0x3e0375d0
	v_fma_f32 v16, |v5|, v16, |v5|
; %bb.23:                               ;   in Loop: Header=BB558_3 Depth=1
	s_or_b64 exec, exec, s[20:21]
	v_cvt_f32_f16_sdwa v6, v6 dst_sel:DWORD dst_unused:UNUSED_PAD src0_sel:WORD_1
                                        ; implicit-def: $vgpr18
	v_mul_f32_e32 v17, 0x3f3504f3, v6
	v_cmp_nlt_f32_e64 s[20:21], |v17|, 1.0
	s_and_saveexec_b64 s[34:35], s[20:21]
	s_xor_b64 s[20:21], exec, s[34:35]
	s_cbranch_execz .LBB558_25
; %bb.24:                               ;   in Loop: Header=BB558_3 Depth=1
	v_fma_f32 v18, |v17|, s22, v13
	v_fma_f32 v18, |v17|, v18, s23
	;; [unrolled: 1-line block ×6, first 2 shown]
	v_fma_f32 v18, |v17|, v18, |v17|
	v_mul_f32_e32 v19, 0xbfb8aa3b, v18
	v_fma_f32 v20, v18, s28, -v19
	v_rndne_f32_e32 v21, v19
	v_fmac_f32_e32 v20, 0xb2a5705f, v18
	v_sub_f32_e32 v19, v19, v21
	v_add_f32_e32 v19, v19, v20
	v_cvt_i32_f32_e32 v20, v21
	v_exp_f32_e32 v19, v19
	v_cmp_nlt_f32_e32 vcc, s29, v18
	v_ldexp_f32 v19, v19, v20
	s_nop 0
	v_cndmask_b32_e32 v19, 0, v19, vcc
	v_cmp_ngt_f32_e32 vcc, s30, v18
	s_nop 1
	v_cndmask_b32_e32 v18, v14, v19, vcc
	v_sub_f32_e32 v18, 1.0, v18
.LBB558_25:                             ;   in Loop: Header=BB558_3 Depth=1
	s_andn2_saveexec_b64 s[20:21], s[20:21]
; %bb.26:                               ;   in Loop: Header=BB558_3 Depth=1
	v_mul_f32_e32 v18, v17, v17
	v_fmamk_f32 v19, v18, 0xba1345e1, v12
	v_fmaak_f32 v19, v18, v19, 0xbcdac9b8
	v_fmaak_f32 v19, v18, v19, 0x3de703be
	;; [unrolled: 1-line block ×4, first 2 shown]
	v_fma_f32 v18, |v17|, v18, |v17|
; %bb.27:                               ;   in Loop: Header=BB558_3 Depth=1
	s_or_b64 exec, exec, s[20:21]
	v_bfi_b32 v5, s31, v16, v5
	v_cvt_f32_f16_sdwa v21, v2 dst_sel:DWORD dst_unused:UNUSED_PAD src0_sel:WORD_1
	v_cvt_f32_f16_e32 v20, v2
	v_cvt_f32_f16_e32 v2, v7
	v_mul_f32_e32 v4, 0.5, v4
	v_add_f32_e32 v5, 1.0, v5
	v_mul_f32_e32 v4, v4, v5
	v_mul_f32_e32 v5, 0.5, v6
	v_bfi_b32 v6, s31, v18, v17
	v_add_f32_e32 v6, 1.0, v6
	v_mul_f32_e32 v5, v5, v6
	v_mul_f32_e32 v6, 0x3f3504f3, v2
	v_cmp_nlt_f32_e64 s[20:21], |v6|, 1.0
	;;#ASMSTART
	v_pk_mul_f32 v[4:5], v[4:5], v[20:21]
	;;#ASMEND
                                        ; implicit-def: $vgpr16
	s_and_saveexec_b64 s[34:35], s[20:21]
	s_xor_b64 s[20:21], exec, s[34:35]
	s_cbranch_execz .LBB558_29
; %bb.28:                               ;   in Loop: Header=BB558_3 Depth=1
	v_fma_f32 v16, |v6|, s22, v13
	v_fma_f32 v16, |v6|, v16, s23
	;; [unrolled: 1-line block ×6, first 2 shown]
	v_fma_f32 v16, |v6|, v16, |v6|
	v_mul_f32_e32 v17, 0xbfb8aa3b, v16
	v_fma_f32 v18, v16, s28, -v17
	v_rndne_f32_e32 v19, v17
	v_fmac_f32_e32 v18, 0xb2a5705f, v16
	v_sub_f32_e32 v17, v17, v19
	v_add_f32_e32 v17, v17, v18
	v_cvt_i32_f32_e32 v18, v19
	v_exp_f32_e32 v17, v17
	v_cmp_nlt_f32_e32 vcc, s29, v16
	v_ldexp_f32 v17, v17, v18
	s_nop 0
	v_cndmask_b32_e32 v17, 0, v17, vcc
	v_cmp_ngt_f32_e32 vcc, s30, v16
	s_nop 1
	v_cndmask_b32_e32 v16, v14, v17, vcc
	v_sub_f32_e32 v16, 1.0, v16
.LBB558_29:                             ;   in Loop: Header=BB558_3 Depth=1
	s_andn2_saveexec_b64 s[20:21], s[20:21]
; %bb.30:                               ;   in Loop: Header=BB558_3 Depth=1
	v_mul_f32_e32 v16, v6, v6
	v_fmamk_f32 v17, v16, 0xba1345e1, v12
	v_fmaak_f32 v17, v16, v17, 0xbcdac9b8
	v_fmaak_f32 v17, v16, v17, 0x3de703be
	;; [unrolled: 1-line block ×4, first 2 shown]
	v_fma_f32 v16, |v6|, v16, |v6|
; %bb.31:                               ;   in Loop: Header=BB558_3 Depth=1
	s_or_b64 exec, exec, s[20:21]
	v_cvt_f32_f16_sdwa v7, v7 dst_sel:DWORD dst_unused:UNUSED_PAD src0_sel:WORD_1
                                        ; implicit-def: $vgpr18
	v_mul_f32_e32 v17, 0x3f3504f3, v7
	v_cmp_nlt_f32_e64 s[20:21], |v17|, 1.0
	s_and_saveexec_b64 s[34:35], s[20:21]
	s_xor_b64 s[20:21], exec, s[34:35]
	s_cbranch_execz .LBB558_33
; %bb.32:                               ;   in Loop: Header=BB558_3 Depth=1
	v_fma_f32 v18, |v17|, s22, v13
	v_fma_f32 v18, |v17|, v18, s23
	v_fma_f32 v18, |v17|, v18, s24
	v_fma_f32 v18, |v17|, v18, s25
	v_fma_f32 v18, |v17|, v18, s26
	v_fma_f32 v18, |v17|, v18, s27
	v_fma_f32 v18, |v17|, v18, |v17|
	v_mul_f32_e32 v19, 0xbfb8aa3b, v18
	v_fma_f32 v20, v18, s28, -v19
	v_rndne_f32_e32 v21, v19
	v_fmac_f32_e32 v20, 0xb2a5705f, v18
	v_sub_f32_e32 v19, v19, v21
	v_add_f32_e32 v19, v19, v20
	v_cvt_i32_f32_e32 v20, v21
	v_exp_f32_e32 v19, v19
	v_cmp_nlt_f32_e32 vcc, s29, v18
	v_ldexp_f32 v19, v19, v20
	s_nop 0
	v_cndmask_b32_e32 v19, 0, v19, vcc
	v_cmp_ngt_f32_e32 vcc, s30, v18
	s_nop 1
	v_cndmask_b32_e32 v18, v14, v19, vcc
	v_sub_f32_e32 v18, 1.0, v18
.LBB558_33:                             ;   in Loop: Header=BB558_3 Depth=1
	s_andn2_saveexec_b64 s[20:21], s[20:21]
	s_cbranch_execz .LBB558_2
; %bb.34:                               ;   in Loop: Header=BB558_3 Depth=1
	v_mul_f32_e32 v18, v17, v17
	v_fmamk_f32 v19, v18, 0xba1345e1, v12
	v_fmaak_f32 v19, v18, v19, 0xbcdac9b8
	v_fmaak_f32 v19, v18, v19, 0x3de703be
	;; [unrolled: 1-line block ×4, first 2 shown]
	v_fma_f32 v18, |v17|, v18, |v17|
	s_branch .LBB558_2
.LBB558_35:
	s_endpgm
	.section	.rodata,"a",@progbits
	.p2align	6, 0x0
	.amdhsa_kernel _ZN5aiter18act_and_mul_kernelIDF16_DF16_TnPFfRKT_EXadL_ZNS_11gelu_kernelIDF16_EEfS3_EELi8ELb0ELi3EEEvPT0_PS2_if
		.amdhsa_group_segment_fixed_size 0
		.amdhsa_private_segment_fixed_size 0
		.amdhsa_kernarg_size 280
		.amdhsa_user_sgpr_count 2
		.amdhsa_user_sgpr_dispatch_ptr 0
		.amdhsa_user_sgpr_queue_ptr 0
		.amdhsa_user_sgpr_kernarg_segment_ptr 1
		.amdhsa_user_sgpr_dispatch_id 0
		.amdhsa_user_sgpr_kernarg_preload_length 0
		.amdhsa_user_sgpr_kernarg_preload_offset 0
		.amdhsa_user_sgpr_private_segment_size 0
		.amdhsa_uses_dynamic_stack 0
		.amdhsa_enable_private_segment 0
		.amdhsa_system_sgpr_workgroup_id_x 1
		.amdhsa_system_sgpr_workgroup_id_y 0
		.amdhsa_system_sgpr_workgroup_id_z 0
		.amdhsa_system_sgpr_workgroup_info 0
		.amdhsa_system_vgpr_workitem_id 0
		.amdhsa_next_free_vgpr 22
		.amdhsa_next_free_sgpr 36
		.amdhsa_accum_offset 24
		.amdhsa_reserve_vcc 1
		.amdhsa_float_round_mode_32 0
		.amdhsa_float_round_mode_16_64 0
		.amdhsa_float_denorm_mode_32 3
		.amdhsa_float_denorm_mode_16_64 3
		.amdhsa_dx10_clamp 1
		.amdhsa_ieee_mode 1
		.amdhsa_fp16_overflow 0
		.amdhsa_tg_split 0
		.amdhsa_exception_fp_ieee_invalid_op 0
		.amdhsa_exception_fp_denorm_src 0
		.amdhsa_exception_fp_ieee_div_zero 0
		.amdhsa_exception_fp_ieee_overflow 0
		.amdhsa_exception_fp_ieee_underflow 0
		.amdhsa_exception_fp_ieee_inexact 0
		.amdhsa_exception_int_div_zero 0
	.end_amdhsa_kernel
	.section	.text._ZN5aiter18act_and_mul_kernelIDF16_DF16_TnPFfRKT_EXadL_ZNS_11gelu_kernelIDF16_EEfS3_EELi8ELb0ELi3EEEvPT0_PS2_if,"axG",@progbits,_ZN5aiter18act_and_mul_kernelIDF16_DF16_TnPFfRKT_EXadL_ZNS_11gelu_kernelIDF16_EEfS3_EELi8ELb0ELi3EEEvPT0_PS2_if,comdat
.Lfunc_end558:
	.size	_ZN5aiter18act_and_mul_kernelIDF16_DF16_TnPFfRKT_EXadL_ZNS_11gelu_kernelIDF16_EEfS3_EELi8ELb0ELi3EEEvPT0_PS2_if, .Lfunc_end558-_ZN5aiter18act_and_mul_kernelIDF16_DF16_TnPFfRKT_EXadL_ZNS_11gelu_kernelIDF16_EEfS3_EELi8ELb0ELi3EEEvPT0_PS2_if
                                        ; -- End function
	.section	.AMDGPU.csdata,"",@progbits
; Kernel info:
; codeLenInByte = 2528
; NumSgprs: 42
; NumVgprs: 22
; NumAgprs: 0
; TotalNumVgprs: 22
; ScratchSize: 0
; MemoryBound: 0
; FloatMode: 240
; IeeeMode: 1
; LDSByteSize: 0 bytes/workgroup (compile time only)
; SGPRBlocks: 5
; VGPRBlocks: 2
; NumSGPRsForWavesPerEU: 42
; NumVGPRsForWavesPerEU: 22
; AccumOffset: 24
; Occupancy: 8
; WaveLimiterHint : 0
; COMPUTE_PGM_RSRC2:SCRATCH_EN: 0
; COMPUTE_PGM_RSRC2:USER_SGPR: 2
; COMPUTE_PGM_RSRC2:TRAP_HANDLER: 0
; COMPUTE_PGM_RSRC2:TGID_X_EN: 1
; COMPUTE_PGM_RSRC2:TGID_Y_EN: 0
; COMPUTE_PGM_RSRC2:TGID_Z_EN: 0
; COMPUTE_PGM_RSRC2:TIDIG_COMP_CNT: 0
; COMPUTE_PGM_RSRC3_GFX90A:ACCUM_OFFSET: 5
; COMPUTE_PGM_RSRC3_GFX90A:TG_SPLIT: 0
	.section	.text._ZN5aiter18act_and_mul_kernelIDF16_DF16_TnPFfRKT_EXadL_ZNS_11gelu_kernelIDF16_EEfS3_EELi4ELb0ELi3EEEvPT0_PS2_if,"axG",@progbits,_ZN5aiter18act_and_mul_kernelIDF16_DF16_TnPFfRKT_EXadL_ZNS_11gelu_kernelIDF16_EEfS3_EELi4ELb0ELi3EEEvPT0_PS2_if,comdat
	.protected	_ZN5aiter18act_and_mul_kernelIDF16_DF16_TnPFfRKT_EXadL_ZNS_11gelu_kernelIDF16_EEfS3_EELi4ELb0ELi3EEEvPT0_PS2_if ; -- Begin function _ZN5aiter18act_and_mul_kernelIDF16_DF16_TnPFfRKT_EXadL_ZNS_11gelu_kernelIDF16_EEfS3_EELi4ELb0ELi3EEEvPT0_PS2_if
	.globl	_ZN5aiter18act_and_mul_kernelIDF16_DF16_TnPFfRKT_EXadL_ZNS_11gelu_kernelIDF16_EEfS3_EELi4ELb0ELi3EEEvPT0_PS2_if
	.p2align	8
	.type	_ZN5aiter18act_and_mul_kernelIDF16_DF16_TnPFfRKT_EXadL_ZNS_11gelu_kernelIDF16_EEfS3_EELi4ELb0ELi3EEEvPT0_PS2_if,@function
_ZN5aiter18act_and_mul_kernelIDF16_DF16_TnPFfRKT_EXadL_ZNS_11gelu_kernelIDF16_EEfS3_EELi4ELb0ELi3EEEvPT0_PS2_if: ; @_ZN5aiter18act_and_mul_kernelIDF16_DF16_TnPFfRKT_EXadL_ZNS_11gelu_kernelIDF16_EEfS3_EELi4ELb0ELi3EEEvPT0_PS2_if
; %bb.0:
	s_load_dword s16, s[0:1], 0x10
	v_lshlrev_b32_e32 v0, 2, v0
	s_waitcnt lgkmcnt(0)
	v_cmp_gt_i32_e32 vcc, s16, v0
	s_and_saveexec_b64 s[4:5], vcc
	s_cbranch_execz .LBB559_19
; %bb.1:
	s_load_dwordx4 s[12:15], s[0:1], 0x0
	s_ashr_i32 s17, s16, 31
	s_mul_hi_u32 s3, s16, s2
	s_mul_i32 s4, s17, s2
	s_add_i32 s3, s3, s4
	s_mul_i32 s2, s16, s2
	s_lshl_b64 s[10:11], s[2:3], 1
	s_lshl_b64 s[2:3], s[2:3], 2
	s_waitcnt lgkmcnt(0)
	s_add_u32 s4, s14, s2
	s_addc_u32 s5, s15, s3
	s_lshl_b64 s[2:3], s[16:17], 1
	s_add_u32 s8, s4, s2
	s_addc_u32 s2, s5, s3
	s_add_i32 s3, s16, 1
	s_lshr_b32 s6, s3, 31
	s_add_i32 s3, s3, s6
	s_lshl_b32 s3, s3, 1
	s_and_b32 s6, s3, -4
	s_and_b32 s5, s5, 0xffff
	s_and_b32 s9, s2, 0xffff
	s_add_u32 s12, s12, s10
	s_addc_u32 s2, s13, s11
	s_and_b32 s13, s2, 0xffff
	s_mov_b32 s7, 0x20000
	s_add_u32 s0, s0, 24
	v_mov_b32_e32 v1, 0
	s_addc_u32 s1, s1, 0
	s_mov_b64 s[2:3], 0
	s_mov_b32 s19, 0
	s_mov_b32 s10, s6
	;; [unrolled: 1-line block ×12, first 2 shown]
	v_mov_b32_e32 v8, 0x3ba10414
	s_brev_b32 s31, -2
	v_mov_b32_e32 v9, 0xb9c68948
	v_mov_b32_e32 v10, 0x7f800000
	s_mov_b32 s14, s6
	s_mov_b32 s15, s7
                                        ; implicit-def: $vgpr2
                                        ; implicit-def: $vgpr2
                                        ; implicit-def: $vgpr2
                                        ; implicit-def: $vgpr2
	s_branch .LBB559_3
.LBB559_2:                              ;   in Loop: Header=BB559_3 Depth=1
	s_or_b64 exec, exec, s[20:21]
	v_bfi_b32 v4, s31, v12, v4
	v_cvt_f32_f16_sdwa v17, v3 dst_sel:DWORD dst_unused:UNUSED_PAD src0_sel:WORD_1
	v_cvt_f32_f16_e32 v16, v3
	v_mul_f32_e32 v3, 0.5, v5
	v_bfi_b32 v5, s31, v14, v13
	v_mul_f32_e32 v2, 0.5, v2
	v_add_f32_e32 v4, 1.0, v4
	v_add_f32_e32 v5, 1.0, v5
	v_mul_f32_e32 v2, v2, v4
	v_mul_f32_e32 v3, v3, v5
	;;#ASMSTART
	v_pk_mul_f32 v[2:3], v[2:3], v[16:17]
	;;#ASMEND
	s_load_dword s18, s[0:1], 0xc
	v_cvt_f16_f32_e32 v4, v6
	v_cvt_f16_f32_e32 v6, v7
	;; [unrolled: 1-line block ×4, first 2 shown]
	s_waitcnt lgkmcnt(0)
	s_and_b32 s18, s18, 0xffff
	s_lshl_b32 s18, s18, 2
	v_lshl_add_u64 v[0:1], s[18:19], 0, v[0:1]
	v_cmp_le_i64_e32 vcc, s[16:17], v[0:1]
	v_pack_b32_f16 v3, v2, v3
	v_pack_b32_f16 v2, v4, v6
	s_or_b64 s[2:3], vcc, s[2:3]
	buffer_store_dwordx2 v[2:3], v11, s[12:15], 0 offen
	s_andn2_b64 exec, exec, s[2:3]
	s_cbranch_execz .LBB559_19
.LBB559_3:                              ; =>This Inner Loop Header: Depth=1
	v_lshlrev_b32_e32 v11, 1, v0
	buffer_load_dwordx2 v[4:5], v11, s[4:7], 0 offen sc0 nt
	buffer_load_dwordx2 v[2:3], v11, s[8:11], 0 offen sc0 nt
                                        ; implicit-def: $vgpr12
	s_waitcnt vmcnt(1)
	v_cvt_f32_f16_e32 v6, v4
	v_mul_f32_e32 v7, 0x3f3504f3, v6
	v_cmp_nlt_f32_e64 s[20:21], |v7|, 1.0
	s_and_saveexec_b64 s[34:35], s[20:21]
	s_xor_b64 s[20:21], exec, s[34:35]
	s_cbranch_execz .LBB559_5
; %bb.4:                                ;   in Loop: Header=BB559_3 Depth=1
	v_fma_f32 v12, |v7|, s22, v9
	v_fma_f32 v12, |v7|, v12, s23
	;; [unrolled: 1-line block ×6, first 2 shown]
	v_fma_f32 v12, |v7|, v12, |v7|
	v_mul_f32_e32 v13, 0xbfb8aa3b, v12
	v_fma_f32 v14, v12, s28, -v13
	v_rndne_f32_e32 v15, v13
	v_fmac_f32_e32 v14, 0xb2a5705f, v12
	v_sub_f32_e32 v13, v13, v15
	v_add_f32_e32 v13, v13, v14
	v_cvt_i32_f32_e32 v14, v15
	v_exp_f32_e32 v13, v13
	v_cmp_nlt_f32_e32 vcc, s29, v12
	v_ldexp_f32 v13, v13, v14
	s_nop 0
	v_cndmask_b32_e32 v13, 0, v13, vcc
	v_cmp_ngt_f32_e32 vcc, s30, v12
	s_nop 1
	v_cndmask_b32_e32 v12, v10, v13, vcc
	v_sub_f32_e32 v12, 1.0, v12
.LBB559_5:                              ;   in Loop: Header=BB559_3 Depth=1
	s_andn2_saveexec_b64 s[20:21], s[20:21]
; %bb.6:                                ;   in Loop: Header=BB559_3 Depth=1
	v_mul_f32_e32 v12, v7, v7
	v_fmamk_f32 v13, v12, 0xba1345e1, v8
	v_fmaak_f32 v13, v12, v13, 0xbcdac9b8
	v_fmaak_f32 v13, v12, v13, 0x3de703be
	;; [unrolled: 1-line block ×4, first 2 shown]
	v_fma_f32 v12, |v7|, v12, |v7|
; %bb.7:                                ;   in Loop: Header=BB559_3 Depth=1
	s_or_b64 exec, exec, s[20:21]
	v_cvt_f32_f16_sdwa v4, v4 dst_sel:DWORD dst_unused:UNUSED_PAD src0_sel:WORD_1
                                        ; implicit-def: $vgpr14
	v_mul_f32_e32 v13, 0x3f3504f3, v4
	v_cmp_nlt_f32_e64 s[20:21], |v13|, 1.0
	s_and_saveexec_b64 s[34:35], s[20:21]
	s_xor_b64 s[20:21], exec, s[34:35]
	s_cbranch_execz .LBB559_9
; %bb.8:                                ;   in Loop: Header=BB559_3 Depth=1
	v_fma_f32 v14, |v13|, s22, v9
	v_fma_f32 v14, |v13|, v14, s23
	;; [unrolled: 1-line block ×6, first 2 shown]
	v_fma_f32 v14, |v13|, v14, |v13|
	v_mul_f32_e32 v15, 0xbfb8aa3b, v14
	v_fma_f32 v16, v14, s28, -v15
	v_rndne_f32_e32 v17, v15
	v_fmac_f32_e32 v16, 0xb2a5705f, v14
	v_sub_f32_e32 v15, v15, v17
	v_add_f32_e32 v15, v15, v16
	v_cvt_i32_f32_e32 v16, v17
	v_exp_f32_e32 v15, v15
	v_cmp_nlt_f32_e32 vcc, s29, v14
	v_ldexp_f32 v15, v15, v16
	s_nop 0
	v_cndmask_b32_e32 v15, 0, v15, vcc
	v_cmp_ngt_f32_e32 vcc, s30, v14
	s_nop 1
	v_cndmask_b32_e32 v14, v10, v15, vcc
	v_sub_f32_e32 v14, 1.0, v14
.LBB559_9:                              ;   in Loop: Header=BB559_3 Depth=1
	s_andn2_saveexec_b64 s[20:21], s[20:21]
; %bb.10:                               ;   in Loop: Header=BB559_3 Depth=1
	v_mul_f32_e32 v14, v13, v13
	v_fmamk_f32 v15, v14, 0xba1345e1, v8
	v_fmaak_f32 v15, v14, v15, 0xbcdac9b8
	v_fmaak_f32 v15, v14, v15, 0x3de703be
	v_fmaak_f32 v15, v14, v15, 0xbec09330
	v_fmaak_f32 v14, v14, v15, 0x3e0375d0
	v_fma_f32 v14, |v13|, v14, |v13|
; %bb.11:                               ;   in Loop: Header=BB559_3 Depth=1
	s_or_b64 exec, exec, s[20:21]
	v_bfi_b32 v7, s31, v12, v7
	s_waitcnt vmcnt(0)
	v_cvt_f32_f16_sdwa v17, v2 dst_sel:DWORD dst_unused:UNUSED_PAD src0_sel:WORD_1
	v_cvt_f32_f16_e32 v16, v2
	v_cvt_f32_f16_e32 v2, v5
	v_mul_f32_e32 v6, 0.5, v6
	v_add_f32_e32 v7, 1.0, v7
	v_mul_f32_e32 v6, v6, v7
	v_bfi_b32 v7, s31, v14, v13
	v_mul_f32_e32 v4, 0.5, v4
	v_add_f32_e32 v7, 1.0, v7
	v_mul_f32_e32 v7, v4, v7
	v_mul_f32_e32 v4, 0x3f3504f3, v2
	v_cmp_nlt_f32_e64 s[20:21], |v4|, 1.0
	;;#ASMSTART
	v_pk_mul_f32 v[6:7], v[6:7], v[16:17]
	;;#ASMEND
                                        ; implicit-def: $vgpr12
	s_and_saveexec_b64 s[34:35], s[20:21]
	s_xor_b64 s[20:21], exec, s[34:35]
	s_cbranch_execz .LBB559_13
; %bb.12:                               ;   in Loop: Header=BB559_3 Depth=1
	v_fma_f32 v12, |v4|, s22, v9
	v_fma_f32 v12, |v4|, v12, s23
	;; [unrolled: 1-line block ×6, first 2 shown]
	v_fma_f32 v12, |v4|, v12, |v4|
	v_mul_f32_e32 v13, 0xbfb8aa3b, v12
	v_fma_f32 v14, v12, s28, -v13
	v_rndne_f32_e32 v15, v13
	v_fmac_f32_e32 v14, 0xb2a5705f, v12
	v_sub_f32_e32 v13, v13, v15
	v_add_f32_e32 v13, v13, v14
	v_cvt_i32_f32_e32 v14, v15
	v_exp_f32_e32 v13, v13
	v_cmp_nlt_f32_e32 vcc, s29, v12
	v_ldexp_f32 v13, v13, v14
	s_nop 0
	v_cndmask_b32_e32 v13, 0, v13, vcc
	v_cmp_ngt_f32_e32 vcc, s30, v12
	s_nop 1
	v_cndmask_b32_e32 v12, v10, v13, vcc
	v_sub_f32_e32 v12, 1.0, v12
.LBB559_13:                             ;   in Loop: Header=BB559_3 Depth=1
	s_andn2_saveexec_b64 s[20:21], s[20:21]
; %bb.14:                               ;   in Loop: Header=BB559_3 Depth=1
	v_mul_f32_e32 v12, v4, v4
	v_fmamk_f32 v13, v12, 0xba1345e1, v8
	v_fmaak_f32 v13, v12, v13, 0xbcdac9b8
	v_fmaak_f32 v13, v12, v13, 0x3de703be
	;; [unrolled: 1-line block ×4, first 2 shown]
	v_fma_f32 v12, |v4|, v12, |v4|
; %bb.15:                               ;   in Loop: Header=BB559_3 Depth=1
	s_or_b64 exec, exec, s[20:21]
	v_cvt_f32_f16_sdwa v5, v5 dst_sel:DWORD dst_unused:UNUSED_PAD src0_sel:WORD_1
                                        ; implicit-def: $vgpr14
	v_mul_f32_e32 v13, 0x3f3504f3, v5
	v_cmp_nlt_f32_e64 s[20:21], |v13|, 1.0
	s_and_saveexec_b64 s[34:35], s[20:21]
	s_xor_b64 s[20:21], exec, s[34:35]
	s_cbranch_execz .LBB559_17
; %bb.16:                               ;   in Loop: Header=BB559_3 Depth=1
	v_fma_f32 v14, |v13|, s22, v9
	v_fma_f32 v14, |v13|, v14, s23
	;; [unrolled: 1-line block ×6, first 2 shown]
	v_fma_f32 v14, |v13|, v14, |v13|
	v_mul_f32_e32 v15, 0xbfb8aa3b, v14
	v_fma_f32 v16, v14, s28, -v15
	v_rndne_f32_e32 v17, v15
	v_fmac_f32_e32 v16, 0xb2a5705f, v14
	v_sub_f32_e32 v15, v15, v17
	v_add_f32_e32 v15, v15, v16
	v_cvt_i32_f32_e32 v16, v17
	v_exp_f32_e32 v15, v15
	v_cmp_nlt_f32_e32 vcc, s29, v14
	v_ldexp_f32 v15, v15, v16
	s_nop 0
	v_cndmask_b32_e32 v15, 0, v15, vcc
	v_cmp_ngt_f32_e32 vcc, s30, v14
	s_nop 1
	v_cndmask_b32_e32 v14, v10, v15, vcc
	v_sub_f32_e32 v14, 1.0, v14
.LBB559_17:                             ;   in Loop: Header=BB559_3 Depth=1
	s_andn2_saveexec_b64 s[20:21], s[20:21]
	s_cbranch_execz .LBB559_2
; %bb.18:                               ;   in Loop: Header=BB559_3 Depth=1
	v_mul_f32_e32 v14, v13, v13
	v_fmamk_f32 v15, v14, 0xba1345e1, v8
	v_fmaak_f32 v15, v14, v15, 0xbcdac9b8
	v_fmaak_f32 v15, v14, v15, 0x3de703be
	;; [unrolled: 1-line block ×4, first 2 shown]
	v_fma_f32 v14, |v13|, v14, |v13|
	s_branch .LBB559_2
.LBB559_19:
	s_endpgm
	.section	.rodata,"a",@progbits
	.p2align	6, 0x0
	.amdhsa_kernel _ZN5aiter18act_and_mul_kernelIDF16_DF16_TnPFfRKT_EXadL_ZNS_11gelu_kernelIDF16_EEfS3_EELi4ELb0ELi3EEEvPT0_PS2_if
		.amdhsa_group_segment_fixed_size 0
		.amdhsa_private_segment_fixed_size 0
		.amdhsa_kernarg_size 280
		.amdhsa_user_sgpr_count 2
		.amdhsa_user_sgpr_dispatch_ptr 0
		.amdhsa_user_sgpr_queue_ptr 0
		.amdhsa_user_sgpr_kernarg_segment_ptr 1
		.amdhsa_user_sgpr_dispatch_id 0
		.amdhsa_user_sgpr_kernarg_preload_length 0
		.amdhsa_user_sgpr_kernarg_preload_offset 0
		.amdhsa_user_sgpr_private_segment_size 0
		.amdhsa_uses_dynamic_stack 0
		.amdhsa_enable_private_segment 0
		.amdhsa_system_sgpr_workgroup_id_x 1
		.amdhsa_system_sgpr_workgroup_id_y 0
		.amdhsa_system_sgpr_workgroup_id_z 0
		.amdhsa_system_sgpr_workgroup_info 0
		.amdhsa_system_vgpr_workitem_id 0
		.amdhsa_next_free_vgpr 18
		.amdhsa_next_free_sgpr 36
		.amdhsa_accum_offset 20
		.amdhsa_reserve_vcc 1
		.amdhsa_float_round_mode_32 0
		.amdhsa_float_round_mode_16_64 0
		.amdhsa_float_denorm_mode_32 3
		.amdhsa_float_denorm_mode_16_64 3
		.amdhsa_dx10_clamp 1
		.amdhsa_ieee_mode 1
		.amdhsa_fp16_overflow 0
		.amdhsa_tg_split 0
		.amdhsa_exception_fp_ieee_invalid_op 0
		.amdhsa_exception_fp_denorm_src 0
		.amdhsa_exception_fp_ieee_div_zero 0
		.amdhsa_exception_fp_ieee_overflow 0
		.amdhsa_exception_fp_ieee_underflow 0
		.amdhsa_exception_fp_ieee_inexact 0
		.amdhsa_exception_int_div_zero 0
	.end_amdhsa_kernel
	.section	.text._ZN5aiter18act_and_mul_kernelIDF16_DF16_TnPFfRKT_EXadL_ZNS_11gelu_kernelIDF16_EEfS3_EELi4ELb0ELi3EEEvPT0_PS2_if,"axG",@progbits,_ZN5aiter18act_and_mul_kernelIDF16_DF16_TnPFfRKT_EXadL_ZNS_11gelu_kernelIDF16_EEfS3_EELi4ELb0ELi3EEEvPT0_PS2_if,comdat
.Lfunc_end559:
	.size	_ZN5aiter18act_and_mul_kernelIDF16_DF16_TnPFfRKT_EXadL_ZNS_11gelu_kernelIDF16_EEfS3_EELi4ELb0ELi3EEEvPT0_PS2_if, .Lfunc_end559-_ZN5aiter18act_and_mul_kernelIDF16_DF16_TnPFfRKT_EXadL_ZNS_11gelu_kernelIDF16_EEfS3_EELi4ELb0ELi3EEEvPT0_PS2_if
                                        ; -- End function
	.section	.AMDGPU.csdata,"",@progbits
; Kernel info:
; codeLenInByte = 1456
; NumSgprs: 42
; NumVgprs: 18
; NumAgprs: 0
; TotalNumVgprs: 18
; ScratchSize: 0
; MemoryBound: 0
; FloatMode: 240
; IeeeMode: 1
; LDSByteSize: 0 bytes/workgroup (compile time only)
; SGPRBlocks: 5
; VGPRBlocks: 2
; NumSGPRsForWavesPerEU: 42
; NumVGPRsForWavesPerEU: 18
; AccumOffset: 20
; Occupancy: 8
; WaveLimiterHint : 0
; COMPUTE_PGM_RSRC2:SCRATCH_EN: 0
; COMPUTE_PGM_RSRC2:USER_SGPR: 2
; COMPUTE_PGM_RSRC2:TRAP_HANDLER: 0
; COMPUTE_PGM_RSRC2:TGID_X_EN: 1
; COMPUTE_PGM_RSRC2:TGID_Y_EN: 0
; COMPUTE_PGM_RSRC2:TGID_Z_EN: 0
; COMPUTE_PGM_RSRC2:TIDIG_COMP_CNT: 0
; COMPUTE_PGM_RSRC3_GFX90A:ACCUM_OFFSET: 4
; COMPUTE_PGM_RSRC3_GFX90A:TG_SPLIT: 0
	.section	.text._ZN5aiter18act_and_mul_kernelIDF16_DF16_TnPFfRKT_EXadL_ZNS_11gelu_kernelIDF16_EEfS3_EELi2ELb0ELi3EEEvPT0_PS2_if,"axG",@progbits,_ZN5aiter18act_and_mul_kernelIDF16_DF16_TnPFfRKT_EXadL_ZNS_11gelu_kernelIDF16_EEfS3_EELi2ELb0ELi3EEEvPT0_PS2_if,comdat
	.protected	_ZN5aiter18act_and_mul_kernelIDF16_DF16_TnPFfRKT_EXadL_ZNS_11gelu_kernelIDF16_EEfS3_EELi2ELb0ELi3EEEvPT0_PS2_if ; -- Begin function _ZN5aiter18act_and_mul_kernelIDF16_DF16_TnPFfRKT_EXadL_ZNS_11gelu_kernelIDF16_EEfS3_EELi2ELb0ELi3EEEvPT0_PS2_if
	.globl	_ZN5aiter18act_and_mul_kernelIDF16_DF16_TnPFfRKT_EXadL_ZNS_11gelu_kernelIDF16_EEfS3_EELi2ELb0ELi3EEEvPT0_PS2_if
	.p2align	8
	.type	_ZN5aiter18act_and_mul_kernelIDF16_DF16_TnPFfRKT_EXadL_ZNS_11gelu_kernelIDF16_EEfS3_EELi2ELb0ELi3EEEvPT0_PS2_if,@function
_ZN5aiter18act_and_mul_kernelIDF16_DF16_TnPFfRKT_EXadL_ZNS_11gelu_kernelIDF16_EEfS3_EELi2ELb0ELi3EEEvPT0_PS2_if: ; @_ZN5aiter18act_and_mul_kernelIDF16_DF16_TnPFfRKT_EXadL_ZNS_11gelu_kernelIDF16_EEfS3_EELi2ELb0ELi3EEEvPT0_PS2_if
; %bb.0:
	s_load_dword s16, s[0:1], 0x10
	v_lshlrev_b32_e32 v0, 1, v0
	s_waitcnt lgkmcnt(0)
	v_cmp_gt_i32_e32 vcc, s16, v0
	s_and_saveexec_b64 s[4:5], vcc
	s_cbranch_execz .LBB560_7
; %bb.1:
	s_load_dwordx4 s[12:15], s[0:1], 0x0
	s_ashr_i32 s17, s16, 31
	s_mul_hi_u32 s3, s16, s2
	s_mul_i32 s4, s17, s2
	s_add_i32 s3, s3, s4
	s_mul_i32 s2, s16, s2
	s_lshl_b64 s[10:11], s[2:3], 1
	s_lshl_b64 s[2:3], s[2:3], 2
	s_waitcnt lgkmcnt(0)
	s_add_u32 s4, s14, s2
	s_addc_u32 s5, s15, s3
	s_lshl_b64 s[2:3], s[16:17], 1
	s_add_u32 s8, s4, s2
	s_addc_u32 s2, s5, s3
	s_add_i32 s3, s16, 1
	s_lshr_b32 s6, s3, 31
	s_add_i32 s3, s3, s6
	s_lshl_b32 s3, s3, 1
	s_and_b32 s6, s3, -4
	s_and_b32 s5, s5, 0xffff
	s_and_b32 s9, s2, 0xffff
	s_add_u32 s12, s12, s10
	s_addc_u32 s2, s13, s11
	s_and_b32 s13, s2, 0xffff
	s_mov_b32 s7, 0x20000
	s_add_u32 s0, s0, 24
	v_mov_b32_e32 v1, 0
	s_addc_u32 s1, s1, 0
	s_mov_b64 s[2:3], 0
	s_mov_b32 s19, 0
	s_mov_b32 s10, s6
	;; [unrolled: 1-line block ×13, first 2 shown]
	v_mov_b32_e32 v8, 0x3ba10414
	v_mov_b32_e32 v9, 0xb9c68948
	;; [unrolled: 1-line block ×3, first 2 shown]
	s_brev_b32 s33, -2
	s_mov_b32 s14, s6
	s_mov_b32 s15, s7
                                        ; implicit-def: $vgpr2
                                        ; implicit-def: $vgpr2
	;; [unrolled: 1-line block ×4, first 2 shown]
	s_branch .LBB560_3
.LBB560_2:                              ;   in Loop: Header=BB560_3 Depth=1
	s_or_b64 exec, exec, s[22:23]
	v_fma_f32 v6, |v3|, s21, v9
	v_fma_f32 v6, |v3|, v6, s24
	;; [unrolled: 1-line block ×6, first 2 shown]
	v_fma_f32 v6, |v3|, v6, |v3|
	v_mul_f32_e32 v14, 0xbfb8aa3b, v6
	v_fma_f32 v15, v6, s29, -v14
	v_rndne_f32_e32 v16, v14
	v_fmac_f32_e32 v15, 0xb2a5705f, v6
	v_sub_f32_e32 v14, v14, v16
	v_add_f32_e32 v14, v14, v15
	v_exp_f32_e32 v17, v14
	v_cvt_i32_f32_e32 v16, v16
	s_waitcnt vmcnt(0)
	v_cvt_f32_f16_sdwa v15, v12 dst_sel:DWORD dst_unused:UNUSED_PAD src0_sel:WORD_1
	v_cvt_f32_f16_e32 v14, v12
	v_cmp_nlt_f32_e32 vcc, s30, v6
	v_ldexp_f32 v12, v17, v16
	v_bfi_b32 v2, s33, v13, v2
	v_cndmask_b32_e32 v12, 0, v12, vcc
	v_cmp_ngt_f32_e32 vcc, s31, v6
	v_mul_f32_e32 v5, 0.5, v5
	v_mul_f32_e32 v4, 0.5, v4
	v_cndmask_b32_e32 v6, v10, v12, vcc
	v_fmamk_f32 v12, v7, 0xba1345e1, v8
	v_fmaak_f32 v12, v7, v12, 0xbcdac9b8
	v_fmaak_f32 v12, v7, v12, 0x3de703be
	;; [unrolled: 1-line block ×4, first 2 shown]
	v_sub_f32_e32 v6, 1.0, v6
	v_fma_f32 v7, |v3|, v7, |v3|
	v_cmp_lt_f32_e64 vcc, |v3|, 1.0
	s_nop 1
	v_cndmask_b32_e32 v6, v6, v7, vcc
	v_bfi_b32 v3, s33, v6, v3
	v_pk_add_f32 v[2:3], v[2:3], 1.0 op_sel_hi:[1,0]
	s_nop 0
	v_pk_mul_f32 v[2:3], v[4:5], v[2:3]
	s_nop 0
	;;#ASMSTART
	v_pk_mul_f32 v[2:3], v[2:3], v[14:15]
	;;#ASMEND
	s_load_dword s18, s[0:1], 0xc
	v_cvt_f16_f32_e32 v2, v2
	v_cvt_f16_f32_e32 v3, v3
	s_waitcnt lgkmcnt(0)
	s_and_b32 s18, s18, 0xffff
	s_lshl_b32 s18, s18, 1
	v_lshl_add_u64 v[0:1], s[18:19], 0, v[0:1]
	v_cmp_le_i64_e32 vcc, s[16:17], v[0:1]
	v_pack_b32_f16 v2, v2, v3
	s_or_b64 s[2:3], vcc, s[2:3]
	buffer_store_dword v2, v11, s[12:15], 0 offen
	s_andn2_b64 exec, exec, s[2:3]
	s_cbranch_execz .LBB560_7
.LBB560_3:                              ; =>This Inner Loop Header: Depth=1
	v_lshlrev_b32_e32 v11, 1, v0
	buffer_load_dword v2, v11, s[4:7], 0 offen sc0 nt
	buffer_load_dword v12, v11, s[8:11], 0 offen sc0 nt
                                        ; implicit-def: $vgpr13
	s_waitcnt vmcnt(1)
	v_cvt_f32_f16_e32 v4, v2
	v_cvt_f32_f16_sdwa v5, v2 dst_sel:DWORD dst_unused:UNUSED_PAD src0_sel:WORD_1
	v_pk_mul_f32 v[2:3], v[4:5], s[20:21] op_sel_hi:[1,0]
	s_nop 0
	v_cmp_nlt_f32_e64 s[22:23], |v2|, 1.0
	s_and_saveexec_b64 s[34:35], s[22:23]
	s_xor_b64 s[22:23], exec, s[34:35]
	s_cbranch_execz .LBB560_5
; %bb.4:                                ;   in Loop: Header=BB560_3 Depth=1
	v_fma_f32 v6, |v2|, s21, v9
	v_fma_f32 v6, |v2|, v6, s24
	v_fma_f32 v6, |v2|, v6, s25
	v_fma_f32 v6, |v2|, v6, s26
	v_fma_f32 v6, |v2|, v6, s27
	v_fma_f32 v6, |v2|, v6, s28
	v_fma_f32 v6, |v2|, v6, |v2|
	v_mul_f32_e32 v7, 0xbfb8aa3b, v6
	v_fma_f32 v13, v6, s29, -v7
	v_rndne_f32_e32 v14, v7
	v_fmac_f32_e32 v13, 0xb2a5705f, v6
	v_sub_f32_e32 v7, v7, v14
	v_add_f32_e32 v7, v7, v13
	v_cvt_i32_f32_e32 v13, v14
	v_exp_f32_e32 v7, v7
	v_cmp_nlt_f32_e32 vcc, s30, v6
	v_ldexp_f32 v7, v7, v13
	s_nop 0
	v_cndmask_b32_e32 v7, 0, v7, vcc
	v_cmp_ngt_f32_e32 vcc, s31, v6
	s_nop 1
	v_cndmask_b32_e32 v6, v10, v7, vcc
	v_sub_f32_e32 v13, 1.0, v6
.LBB560_5:                              ;   in Loop: Header=BB560_3 Depth=1
	s_or_saveexec_b64 s[22:23], s[22:23]
	v_pk_mul_f32 v[6:7], v[2:3], v[2:3]
	s_xor_b64 exec, exec, s[22:23]
	s_cbranch_execz .LBB560_2
; %bb.6:                                ;   in Loop: Header=BB560_3 Depth=1
	v_fmamk_f32 v13, v6, 0xba1345e1, v8
	v_fmaak_f32 v13, v6, v13, 0xbcdac9b8
	v_fmaak_f32 v13, v6, v13, 0x3de703be
	;; [unrolled: 1-line block ×4, first 2 shown]
	v_fma_f32 v13, |v2|, v6, |v2|
	s_branch .LBB560_2
.LBB560_7:
	s_endpgm
	.section	.rodata,"a",@progbits
	.p2align	6, 0x0
	.amdhsa_kernel _ZN5aiter18act_and_mul_kernelIDF16_DF16_TnPFfRKT_EXadL_ZNS_11gelu_kernelIDF16_EEfS3_EELi2ELb0ELi3EEEvPT0_PS2_if
		.amdhsa_group_segment_fixed_size 0
		.amdhsa_private_segment_fixed_size 0
		.amdhsa_kernarg_size 280
		.amdhsa_user_sgpr_count 2
		.amdhsa_user_sgpr_dispatch_ptr 0
		.amdhsa_user_sgpr_queue_ptr 0
		.amdhsa_user_sgpr_kernarg_segment_ptr 1
		.amdhsa_user_sgpr_dispatch_id 0
		.amdhsa_user_sgpr_kernarg_preload_length 0
		.amdhsa_user_sgpr_kernarg_preload_offset 0
		.amdhsa_user_sgpr_private_segment_size 0
		.amdhsa_uses_dynamic_stack 0
		.amdhsa_enable_private_segment 0
		.amdhsa_system_sgpr_workgroup_id_x 1
		.amdhsa_system_sgpr_workgroup_id_y 0
		.amdhsa_system_sgpr_workgroup_id_z 0
		.amdhsa_system_sgpr_workgroup_info 0
		.amdhsa_system_vgpr_workitem_id 0
		.amdhsa_next_free_vgpr 18
		.amdhsa_next_free_sgpr 36
		.amdhsa_accum_offset 20
		.amdhsa_reserve_vcc 1
		.amdhsa_float_round_mode_32 0
		.amdhsa_float_round_mode_16_64 0
		.amdhsa_float_denorm_mode_32 3
		.amdhsa_float_denorm_mode_16_64 3
		.amdhsa_dx10_clamp 1
		.amdhsa_ieee_mode 1
		.amdhsa_fp16_overflow 0
		.amdhsa_tg_split 0
		.amdhsa_exception_fp_ieee_invalid_op 0
		.amdhsa_exception_fp_denorm_src 0
		.amdhsa_exception_fp_ieee_div_zero 0
		.amdhsa_exception_fp_ieee_overflow 0
		.amdhsa_exception_fp_ieee_underflow 0
		.amdhsa_exception_fp_ieee_inexact 0
		.amdhsa_exception_int_div_zero 0
	.end_amdhsa_kernel
	.section	.text._ZN5aiter18act_and_mul_kernelIDF16_DF16_TnPFfRKT_EXadL_ZNS_11gelu_kernelIDF16_EEfS3_EELi2ELb0ELi3EEEvPT0_PS2_if,"axG",@progbits,_ZN5aiter18act_and_mul_kernelIDF16_DF16_TnPFfRKT_EXadL_ZNS_11gelu_kernelIDF16_EEfS3_EELi2ELb0ELi3EEEvPT0_PS2_if,comdat
.Lfunc_end560:
	.size	_ZN5aiter18act_and_mul_kernelIDF16_DF16_TnPFfRKT_EXadL_ZNS_11gelu_kernelIDF16_EEfS3_EELi2ELb0ELi3EEEvPT0_PS2_if, .Lfunc_end560-_ZN5aiter18act_and_mul_kernelIDF16_DF16_TnPFfRKT_EXadL_ZNS_11gelu_kernelIDF16_EEfS3_EELi2ELb0ELi3EEEvPT0_PS2_if
                                        ; -- End function
	.section	.AMDGPU.csdata,"",@progbits
; Kernel info:
; codeLenInByte = 916
; NumSgprs: 42
; NumVgprs: 18
; NumAgprs: 0
; TotalNumVgprs: 18
; ScratchSize: 0
; MemoryBound: 0
; FloatMode: 240
; IeeeMode: 1
; LDSByteSize: 0 bytes/workgroup (compile time only)
; SGPRBlocks: 5
; VGPRBlocks: 2
; NumSGPRsForWavesPerEU: 42
; NumVGPRsForWavesPerEU: 18
; AccumOffset: 20
; Occupancy: 8
; WaveLimiterHint : 0
; COMPUTE_PGM_RSRC2:SCRATCH_EN: 0
; COMPUTE_PGM_RSRC2:USER_SGPR: 2
; COMPUTE_PGM_RSRC2:TRAP_HANDLER: 0
; COMPUTE_PGM_RSRC2:TGID_X_EN: 1
; COMPUTE_PGM_RSRC2:TGID_Y_EN: 0
; COMPUTE_PGM_RSRC2:TGID_Z_EN: 0
; COMPUTE_PGM_RSRC2:TIDIG_COMP_CNT: 0
; COMPUTE_PGM_RSRC3_GFX90A:ACCUM_OFFSET: 4
; COMPUTE_PGM_RSRC3_GFX90A:TG_SPLIT: 0
	.section	.text._ZN5aiter18act_and_mul_kernelIDF16_DF16_TnPFfRKT_EXadL_ZNS_11gelu_kernelIDF16_EEfS3_EELi1ELb0ELi3EEEvPT0_PS2_if,"axG",@progbits,_ZN5aiter18act_and_mul_kernelIDF16_DF16_TnPFfRKT_EXadL_ZNS_11gelu_kernelIDF16_EEfS3_EELi1ELb0ELi3EEEvPT0_PS2_if,comdat
	.protected	_ZN5aiter18act_and_mul_kernelIDF16_DF16_TnPFfRKT_EXadL_ZNS_11gelu_kernelIDF16_EEfS3_EELi1ELb0ELi3EEEvPT0_PS2_if ; -- Begin function _ZN5aiter18act_and_mul_kernelIDF16_DF16_TnPFfRKT_EXadL_ZNS_11gelu_kernelIDF16_EEfS3_EELi1ELb0ELi3EEEvPT0_PS2_if
	.globl	_ZN5aiter18act_and_mul_kernelIDF16_DF16_TnPFfRKT_EXadL_ZNS_11gelu_kernelIDF16_EEfS3_EELi1ELb0ELi3EEEvPT0_PS2_if
	.p2align	8
	.type	_ZN5aiter18act_and_mul_kernelIDF16_DF16_TnPFfRKT_EXadL_ZNS_11gelu_kernelIDF16_EEfS3_EELi1ELb0ELi3EEEvPT0_PS2_if,@function
_ZN5aiter18act_and_mul_kernelIDF16_DF16_TnPFfRKT_EXadL_ZNS_11gelu_kernelIDF16_EEfS3_EELi1ELb0ELi3EEEvPT0_PS2_if: ; @_ZN5aiter18act_and_mul_kernelIDF16_DF16_TnPFfRKT_EXadL_ZNS_11gelu_kernelIDF16_EEfS3_EELi1ELb0ELi3EEEvPT0_PS2_if
; %bb.0:
	s_load_dword s12, s[0:1], 0x10
	s_waitcnt lgkmcnt(0)
	v_cmp_gt_i32_e32 vcc, s12, v0
	s_and_saveexec_b64 s[4:5], vcc
	s_cbranch_execz .LBB561_7
; %bb.1:
	s_load_dwordx4 s[8:11], s[0:1], 0x0
	s_load_dword s14, s[0:1], 0x24
	s_ashr_i32 s13, s12, 31
	s_mul_hi_u32 s3, s12, s2
	s_mul_i32 s4, s13, s2
	s_add_i32 s3, s3, s4
	s_mul_i32 s2, s12, s2
	s_lshl_b64 s[6:7], s[2:3], 1
	s_lshl_b64 s[2:3], s[2:3], 2
	s_waitcnt lgkmcnt(0)
	s_add_u32 s0, s10, s2
	s_addc_u32 s1, s11, s3
	s_lshl_b64 s[2:3], s[12:13], 1
	s_add_u32 s4, s0, s2
	s_addc_u32 s5, s1, s3
	s_add_i32 s2, s12, 1
	s_lshr_b32 s3, s2, 31
	s_add_i32 s2, s2, s3
	s_lshl_b32 s2, s2, 1
	s_and_b32 s2, s2, -4
	s_and_b32 s1, s1, 0xffff
	s_and_b32 s5, s5, 0xffff
	s_add_u32 s8, s8, s6
	s_mov_b32 s3, 0x20000
	s_addc_u32 s6, s9, s7
	s_and_b32 s14, s14, 0xffff
                                        ; implicit-def: $vgpr4
                                        ; implicit-def: $vgpr4
	;; [unrolled: 1-line block ×4, first 2 shown]
	s_and_b32 s9, s6, 0xffff
	s_mov_b32 s15, 0
	v_mov_b32_e32 v1, 0
	v_lshlrev_b32_e32 v2, 1, v0
	s_lshl_b32 s20, s14, 1
	s_mov_b64 s[16:17], 0
	s_mov_b32 s6, s2
	s_mov_b32 s7, s3
	;; [unrolled: 1-line block ×11, first 2 shown]
	v_mov_b32_e32 v3, 0x3ba10414
	s_brev_b32 s30, -2
	v_mov_b32_e32 v4, 0xb9c68948
	v_mov_b32_e32 v5, 0x7f800000
	s_mov_b32 s10, s2
	s_mov_b32 s11, s3
	s_branch .LBB561_3
.LBB561_2:                              ;   in Loop: Header=BB561_3 Depth=1
	s_or_b64 exec, exec, s[18:19]
	v_bfi_b32 v8, s30, v9, v8
	v_mul_f32_e32 v7, 0.5, v7
	v_add_f32_e32 v8, 1.0, v8
	v_mul_f32_e32 v7, v7, v8
	v_lshl_add_u64 v[0:1], v[0:1], 0, s[14:15]
	s_waitcnt vmcnt(0)
	v_fma_mixlo_f16 v6, v7, v6, 0 op_sel_hi:[0,1,0]
	v_cmp_le_i64_e32 vcc, s[12:13], v[0:1]
	buffer_store_short v6, v2, s[8:11], 0 offen
	s_or_b64 s[16:17], vcc, s[16:17]
	v_add_u32_e32 v2, s20, v2
	s_andn2_b64 exec, exec, s[16:17]
	s_cbranch_execz .LBB561_7
.LBB561_3:                              ; =>This Inner Loop Header: Depth=1
	buffer_load_ushort v7, v2, s[0:3], 0 offen sc0 nt
	buffer_load_ushort v6, v2, s[4:7], 0 offen sc0 nt
                                        ; implicit-def: $vgpr9
	s_waitcnt vmcnt(1)
	v_cvt_f32_f16_e32 v7, v7
	v_mul_f32_e32 v8, 0x3f3504f3, v7
	v_cmp_nlt_f32_e64 s[18:19], |v8|, 1.0
	s_and_saveexec_b64 s[34:35], s[18:19]
	s_xor_b64 s[18:19], exec, s[34:35]
	s_cbranch_execz .LBB561_5
; %bb.4:                                ;   in Loop: Header=BB561_3 Depth=1
	v_fma_f32 v9, |v8|, s21, v4
	v_fma_f32 v9, |v8|, v9, s22
	;; [unrolled: 1-line block ×6, first 2 shown]
	v_fma_f32 v9, |v8|, v9, |v8|
	v_mul_f32_e32 v10, 0xbfb8aa3b, v9
	v_fma_f32 v11, v9, s27, -v10
	v_rndne_f32_e32 v12, v10
	v_fmac_f32_e32 v11, 0xb2a5705f, v9
	v_sub_f32_e32 v10, v10, v12
	v_add_f32_e32 v10, v10, v11
	v_cvt_i32_f32_e32 v11, v12
	v_exp_f32_e32 v10, v10
	v_cmp_nlt_f32_e32 vcc, s28, v9
	v_ldexp_f32 v10, v10, v11
	s_nop 0
	v_cndmask_b32_e32 v10, 0, v10, vcc
	v_cmp_ngt_f32_e32 vcc, s29, v9
	s_nop 1
	v_cndmask_b32_e32 v9, v5, v10, vcc
	v_sub_f32_e32 v9, 1.0, v9
.LBB561_5:                              ;   in Loop: Header=BB561_3 Depth=1
	s_andn2_saveexec_b64 s[18:19], s[18:19]
	s_cbranch_execz .LBB561_2
; %bb.6:                                ;   in Loop: Header=BB561_3 Depth=1
	v_mul_f32_e32 v9, v8, v8
	v_fmamk_f32 v10, v9, 0xba1345e1, v3
	v_fmaak_f32 v10, v9, v10, 0xbcdac9b8
	v_fmaak_f32 v10, v9, v10, 0x3de703be
	;; [unrolled: 1-line block ×4, first 2 shown]
	v_fma_f32 v9, |v8|, v9, |v8|
	s_branch .LBB561_2
.LBB561_7:
	s_endpgm
	.section	.rodata,"a",@progbits
	.p2align	6, 0x0
	.amdhsa_kernel _ZN5aiter18act_and_mul_kernelIDF16_DF16_TnPFfRKT_EXadL_ZNS_11gelu_kernelIDF16_EEfS3_EELi1ELb0ELi3EEEvPT0_PS2_if
		.amdhsa_group_segment_fixed_size 0
		.amdhsa_private_segment_fixed_size 0
		.amdhsa_kernarg_size 280
		.amdhsa_user_sgpr_count 2
		.amdhsa_user_sgpr_dispatch_ptr 0
		.amdhsa_user_sgpr_queue_ptr 0
		.amdhsa_user_sgpr_kernarg_segment_ptr 1
		.amdhsa_user_sgpr_dispatch_id 0
		.amdhsa_user_sgpr_kernarg_preload_length 0
		.amdhsa_user_sgpr_kernarg_preload_offset 0
		.amdhsa_user_sgpr_private_segment_size 0
		.amdhsa_uses_dynamic_stack 0
		.amdhsa_enable_private_segment 0
		.amdhsa_system_sgpr_workgroup_id_x 1
		.amdhsa_system_sgpr_workgroup_id_y 0
		.amdhsa_system_sgpr_workgroup_id_z 0
		.amdhsa_system_sgpr_workgroup_info 0
		.amdhsa_system_vgpr_workitem_id 0
		.amdhsa_next_free_vgpr 13
		.amdhsa_next_free_sgpr 36
		.amdhsa_accum_offset 16
		.amdhsa_reserve_vcc 1
		.amdhsa_float_round_mode_32 0
		.amdhsa_float_round_mode_16_64 0
		.amdhsa_float_denorm_mode_32 3
		.amdhsa_float_denorm_mode_16_64 3
		.amdhsa_dx10_clamp 1
		.amdhsa_ieee_mode 1
		.amdhsa_fp16_overflow 0
		.amdhsa_tg_split 0
		.amdhsa_exception_fp_ieee_invalid_op 0
		.amdhsa_exception_fp_denorm_src 0
		.amdhsa_exception_fp_ieee_div_zero 0
		.amdhsa_exception_fp_ieee_overflow 0
		.amdhsa_exception_fp_ieee_underflow 0
		.amdhsa_exception_fp_ieee_inexact 0
		.amdhsa_exception_int_div_zero 0
	.end_amdhsa_kernel
	.section	.text._ZN5aiter18act_and_mul_kernelIDF16_DF16_TnPFfRKT_EXadL_ZNS_11gelu_kernelIDF16_EEfS3_EELi1ELb0ELi3EEEvPT0_PS2_if,"axG",@progbits,_ZN5aiter18act_and_mul_kernelIDF16_DF16_TnPFfRKT_EXadL_ZNS_11gelu_kernelIDF16_EEfS3_EELi1ELb0ELi3EEEvPT0_PS2_if,comdat
.Lfunc_end561:
	.size	_ZN5aiter18act_and_mul_kernelIDF16_DF16_TnPFfRKT_EXadL_ZNS_11gelu_kernelIDF16_EEfS3_EELi1ELb0ELi3EEEvPT0_PS2_if, .Lfunc_end561-_ZN5aiter18act_and_mul_kernelIDF16_DF16_TnPFfRKT_EXadL_ZNS_11gelu_kernelIDF16_EEfS3_EELi1ELb0ELi3EEEvPT0_PS2_if
                                        ; -- End function
	.section	.AMDGPU.csdata,"",@progbits
; Kernel info:
; codeLenInByte = 628
; NumSgprs: 42
; NumVgprs: 13
; NumAgprs: 0
; TotalNumVgprs: 13
; ScratchSize: 0
; MemoryBound: 0
; FloatMode: 240
; IeeeMode: 1
; LDSByteSize: 0 bytes/workgroup (compile time only)
; SGPRBlocks: 5
; VGPRBlocks: 1
; NumSGPRsForWavesPerEU: 42
; NumVGPRsForWavesPerEU: 13
; AccumOffset: 16
; Occupancy: 8
; WaveLimiterHint : 0
; COMPUTE_PGM_RSRC2:SCRATCH_EN: 0
; COMPUTE_PGM_RSRC2:USER_SGPR: 2
; COMPUTE_PGM_RSRC2:TRAP_HANDLER: 0
; COMPUTE_PGM_RSRC2:TGID_X_EN: 1
; COMPUTE_PGM_RSRC2:TGID_Y_EN: 0
; COMPUTE_PGM_RSRC2:TGID_Z_EN: 0
; COMPUTE_PGM_RSRC2:TIDIG_COMP_CNT: 0
; COMPUTE_PGM_RSRC3_GFX90A:ACCUM_OFFSET: 3
; COMPUTE_PGM_RSRC3_GFX90A:TG_SPLIT: 0
	.section	.text._ZN5aiter18act_and_mul_kernelIttTnPFfRKT_EXadL_ZNS_11gelu_kernelItEEfS3_EELi32ELb0ELi3EEEvPT0_PS2_if,"axG",@progbits,_ZN5aiter18act_and_mul_kernelIttTnPFfRKT_EXadL_ZNS_11gelu_kernelItEEfS3_EELi32ELb0ELi3EEEvPT0_PS2_if,comdat
	.protected	_ZN5aiter18act_and_mul_kernelIttTnPFfRKT_EXadL_ZNS_11gelu_kernelItEEfS3_EELi32ELb0ELi3EEEvPT0_PS2_if ; -- Begin function _ZN5aiter18act_and_mul_kernelIttTnPFfRKT_EXadL_ZNS_11gelu_kernelItEEfS3_EELi32ELb0ELi3EEEvPT0_PS2_if
	.globl	_ZN5aiter18act_and_mul_kernelIttTnPFfRKT_EXadL_ZNS_11gelu_kernelItEEfS3_EELi32ELb0ELi3EEEvPT0_PS2_if
	.p2align	8
	.type	_ZN5aiter18act_and_mul_kernelIttTnPFfRKT_EXadL_ZNS_11gelu_kernelItEEfS3_EELi32ELb0ELi3EEEvPT0_PS2_if,@function
_ZN5aiter18act_and_mul_kernelIttTnPFfRKT_EXadL_ZNS_11gelu_kernelItEEfS3_EELi32ELb0ELi3EEEvPT0_PS2_if: ; @_ZN5aiter18act_and_mul_kernelIttTnPFfRKT_EXadL_ZNS_11gelu_kernelItEEfS3_EELi32ELb0ELi3EEEvPT0_PS2_if
; %bb.0:
	s_load_dword s16, s[0:1], 0x10
	v_lshlrev_b32_e32 v32, 5, v0
	s_waitcnt lgkmcnt(0)
	v_cmp_gt_i32_e32 vcc, s16, v32
	s_and_saveexec_b64 s[4:5], vcc
	s_cbranch_execz .LBB562_131
; %bb.1:
	s_load_dwordx4 s[12:15], s[0:1], 0x0
	s_ashr_i32 s17, s16, 31
	s_mul_hi_u32 s3, s16, s2
	s_mul_i32 s4, s17, s2
	s_add_i32 s3, s3, s4
	s_mul_i32 s2, s16, s2
	s_lshl_b64 s[10:11], s[2:3], 1
	s_lshl_b64 s[2:3], s[2:3], 2
	s_waitcnt lgkmcnt(0)
	s_add_u32 s4, s14, s2
	s_addc_u32 s5, s15, s3
	s_lshl_b64 s[2:3], s[16:17], 1
	s_add_u32 s8, s4, s2
	s_addc_u32 s2, s5, s3
	s_add_i32 s3, s16, 1
	s_lshr_b32 s6, s3, 31
	s_add_i32 s3, s3, s6
	s_lshl_b32 s3, s3, 1
	s_and_b32 s6, s3, -4
	s_and_b32 s5, s5, 0xffff
	s_and_b32 s9, s2, 0xffff
	s_add_u32 s12, s12, s10
	s_addc_u32 s2, s13, s11
	s_and_b32 s13, s2, 0xffff
	s_mov_b32 s7, 0x20000
	s_add_u32 s0, s0, 24
	v_mov_b32_e32 v33, 0
	s_addc_u32 s1, s1, 0
	s_mov_b64 s[2:3], 0
	s_mov_b32 s19, 0
	s_mov_b32 s22, 0x378e98ab
	;; [unrolled: 1-line block ×10, first 2 shown]
	v_mov_b32_e32 v36, 0x3ba10414
	s_brev_b32 s31, -2
	s_mov_b32 s33, 0x7060302
	s_mov_b32 s10, s6
	;; [unrolled: 1-line block ×3, first 2 shown]
	v_mov_b32_e32 v37, 0xb9c68948
	v_mov_b32_e32 v38, 0x7f800000
	s_mov_b32 s14, s6
	s_mov_b32 s15, s7
                                        ; implicit-def: $vgpr0
                                        ; implicit-def: $vgpr0
	;; [unrolled: 1-line block ×4, first 2 shown]
	s_branch .LBB562_3
.LBB562_2:                              ;   in Loop: Header=BB562_3 Depth=1
	s_or_b64 exec, exec, s[20:21]
	v_bfi_b32 v6, s31, v40, v6
	v_mul_f32_e32 v2, 0.5, v2
	v_add_f32_e32 v6, 1.0, v6
	v_mul_f32_e32 v2, v2, v6
	v_bfi_b32 v6, s31, v42, v41
	v_and_b32_e32 v45, 0xffff0000, v3
	v_lshlrev_b32_e32 v44, 16, v3
	v_mul_f32_e32 v3, 0.5, v7
	v_add_f32_e32 v6, 1.0, v6
	v_mul_f32_e32 v3, v3, v6
	;;#ASMSTART
	v_pk_mul_f32 v[2:3], v[2:3], v[44:45]
	;;#ASMEND
	s_load_dword s18, s[0:1], 0xc
	v_perm_b32 v27, v27, v26, s33
	v_perm_b32 v26, v29, v28, s33
	;; [unrolled: 1-line block ×4, first 2 shown]
	s_waitcnt lgkmcnt(0)
	s_and_b32 s18, s18, 0xffff
	s_lshl_b32 s18, s18, 5
	v_lshl_add_u64 v[32:33], s[18:19], 0, v[32:33]
	v_cmp_le_i64_e32 vcc, s[16:17], v[32:33]
	v_perm_b32 v19, v19, v18, s33
	v_perm_b32 v18, v21, v20, s33
	;; [unrolled: 1-line block ×12, first 2 shown]
	s_or_b64 s[2:3], vcc, s[2:3]
	buffer_store_dwordx4 v[24:27], v39, s[12:15], 0 offen
	buffer_store_dwordx4 v[16:19], v39, s[12:15], 16 offen
	;; [unrolled: 1-line block ×4, first 2 shown]
	s_andn2_b64 exec, exec, s[2:3]
	s_cbranch_execz .LBB562_131
.LBB562_3:                              ; =>This Inner Loop Header: Depth=1
	v_lshlrev_b32_e32 v39, 1, v32
	buffer_load_dwordx4 v[28:31], v39, s[4:7], 0 offen sc0 nt
	buffer_load_dwordx4 v[20:23], v39, s[4:7], 16 offen sc0 nt
	;; [unrolled: 1-line block ×8, first 2 shown]
                                        ; implicit-def: $vgpr40
	s_waitcnt vmcnt(7)
	v_lshlrev_b32_e32 v34, 16, v28
	v_mul_f32_e32 v35, 0x3f3504f3, v34
	v_cmp_nlt_f32_e64 s[20:21], |v35|, 1.0
	s_and_saveexec_b64 s[34:35], s[20:21]
	s_xor_b64 s[20:21], exec, s[34:35]
	s_cbranch_execz .LBB562_5
; %bb.4:                                ;   in Loop: Header=BB562_3 Depth=1
	v_fma_f32 v40, |v35|, s22, v37
	v_fma_f32 v40, |v35|, v40, s23
	;; [unrolled: 1-line block ×6, first 2 shown]
	v_fma_f32 v40, |v35|, v40, |v35|
	v_mul_f32_e32 v41, 0xbfb8aa3b, v40
	v_fma_f32 v42, v40, s28, -v41
	v_rndne_f32_e32 v43, v41
	v_fmac_f32_e32 v42, 0xb2a5705f, v40
	v_sub_f32_e32 v41, v41, v43
	v_add_f32_e32 v41, v41, v42
	v_cvt_i32_f32_e32 v42, v43
	v_exp_f32_e32 v41, v41
	v_cmp_nlt_f32_e32 vcc, s29, v40
	v_ldexp_f32 v41, v41, v42
	s_nop 0
	v_cndmask_b32_e32 v41, 0, v41, vcc
	v_cmp_ngt_f32_e32 vcc, s30, v40
	s_nop 1
	v_cndmask_b32_e32 v40, v38, v41, vcc
	v_sub_f32_e32 v40, 1.0, v40
.LBB562_5:                              ;   in Loop: Header=BB562_3 Depth=1
	s_andn2_saveexec_b64 s[20:21], s[20:21]
; %bb.6:                                ;   in Loop: Header=BB562_3 Depth=1
	v_mul_f32_e32 v40, v35, v35
	v_fmamk_f32 v41, v40, 0xba1345e1, v36
	v_fmaak_f32 v41, v40, v41, 0xbcdac9b8
	v_fmaak_f32 v41, v40, v41, 0x3de703be
	;; [unrolled: 1-line block ×4, first 2 shown]
	v_fma_f32 v40, |v35|, v40, |v35|
; %bb.7:                                ;   in Loop: Header=BB562_3 Depth=1
	s_or_b64 exec, exec, s[20:21]
	v_and_b32_e32 v28, 0xffff0000, v28
	v_mul_f32_e32 v41, 0x3f3504f3, v28
	v_cmp_nlt_f32_e64 s[20:21], |v41|, 1.0
                                        ; implicit-def: $vgpr42
	s_and_saveexec_b64 s[34:35], s[20:21]
	s_xor_b64 s[20:21], exec, s[34:35]
	s_cbranch_execz .LBB562_9
; %bb.8:                                ;   in Loop: Header=BB562_3 Depth=1
	v_fma_f32 v42, |v41|, s22, v37
	v_fma_f32 v42, |v41|, v42, s23
	;; [unrolled: 1-line block ×6, first 2 shown]
	v_fma_f32 v42, |v41|, v42, |v41|
	v_mul_f32_e32 v43, 0xbfb8aa3b, v42
	v_fma_f32 v44, v42, s28, -v43
	v_rndne_f32_e32 v45, v43
	v_fmac_f32_e32 v44, 0xb2a5705f, v42
	v_sub_f32_e32 v43, v43, v45
	v_add_f32_e32 v43, v43, v44
	v_cvt_i32_f32_e32 v44, v45
	v_exp_f32_e32 v43, v43
	v_cmp_nlt_f32_e32 vcc, s29, v42
	v_ldexp_f32 v43, v43, v44
	s_nop 0
	v_cndmask_b32_e32 v43, 0, v43, vcc
	v_cmp_ngt_f32_e32 vcc, s30, v42
	s_nop 1
	v_cndmask_b32_e32 v42, v38, v43, vcc
	v_sub_f32_e32 v42, 1.0, v42
.LBB562_9:                              ;   in Loop: Header=BB562_3 Depth=1
	s_andn2_saveexec_b64 s[20:21], s[20:21]
; %bb.10:                               ;   in Loop: Header=BB562_3 Depth=1
	v_mul_f32_e32 v42, v41, v41
	v_fmamk_f32 v43, v42, 0xba1345e1, v36
	v_fmaak_f32 v43, v42, v43, 0xbcdac9b8
	v_fmaak_f32 v43, v42, v43, 0x3de703be
	;; [unrolled: 1-line block ×4, first 2 shown]
	v_fma_f32 v42, |v41|, v42, |v41|
; %bb.11:                               ;   in Loop: Header=BB562_3 Depth=1
	s_or_b64 exec, exec, s[20:21]
	v_bfi_b32 v35, s31, v40, v35
	s_waitcnt vmcnt(3)
	v_and_b32_e32 v45, 0xffff0000, v24
	v_lshlrev_b32_e32 v44, 16, v24
	v_mul_f32_e32 v24, 0.5, v28
	v_bfi_b32 v28, s31, v42, v41
	v_mul_f32_e32 v34, 0.5, v34
	v_add_f32_e32 v35, 1.0, v35
	v_add_f32_e32 v28, 1.0, v28
	v_mul_f32_e32 v34, v34, v35
	v_mul_f32_e32 v35, v24, v28
	v_lshlrev_b32_e32 v24, 16, v29
	v_mul_f32_e32 v28, 0x3f3504f3, v24
	v_cmp_nlt_f32_e64 s[20:21], |v28|, 1.0
	;;#ASMSTART
	v_pk_mul_f32 v[34:35], v[34:35], v[44:45]
	;;#ASMEND
                                        ; implicit-def: $vgpr40
	s_and_saveexec_b64 s[34:35], s[20:21]
	s_xor_b64 s[20:21], exec, s[34:35]
	s_cbranch_execz .LBB562_13
; %bb.12:                               ;   in Loop: Header=BB562_3 Depth=1
	v_fma_f32 v40, |v28|, s22, v37
	v_fma_f32 v40, |v28|, v40, s23
	;; [unrolled: 1-line block ×6, first 2 shown]
	v_fma_f32 v40, |v28|, v40, |v28|
	v_mul_f32_e32 v41, 0xbfb8aa3b, v40
	v_fma_f32 v42, v40, s28, -v41
	v_rndne_f32_e32 v43, v41
	v_fmac_f32_e32 v42, 0xb2a5705f, v40
	v_sub_f32_e32 v41, v41, v43
	v_add_f32_e32 v41, v41, v42
	v_cvt_i32_f32_e32 v42, v43
	v_exp_f32_e32 v41, v41
	v_cmp_nlt_f32_e32 vcc, s29, v40
	v_ldexp_f32 v41, v41, v42
	s_nop 0
	v_cndmask_b32_e32 v41, 0, v41, vcc
	v_cmp_ngt_f32_e32 vcc, s30, v40
	s_nop 1
	v_cndmask_b32_e32 v40, v38, v41, vcc
	v_sub_f32_e32 v40, 1.0, v40
.LBB562_13:                             ;   in Loop: Header=BB562_3 Depth=1
	s_andn2_saveexec_b64 s[20:21], s[20:21]
; %bb.14:                               ;   in Loop: Header=BB562_3 Depth=1
	v_mul_f32_e32 v40, v28, v28
	v_fmamk_f32 v41, v40, 0xba1345e1, v36
	v_fmaak_f32 v41, v40, v41, 0xbcdac9b8
	v_fmaak_f32 v41, v40, v41, 0x3de703be
	;; [unrolled: 1-line block ×4, first 2 shown]
	v_fma_f32 v40, |v28|, v40, |v28|
; %bb.15:                               ;   in Loop: Header=BB562_3 Depth=1
	s_or_b64 exec, exec, s[20:21]
	v_and_b32_e32 v29, 0xffff0000, v29
	v_mul_f32_e32 v41, 0x3f3504f3, v29
	v_cmp_nlt_f32_e64 s[20:21], |v41|, 1.0
                                        ; implicit-def: $vgpr42
	s_and_saveexec_b64 s[34:35], s[20:21]
	s_xor_b64 s[20:21], exec, s[34:35]
	s_cbranch_execz .LBB562_17
; %bb.16:                               ;   in Loop: Header=BB562_3 Depth=1
	v_fma_f32 v42, |v41|, s22, v37
	v_fma_f32 v42, |v41|, v42, s23
	;; [unrolled: 1-line block ×6, first 2 shown]
	v_fma_f32 v42, |v41|, v42, |v41|
	v_mul_f32_e32 v43, 0xbfb8aa3b, v42
	v_fma_f32 v44, v42, s28, -v43
	v_rndne_f32_e32 v45, v43
	v_fmac_f32_e32 v44, 0xb2a5705f, v42
	v_sub_f32_e32 v43, v43, v45
	v_add_f32_e32 v43, v43, v44
	v_cvt_i32_f32_e32 v44, v45
	v_exp_f32_e32 v43, v43
	v_cmp_nlt_f32_e32 vcc, s29, v42
	v_ldexp_f32 v43, v43, v44
	s_nop 0
	v_cndmask_b32_e32 v43, 0, v43, vcc
	v_cmp_ngt_f32_e32 vcc, s30, v42
	s_nop 1
	v_cndmask_b32_e32 v42, v38, v43, vcc
	v_sub_f32_e32 v42, 1.0, v42
.LBB562_17:                             ;   in Loop: Header=BB562_3 Depth=1
	s_andn2_saveexec_b64 s[20:21], s[20:21]
; %bb.18:                               ;   in Loop: Header=BB562_3 Depth=1
	v_mul_f32_e32 v42, v41, v41
	v_fmamk_f32 v43, v42, 0xba1345e1, v36
	v_fmaak_f32 v43, v42, v43, 0xbcdac9b8
	v_fmaak_f32 v43, v42, v43, 0x3de703be
	;; [unrolled: 1-line block ×4, first 2 shown]
	v_fma_f32 v42, |v41|, v42, |v41|
; %bb.19:                               ;   in Loop: Header=BB562_3 Depth=1
	s_or_b64 exec, exec, s[20:21]
	v_bfi_b32 v28, s31, v40, v28
	v_mul_f32_e32 v24, 0.5, v24
	v_add_f32_e32 v28, 1.0, v28
	v_mul_f32_e32 v24, v24, v28
	v_bfi_b32 v28, s31, v42, v41
	v_and_b32_e32 v45, 0xffff0000, v25
	v_lshlrev_b32_e32 v44, 16, v25
	v_mul_f32_e32 v25, 0.5, v29
	v_add_f32_e32 v28, 1.0, v28
	v_mul_f32_e32 v25, v25, v28
	v_lshlrev_b32_e32 v28, 16, v30
	v_mul_f32_e32 v29, 0x3f3504f3, v28
	v_cmp_nlt_f32_e64 s[20:21], |v29|, 1.0
	;;#ASMSTART
	v_pk_mul_f32 v[24:25], v[24:25], v[44:45]
	;;#ASMEND
                                        ; implicit-def: $vgpr40
	s_and_saveexec_b64 s[34:35], s[20:21]
	s_xor_b64 s[20:21], exec, s[34:35]
	s_cbranch_execz .LBB562_21
; %bb.20:                               ;   in Loop: Header=BB562_3 Depth=1
	v_fma_f32 v40, |v29|, s22, v37
	v_fma_f32 v40, |v29|, v40, s23
	;; [unrolled: 1-line block ×6, first 2 shown]
	v_fma_f32 v40, |v29|, v40, |v29|
	v_mul_f32_e32 v41, 0xbfb8aa3b, v40
	v_fma_f32 v42, v40, s28, -v41
	v_rndne_f32_e32 v43, v41
	v_fmac_f32_e32 v42, 0xb2a5705f, v40
	v_sub_f32_e32 v41, v41, v43
	v_add_f32_e32 v41, v41, v42
	v_cvt_i32_f32_e32 v42, v43
	v_exp_f32_e32 v41, v41
	v_cmp_nlt_f32_e32 vcc, s29, v40
	v_ldexp_f32 v41, v41, v42
	s_nop 0
	v_cndmask_b32_e32 v41, 0, v41, vcc
	v_cmp_ngt_f32_e32 vcc, s30, v40
	s_nop 1
	v_cndmask_b32_e32 v40, v38, v41, vcc
	v_sub_f32_e32 v40, 1.0, v40
.LBB562_21:                             ;   in Loop: Header=BB562_3 Depth=1
	s_andn2_saveexec_b64 s[20:21], s[20:21]
; %bb.22:                               ;   in Loop: Header=BB562_3 Depth=1
	v_mul_f32_e32 v40, v29, v29
	v_fmamk_f32 v41, v40, 0xba1345e1, v36
	v_fmaak_f32 v41, v40, v41, 0xbcdac9b8
	v_fmaak_f32 v41, v40, v41, 0x3de703be
	;; [unrolled: 1-line block ×4, first 2 shown]
	v_fma_f32 v40, |v29|, v40, |v29|
; %bb.23:                               ;   in Loop: Header=BB562_3 Depth=1
	s_or_b64 exec, exec, s[20:21]
	v_and_b32_e32 v30, 0xffff0000, v30
	v_mul_f32_e32 v41, 0x3f3504f3, v30
	v_cmp_nlt_f32_e64 s[20:21], |v41|, 1.0
                                        ; implicit-def: $vgpr42
	s_and_saveexec_b64 s[34:35], s[20:21]
	s_xor_b64 s[20:21], exec, s[34:35]
	s_cbranch_execz .LBB562_25
; %bb.24:                               ;   in Loop: Header=BB562_3 Depth=1
	v_fma_f32 v42, |v41|, s22, v37
	v_fma_f32 v42, |v41|, v42, s23
	;; [unrolled: 1-line block ×6, first 2 shown]
	v_fma_f32 v42, |v41|, v42, |v41|
	v_mul_f32_e32 v43, 0xbfb8aa3b, v42
	v_fma_f32 v44, v42, s28, -v43
	v_rndne_f32_e32 v45, v43
	v_fmac_f32_e32 v44, 0xb2a5705f, v42
	v_sub_f32_e32 v43, v43, v45
	v_add_f32_e32 v43, v43, v44
	v_cvt_i32_f32_e32 v44, v45
	v_exp_f32_e32 v43, v43
	v_cmp_nlt_f32_e32 vcc, s29, v42
	v_ldexp_f32 v43, v43, v44
	s_nop 0
	v_cndmask_b32_e32 v43, 0, v43, vcc
	v_cmp_ngt_f32_e32 vcc, s30, v42
	s_nop 1
	v_cndmask_b32_e32 v42, v38, v43, vcc
	v_sub_f32_e32 v42, 1.0, v42
.LBB562_25:                             ;   in Loop: Header=BB562_3 Depth=1
	s_andn2_saveexec_b64 s[20:21], s[20:21]
; %bb.26:                               ;   in Loop: Header=BB562_3 Depth=1
	v_mul_f32_e32 v42, v41, v41
	v_fmamk_f32 v43, v42, 0xba1345e1, v36
	v_fmaak_f32 v43, v42, v43, 0xbcdac9b8
	v_fmaak_f32 v43, v42, v43, 0x3de703be
	;; [unrolled: 1-line block ×4, first 2 shown]
	v_fma_f32 v42, |v41|, v42, |v41|
; %bb.27:                               ;   in Loop: Header=BB562_3 Depth=1
	s_or_b64 exec, exec, s[20:21]
	v_bfi_b32 v29, s31, v40, v29
	v_mul_f32_e32 v28, 0.5, v28
	v_add_f32_e32 v29, 1.0, v29
	v_mul_f32_e32 v28, v28, v29
	v_bfi_b32 v29, s31, v42, v41
	v_and_b32_e32 v45, 0xffff0000, v26
	v_lshlrev_b32_e32 v44, 16, v26
	v_mul_f32_e32 v26, 0.5, v30
	v_add_f32_e32 v29, 1.0, v29
	v_mul_f32_e32 v29, v26, v29
	v_lshlrev_b32_e32 v26, 16, v31
	v_mul_f32_e32 v30, 0x3f3504f3, v26
	v_cmp_nlt_f32_e64 s[20:21], |v30|, 1.0
	;;#ASMSTART
	v_pk_mul_f32 v[28:29], v[28:29], v[44:45]
	;;#ASMEND
                                        ; implicit-def: $vgpr40
	s_and_saveexec_b64 s[34:35], s[20:21]
	s_xor_b64 s[20:21], exec, s[34:35]
	s_cbranch_execz .LBB562_29
; %bb.28:                               ;   in Loop: Header=BB562_3 Depth=1
	v_fma_f32 v40, |v30|, s22, v37
	v_fma_f32 v40, |v30|, v40, s23
	;; [unrolled: 1-line block ×6, first 2 shown]
	v_fma_f32 v40, |v30|, v40, |v30|
	v_mul_f32_e32 v41, 0xbfb8aa3b, v40
	v_fma_f32 v42, v40, s28, -v41
	v_rndne_f32_e32 v43, v41
	v_fmac_f32_e32 v42, 0xb2a5705f, v40
	v_sub_f32_e32 v41, v41, v43
	v_add_f32_e32 v41, v41, v42
	v_cvt_i32_f32_e32 v42, v43
	v_exp_f32_e32 v41, v41
	v_cmp_nlt_f32_e32 vcc, s29, v40
	v_ldexp_f32 v41, v41, v42
	s_nop 0
	v_cndmask_b32_e32 v41, 0, v41, vcc
	v_cmp_ngt_f32_e32 vcc, s30, v40
	s_nop 1
	v_cndmask_b32_e32 v40, v38, v41, vcc
	v_sub_f32_e32 v40, 1.0, v40
.LBB562_29:                             ;   in Loop: Header=BB562_3 Depth=1
	s_andn2_saveexec_b64 s[20:21], s[20:21]
; %bb.30:                               ;   in Loop: Header=BB562_3 Depth=1
	v_mul_f32_e32 v40, v30, v30
	v_fmamk_f32 v41, v40, 0xba1345e1, v36
	v_fmaak_f32 v41, v40, v41, 0xbcdac9b8
	v_fmaak_f32 v41, v40, v41, 0x3de703be
	;; [unrolled: 1-line block ×4, first 2 shown]
	v_fma_f32 v40, |v30|, v40, |v30|
; %bb.31:                               ;   in Loop: Header=BB562_3 Depth=1
	s_or_b64 exec, exec, s[20:21]
	v_and_b32_e32 v31, 0xffff0000, v31
	v_mul_f32_e32 v41, 0x3f3504f3, v31
	v_cmp_nlt_f32_e64 s[20:21], |v41|, 1.0
                                        ; implicit-def: $vgpr42
	s_and_saveexec_b64 s[34:35], s[20:21]
	s_xor_b64 s[20:21], exec, s[34:35]
	s_cbranch_execz .LBB562_33
; %bb.32:                               ;   in Loop: Header=BB562_3 Depth=1
	v_fma_f32 v42, |v41|, s22, v37
	v_fma_f32 v42, |v41|, v42, s23
	;; [unrolled: 1-line block ×6, first 2 shown]
	v_fma_f32 v42, |v41|, v42, |v41|
	v_mul_f32_e32 v43, 0xbfb8aa3b, v42
	v_fma_f32 v44, v42, s28, -v43
	v_rndne_f32_e32 v45, v43
	v_fmac_f32_e32 v44, 0xb2a5705f, v42
	v_sub_f32_e32 v43, v43, v45
	v_add_f32_e32 v43, v43, v44
	v_cvt_i32_f32_e32 v44, v45
	v_exp_f32_e32 v43, v43
	v_cmp_nlt_f32_e32 vcc, s29, v42
	v_ldexp_f32 v43, v43, v44
	s_nop 0
	v_cndmask_b32_e32 v43, 0, v43, vcc
	v_cmp_ngt_f32_e32 vcc, s30, v42
	s_nop 1
	v_cndmask_b32_e32 v42, v38, v43, vcc
	v_sub_f32_e32 v42, 1.0, v42
.LBB562_33:                             ;   in Loop: Header=BB562_3 Depth=1
	s_andn2_saveexec_b64 s[20:21], s[20:21]
; %bb.34:                               ;   in Loop: Header=BB562_3 Depth=1
	v_mul_f32_e32 v42, v41, v41
	v_fmamk_f32 v43, v42, 0xba1345e1, v36
	v_fmaak_f32 v43, v42, v43, 0xbcdac9b8
	v_fmaak_f32 v43, v42, v43, 0x3de703be
	;; [unrolled: 1-line block ×4, first 2 shown]
	v_fma_f32 v42, |v41|, v42, |v41|
; %bb.35:                               ;   in Loop: Header=BB562_3 Depth=1
	s_or_b64 exec, exec, s[20:21]
	v_bfi_b32 v30, s31, v40, v30
	v_mul_f32_e32 v26, 0.5, v26
	v_add_f32_e32 v30, 1.0, v30
	v_mul_f32_e32 v26, v26, v30
	v_bfi_b32 v30, s31, v42, v41
	v_and_b32_e32 v45, 0xffff0000, v27
	v_lshlrev_b32_e32 v44, 16, v27
	v_mul_f32_e32 v27, 0.5, v31
	v_add_f32_e32 v30, 1.0, v30
	v_mul_f32_e32 v27, v27, v30
	v_lshlrev_b32_e32 v30, 16, v20
	v_mul_f32_e32 v31, 0x3f3504f3, v30
	v_cmp_nlt_f32_e64 s[20:21], |v31|, 1.0
	;;#ASMSTART
	v_pk_mul_f32 v[26:27], v[26:27], v[44:45]
	;;#ASMEND
                                        ; implicit-def: $vgpr40
	s_and_saveexec_b64 s[34:35], s[20:21]
	s_xor_b64 s[20:21], exec, s[34:35]
	s_cbranch_execz .LBB562_37
; %bb.36:                               ;   in Loop: Header=BB562_3 Depth=1
	v_fma_f32 v40, |v31|, s22, v37
	v_fma_f32 v40, |v31|, v40, s23
	;; [unrolled: 1-line block ×6, first 2 shown]
	v_fma_f32 v40, |v31|, v40, |v31|
	v_mul_f32_e32 v41, 0xbfb8aa3b, v40
	v_fma_f32 v42, v40, s28, -v41
	v_rndne_f32_e32 v43, v41
	v_fmac_f32_e32 v42, 0xb2a5705f, v40
	v_sub_f32_e32 v41, v41, v43
	v_add_f32_e32 v41, v41, v42
	v_cvt_i32_f32_e32 v42, v43
	v_exp_f32_e32 v41, v41
	v_cmp_nlt_f32_e32 vcc, s29, v40
	v_ldexp_f32 v41, v41, v42
	s_nop 0
	v_cndmask_b32_e32 v41, 0, v41, vcc
	v_cmp_ngt_f32_e32 vcc, s30, v40
	s_nop 1
	v_cndmask_b32_e32 v40, v38, v41, vcc
	v_sub_f32_e32 v40, 1.0, v40
.LBB562_37:                             ;   in Loop: Header=BB562_3 Depth=1
	s_andn2_saveexec_b64 s[20:21], s[20:21]
; %bb.38:                               ;   in Loop: Header=BB562_3 Depth=1
	v_mul_f32_e32 v40, v31, v31
	v_fmamk_f32 v41, v40, 0xba1345e1, v36
	v_fmaak_f32 v41, v40, v41, 0xbcdac9b8
	v_fmaak_f32 v41, v40, v41, 0x3de703be
	;; [unrolled: 1-line block ×4, first 2 shown]
	v_fma_f32 v40, |v31|, v40, |v31|
; %bb.39:                               ;   in Loop: Header=BB562_3 Depth=1
	s_or_b64 exec, exec, s[20:21]
	v_and_b32_e32 v20, 0xffff0000, v20
	v_mul_f32_e32 v41, 0x3f3504f3, v20
	v_cmp_nlt_f32_e64 s[20:21], |v41|, 1.0
                                        ; implicit-def: $vgpr42
	s_and_saveexec_b64 s[34:35], s[20:21]
	s_xor_b64 s[20:21], exec, s[34:35]
	s_cbranch_execz .LBB562_41
; %bb.40:                               ;   in Loop: Header=BB562_3 Depth=1
	v_fma_f32 v42, |v41|, s22, v37
	v_fma_f32 v42, |v41|, v42, s23
	;; [unrolled: 1-line block ×6, first 2 shown]
	v_fma_f32 v42, |v41|, v42, |v41|
	v_mul_f32_e32 v43, 0xbfb8aa3b, v42
	v_fma_f32 v44, v42, s28, -v43
	v_rndne_f32_e32 v45, v43
	v_fmac_f32_e32 v44, 0xb2a5705f, v42
	v_sub_f32_e32 v43, v43, v45
	v_add_f32_e32 v43, v43, v44
	v_cvt_i32_f32_e32 v44, v45
	v_exp_f32_e32 v43, v43
	v_cmp_nlt_f32_e32 vcc, s29, v42
	v_ldexp_f32 v43, v43, v44
	s_nop 0
	v_cndmask_b32_e32 v43, 0, v43, vcc
	v_cmp_ngt_f32_e32 vcc, s30, v42
	s_nop 1
	v_cndmask_b32_e32 v42, v38, v43, vcc
	v_sub_f32_e32 v42, 1.0, v42
.LBB562_41:                             ;   in Loop: Header=BB562_3 Depth=1
	s_andn2_saveexec_b64 s[20:21], s[20:21]
; %bb.42:                               ;   in Loop: Header=BB562_3 Depth=1
	v_mul_f32_e32 v42, v41, v41
	v_fmamk_f32 v43, v42, 0xba1345e1, v36
	v_fmaak_f32 v43, v42, v43, 0xbcdac9b8
	v_fmaak_f32 v43, v42, v43, 0x3de703be
	;; [unrolled: 1-line block ×4, first 2 shown]
	v_fma_f32 v42, |v41|, v42, |v41|
; %bb.43:                               ;   in Loop: Header=BB562_3 Depth=1
	s_or_b64 exec, exec, s[20:21]
	v_bfi_b32 v31, s31, v40, v31
	s_waitcnt vmcnt(2)
	v_and_b32_e32 v45, 0xffff0000, v16
	v_lshlrev_b32_e32 v44, 16, v16
	v_mul_f32_e32 v16, 0.5, v20
	v_bfi_b32 v20, s31, v42, v41
	v_mul_f32_e32 v30, 0.5, v30
	v_add_f32_e32 v31, 1.0, v31
	v_add_f32_e32 v20, 1.0, v20
	v_mul_f32_e32 v30, v30, v31
	v_mul_f32_e32 v31, v16, v20
	v_lshlrev_b32_e32 v16, 16, v21
	v_mul_f32_e32 v20, 0x3f3504f3, v16
	v_cmp_nlt_f32_e64 s[20:21], |v20|, 1.0
	;;#ASMSTART
	v_pk_mul_f32 v[30:31], v[30:31], v[44:45]
	;;#ASMEND
                                        ; implicit-def: $vgpr40
	s_and_saveexec_b64 s[34:35], s[20:21]
	s_xor_b64 s[20:21], exec, s[34:35]
	s_cbranch_execz .LBB562_45
; %bb.44:                               ;   in Loop: Header=BB562_3 Depth=1
	v_fma_f32 v40, |v20|, s22, v37
	v_fma_f32 v40, |v20|, v40, s23
	;; [unrolled: 1-line block ×6, first 2 shown]
	v_fma_f32 v40, |v20|, v40, |v20|
	v_mul_f32_e32 v41, 0xbfb8aa3b, v40
	v_fma_f32 v42, v40, s28, -v41
	v_rndne_f32_e32 v43, v41
	v_fmac_f32_e32 v42, 0xb2a5705f, v40
	v_sub_f32_e32 v41, v41, v43
	v_add_f32_e32 v41, v41, v42
	v_cvt_i32_f32_e32 v42, v43
	v_exp_f32_e32 v41, v41
	v_cmp_nlt_f32_e32 vcc, s29, v40
	v_ldexp_f32 v41, v41, v42
	s_nop 0
	v_cndmask_b32_e32 v41, 0, v41, vcc
	v_cmp_ngt_f32_e32 vcc, s30, v40
	s_nop 1
	v_cndmask_b32_e32 v40, v38, v41, vcc
	v_sub_f32_e32 v40, 1.0, v40
.LBB562_45:                             ;   in Loop: Header=BB562_3 Depth=1
	s_andn2_saveexec_b64 s[20:21], s[20:21]
; %bb.46:                               ;   in Loop: Header=BB562_3 Depth=1
	v_mul_f32_e32 v40, v20, v20
	v_fmamk_f32 v41, v40, 0xba1345e1, v36
	v_fmaak_f32 v41, v40, v41, 0xbcdac9b8
	v_fmaak_f32 v41, v40, v41, 0x3de703be
	;; [unrolled: 1-line block ×4, first 2 shown]
	v_fma_f32 v40, |v20|, v40, |v20|
; %bb.47:                               ;   in Loop: Header=BB562_3 Depth=1
	s_or_b64 exec, exec, s[20:21]
	v_and_b32_e32 v21, 0xffff0000, v21
	v_mul_f32_e32 v41, 0x3f3504f3, v21
	v_cmp_nlt_f32_e64 s[20:21], |v41|, 1.0
                                        ; implicit-def: $vgpr42
	s_and_saveexec_b64 s[34:35], s[20:21]
	s_xor_b64 s[20:21], exec, s[34:35]
	s_cbranch_execz .LBB562_49
; %bb.48:                               ;   in Loop: Header=BB562_3 Depth=1
	v_fma_f32 v42, |v41|, s22, v37
	v_fma_f32 v42, |v41|, v42, s23
	;; [unrolled: 1-line block ×6, first 2 shown]
	v_fma_f32 v42, |v41|, v42, |v41|
	v_mul_f32_e32 v43, 0xbfb8aa3b, v42
	v_fma_f32 v44, v42, s28, -v43
	v_rndne_f32_e32 v45, v43
	v_fmac_f32_e32 v44, 0xb2a5705f, v42
	v_sub_f32_e32 v43, v43, v45
	v_add_f32_e32 v43, v43, v44
	v_cvt_i32_f32_e32 v44, v45
	v_exp_f32_e32 v43, v43
	v_cmp_nlt_f32_e32 vcc, s29, v42
	v_ldexp_f32 v43, v43, v44
	s_nop 0
	v_cndmask_b32_e32 v43, 0, v43, vcc
	v_cmp_ngt_f32_e32 vcc, s30, v42
	s_nop 1
	v_cndmask_b32_e32 v42, v38, v43, vcc
	v_sub_f32_e32 v42, 1.0, v42
.LBB562_49:                             ;   in Loop: Header=BB562_3 Depth=1
	s_andn2_saveexec_b64 s[20:21], s[20:21]
; %bb.50:                               ;   in Loop: Header=BB562_3 Depth=1
	v_mul_f32_e32 v42, v41, v41
	v_fmamk_f32 v43, v42, 0xba1345e1, v36
	v_fmaak_f32 v43, v42, v43, 0xbcdac9b8
	v_fmaak_f32 v43, v42, v43, 0x3de703be
	;; [unrolled: 1-line block ×4, first 2 shown]
	v_fma_f32 v42, |v41|, v42, |v41|
; %bb.51:                               ;   in Loop: Header=BB562_3 Depth=1
	s_or_b64 exec, exec, s[20:21]
	v_bfi_b32 v20, s31, v40, v20
	v_mul_f32_e32 v16, 0.5, v16
	v_add_f32_e32 v20, 1.0, v20
	v_mul_f32_e32 v16, v16, v20
	v_bfi_b32 v20, s31, v42, v41
	v_and_b32_e32 v45, 0xffff0000, v17
	v_lshlrev_b32_e32 v44, 16, v17
	v_mul_f32_e32 v17, 0.5, v21
	v_add_f32_e32 v20, 1.0, v20
	v_mul_f32_e32 v17, v17, v20
	v_lshlrev_b32_e32 v20, 16, v22
	v_mul_f32_e32 v21, 0x3f3504f3, v20
	v_cmp_nlt_f32_e64 s[20:21], |v21|, 1.0
	;;#ASMSTART
	v_pk_mul_f32 v[16:17], v[16:17], v[44:45]
	;;#ASMEND
                                        ; implicit-def: $vgpr40
	s_and_saveexec_b64 s[34:35], s[20:21]
	s_xor_b64 s[20:21], exec, s[34:35]
	s_cbranch_execz .LBB562_53
; %bb.52:                               ;   in Loop: Header=BB562_3 Depth=1
	v_fma_f32 v40, |v21|, s22, v37
	v_fma_f32 v40, |v21|, v40, s23
	;; [unrolled: 1-line block ×6, first 2 shown]
	v_fma_f32 v40, |v21|, v40, |v21|
	v_mul_f32_e32 v41, 0xbfb8aa3b, v40
	v_fma_f32 v42, v40, s28, -v41
	v_rndne_f32_e32 v43, v41
	v_fmac_f32_e32 v42, 0xb2a5705f, v40
	v_sub_f32_e32 v41, v41, v43
	v_add_f32_e32 v41, v41, v42
	v_cvt_i32_f32_e32 v42, v43
	v_exp_f32_e32 v41, v41
	v_cmp_nlt_f32_e32 vcc, s29, v40
	v_ldexp_f32 v41, v41, v42
	s_nop 0
	v_cndmask_b32_e32 v41, 0, v41, vcc
	v_cmp_ngt_f32_e32 vcc, s30, v40
	s_nop 1
	v_cndmask_b32_e32 v40, v38, v41, vcc
	v_sub_f32_e32 v40, 1.0, v40
.LBB562_53:                             ;   in Loop: Header=BB562_3 Depth=1
	s_andn2_saveexec_b64 s[20:21], s[20:21]
; %bb.54:                               ;   in Loop: Header=BB562_3 Depth=1
	v_mul_f32_e32 v40, v21, v21
	v_fmamk_f32 v41, v40, 0xba1345e1, v36
	v_fmaak_f32 v41, v40, v41, 0xbcdac9b8
	v_fmaak_f32 v41, v40, v41, 0x3de703be
	;; [unrolled: 1-line block ×4, first 2 shown]
	v_fma_f32 v40, |v21|, v40, |v21|
; %bb.55:                               ;   in Loop: Header=BB562_3 Depth=1
	s_or_b64 exec, exec, s[20:21]
	v_and_b32_e32 v22, 0xffff0000, v22
	v_mul_f32_e32 v41, 0x3f3504f3, v22
	v_cmp_nlt_f32_e64 s[20:21], |v41|, 1.0
                                        ; implicit-def: $vgpr42
	s_and_saveexec_b64 s[34:35], s[20:21]
	s_xor_b64 s[20:21], exec, s[34:35]
	s_cbranch_execz .LBB562_57
; %bb.56:                               ;   in Loop: Header=BB562_3 Depth=1
	v_fma_f32 v42, |v41|, s22, v37
	v_fma_f32 v42, |v41|, v42, s23
	;; [unrolled: 1-line block ×6, first 2 shown]
	v_fma_f32 v42, |v41|, v42, |v41|
	v_mul_f32_e32 v43, 0xbfb8aa3b, v42
	v_fma_f32 v44, v42, s28, -v43
	v_rndne_f32_e32 v45, v43
	v_fmac_f32_e32 v44, 0xb2a5705f, v42
	v_sub_f32_e32 v43, v43, v45
	v_add_f32_e32 v43, v43, v44
	v_cvt_i32_f32_e32 v44, v45
	v_exp_f32_e32 v43, v43
	v_cmp_nlt_f32_e32 vcc, s29, v42
	v_ldexp_f32 v43, v43, v44
	s_nop 0
	v_cndmask_b32_e32 v43, 0, v43, vcc
	v_cmp_ngt_f32_e32 vcc, s30, v42
	s_nop 1
	v_cndmask_b32_e32 v42, v38, v43, vcc
	v_sub_f32_e32 v42, 1.0, v42
.LBB562_57:                             ;   in Loop: Header=BB562_3 Depth=1
	s_andn2_saveexec_b64 s[20:21], s[20:21]
; %bb.58:                               ;   in Loop: Header=BB562_3 Depth=1
	v_mul_f32_e32 v42, v41, v41
	v_fmamk_f32 v43, v42, 0xba1345e1, v36
	v_fmaak_f32 v43, v42, v43, 0xbcdac9b8
	v_fmaak_f32 v43, v42, v43, 0x3de703be
	;; [unrolled: 1-line block ×4, first 2 shown]
	v_fma_f32 v42, |v41|, v42, |v41|
; %bb.59:                               ;   in Loop: Header=BB562_3 Depth=1
	s_or_b64 exec, exec, s[20:21]
	v_bfi_b32 v21, s31, v40, v21
	v_mul_f32_e32 v20, 0.5, v20
	v_add_f32_e32 v21, 1.0, v21
	v_mul_f32_e32 v20, v20, v21
	v_bfi_b32 v21, s31, v42, v41
	v_and_b32_e32 v45, 0xffff0000, v18
	v_lshlrev_b32_e32 v44, 16, v18
	v_mul_f32_e32 v18, 0.5, v22
	v_add_f32_e32 v21, 1.0, v21
	v_mul_f32_e32 v21, v18, v21
	v_lshlrev_b32_e32 v18, 16, v23
	v_mul_f32_e32 v22, 0x3f3504f3, v18
	v_cmp_nlt_f32_e64 s[20:21], |v22|, 1.0
	;;#ASMSTART
	v_pk_mul_f32 v[20:21], v[20:21], v[44:45]
	;;#ASMEND
                                        ; implicit-def: $vgpr40
	s_and_saveexec_b64 s[34:35], s[20:21]
	s_xor_b64 s[20:21], exec, s[34:35]
	s_cbranch_execz .LBB562_61
; %bb.60:                               ;   in Loop: Header=BB562_3 Depth=1
	v_fma_f32 v40, |v22|, s22, v37
	v_fma_f32 v40, |v22|, v40, s23
	;; [unrolled: 1-line block ×6, first 2 shown]
	v_fma_f32 v40, |v22|, v40, |v22|
	v_mul_f32_e32 v41, 0xbfb8aa3b, v40
	v_fma_f32 v42, v40, s28, -v41
	v_rndne_f32_e32 v43, v41
	v_fmac_f32_e32 v42, 0xb2a5705f, v40
	v_sub_f32_e32 v41, v41, v43
	v_add_f32_e32 v41, v41, v42
	v_cvt_i32_f32_e32 v42, v43
	v_exp_f32_e32 v41, v41
	v_cmp_nlt_f32_e32 vcc, s29, v40
	v_ldexp_f32 v41, v41, v42
	s_nop 0
	v_cndmask_b32_e32 v41, 0, v41, vcc
	v_cmp_ngt_f32_e32 vcc, s30, v40
	s_nop 1
	v_cndmask_b32_e32 v40, v38, v41, vcc
	v_sub_f32_e32 v40, 1.0, v40
.LBB562_61:                             ;   in Loop: Header=BB562_3 Depth=1
	s_andn2_saveexec_b64 s[20:21], s[20:21]
; %bb.62:                               ;   in Loop: Header=BB562_3 Depth=1
	v_mul_f32_e32 v40, v22, v22
	v_fmamk_f32 v41, v40, 0xba1345e1, v36
	v_fmaak_f32 v41, v40, v41, 0xbcdac9b8
	v_fmaak_f32 v41, v40, v41, 0x3de703be
	;; [unrolled: 1-line block ×4, first 2 shown]
	v_fma_f32 v40, |v22|, v40, |v22|
; %bb.63:                               ;   in Loop: Header=BB562_3 Depth=1
	s_or_b64 exec, exec, s[20:21]
	v_and_b32_e32 v23, 0xffff0000, v23
	v_mul_f32_e32 v41, 0x3f3504f3, v23
	v_cmp_nlt_f32_e64 s[20:21], |v41|, 1.0
                                        ; implicit-def: $vgpr42
	s_and_saveexec_b64 s[34:35], s[20:21]
	s_xor_b64 s[20:21], exec, s[34:35]
	s_cbranch_execz .LBB562_65
; %bb.64:                               ;   in Loop: Header=BB562_3 Depth=1
	v_fma_f32 v42, |v41|, s22, v37
	v_fma_f32 v42, |v41|, v42, s23
	;; [unrolled: 1-line block ×6, first 2 shown]
	v_fma_f32 v42, |v41|, v42, |v41|
	v_mul_f32_e32 v43, 0xbfb8aa3b, v42
	v_fma_f32 v44, v42, s28, -v43
	v_rndne_f32_e32 v45, v43
	v_fmac_f32_e32 v44, 0xb2a5705f, v42
	v_sub_f32_e32 v43, v43, v45
	v_add_f32_e32 v43, v43, v44
	v_cvt_i32_f32_e32 v44, v45
	v_exp_f32_e32 v43, v43
	v_cmp_nlt_f32_e32 vcc, s29, v42
	v_ldexp_f32 v43, v43, v44
	s_nop 0
	v_cndmask_b32_e32 v43, 0, v43, vcc
	v_cmp_ngt_f32_e32 vcc, s30, v42
	s_nop 1
	v_cndmask_b32_e32 v42, v38, v43, vcc
	v_sub_f32_e32 v42, 1.0, v42
.LBB562_65:                             ;   in Loop: Header=BB562_3 Depth=1
	s_andn2_saveexec_b64 s[20:21], s[20:21]
; %bb.66:                               ;   in Loop: Header=BB562_3 Depth=1
	v_mul_f32_e32 v42, v41, v41
	v_fmamk_f32 v43, v42, 0xba1345e1, v36
	v_fmaak_f32 v43, v42, v43, 0xbcdac9b8
	v_fmaak_f32 v43, v42, v43, 0x3de703be
	;; [unrolled: 1-line block ×4, first 2 shown]
	v_fma_f32 v42, |v41|, v42, |v41|
; %bb.67:                               ;   in Loop: Header=BB562_3 Depth=1
	s_or_b64 exec, exec, s[20:21]
	v_bfi_b32 v22, s31, v40, v22
	v_mul_f32_e32 v18, 0.5, v18
	v_add_f32_e32 v22, 1.0, v22
	v_mul_f32_e32 v18, v18, v22
	v_bfi_b32 v22, s31, v42, v41
	v_and_b32_e32 v45, 0xffff0000, v19
	v_lshlrev_b32_e32 v44, 16, v19
	v_mul_f32_e32 v19, 0.5, v23
	v_add_f32_e32 v22, 1.0, v22
	v_mul_f32_e32 v19, v19, v22
	v_lshlrev_b32_e32 v22, 16, v12
	v_mul_f32_e32 v23, 0x3f3504f3, v22
	v_cmp_nlt_f32_e64 s[20:21], |v23|, 1.0
	;;#ASMSTART
	v_pk_mul_f32 v[18:19], v[18:19], v[44:45]
	;;#ASMEND
                                        ; implicit-def: $vgpr40
	s_and_saveexec_b64 s[34:35], s[20:21]
	s_xor_b64 s[20:21], exec, s[34:35]
	s_cbranch_execz .LBB562_69
; %bb.68:                               ;   in Loop: Header=BB562_3 Depth=1
	v_fma_f32 v40, |v23|, s22, v37
	v_fma_f32 v40, |v23|, v40, s23
	;; [unrolled: 1-line block ×6, first 2 shown]
	v_fma_f32 v40, |v23|, v40, |v23|
	v_mul_f32_e32 v41, 0xbfb8aa3b, v40
	v_fma_f32 v42, v40, s28, -v41
	v_rndne_f32_e32 v43, v41
	v_fmac_f32_e32 v42, 0xb2a5705f, v40
	v_sub_f32_e32 v41, v41, v43
	v_add_f32_e32 v41, v41, v42
	v_cvt_i32_f32_e32 v42, v43
	v_exp_f32_e32 v41, v41
	v_cmp_nlt_f32_e32 vcc, s29, v40
	v_ldexp_f32 v41, v41, v42
	s_nop 0
	v_cndmask_b32_e32 v41, 0, v41, vcc
	v_cmp_ngt_f32_e32 vcc, s30, v40
	s_nop 1
	v_cndmask_b32_e32 v40, v38, v41, vcc
	v_sub_f32_e32 v40, 1.0, v40
.LBB562_69:                             ;   in Loop: Header=BB562_3 Depth=1
	s_andn2_saveexec_b64 s[20:21], s[20:21]
; %bb.70:                               ;   in Loop: Header=BB562_3 Depth=1
	v_mul_f32_e32 v40, v23, v23
	v_fmamk_f32 v41, v40, 0xba1345e1, v36
	v_fmaak_f32 v41, v40, v41, 0xbcdac9b8
	v_fmaak_f32 v41, v40, v41, 0x3de703be
	;; [unrolled: 1-line block ×4, first 2 shown]
	v_fma_f32 v40, |v23|, v40, |v23|
; %bb.71:                               ;   in Loop: Header=BB562_3 Depth=1
	s_or_b64 exec, exec, s[20:21]
	v_and_b32_e32 v12, 0xffff0000, v12
	v_mul_f32_e32 v41, 0x3f3504f3, v12
	v_cmp_nlt_f32_e64 s[20:21], |v41|, 1.0
                                        ; implicit-def: $vgpr42
	s_and_saveexec_b64 s[34:35], s[20:21]
	s_xor_b64 s[20:21], exec, s[34:35]
	s_cbranch_execz .LBB562_73
; %bb.72:                               ;   in Loop: Header=BB562_3 Depth=1
	v_fma_f32 v42, |v41|, s22, v37
	v_fma_f32 v42, |v41|, v42, s23
	;; [unrolled: 1-line block ×6, first 2 shown]
	v_fma_f32 v42, |v41|, v42, |v41|
	v_mul_f32_e32 v43, 0xbfb8aa3b, v42
	v_fma_f32 v44, v42, s28, -v43
	v_rndne_f32_e32 v45, v43
	v_fmac_f32_e32 v44, 0xb2a5705f, v42
	v_sub_f32_e32 v43, v43, v45
	v_add_f32_e32 v43, v43, v44
	v_cvt_i32_f32_e32 v44, v45
	v_exp_f32_e32 v43, v43
	v_cmp_nlt_f32_e32 vcc, s29, v42
	v_ldexp_f32 v43, v43, v44
	s_nop 0
	v_cndmask_b32_e32 v43, 0, v43, vcc
	v_cmp_ngt_f32_e32 vcc, s30, v42
	s_nop 1
	v_cndmask_b32_e32 v42, v38, v43, vcc
	v_sub_f32_e32 v42, 1.0, v42
.LBB562_73:                             ;   in Loop: Header=BB562_3 Depth=1
	s_andn2_saveexec_b64 s[20:21], s[20:21]
; %bb.74:                               ;   in Loop: Header=BB562_3 Depth=1
	v_mul_f32_e32 v42, v41, v41
	v_fmamk_f32 v43, v42, 0xba1345e1, v36
	v_fmaak_f32 v43, v42, v43, 0xbcdac9b8
	v_fmaak_f32 v43, v42, v43, 0x3de703be
	;; [unrolled: 1-line block ×4, first 2 shown]
	v_fma_f32 v42, |v41|, v42, |v41|
; %bb.75:                               ;   in Loop: Header=BB562_3 Depth=1
	s_or_b64 exec, exec, s[20:21]
	v_bfi_b32 v23, s31, v40, v23
	s_waitcnt vmcnt(1)
	v_and_b32_e32 v45, 0xffff0000, v8
	v_lshlrev_b32_e32 v44, 16, v8
	v_mul_f32_e32 v8, 0.5, v12
	v_bfi_b32 v12, s31, v42, v41
	v_mul_f32_e32 v22, 0.5, v22
	v_add_f32_e32 v23, 1.0, v23
	v_add_f32_e32 v12, 1.0, v12
	v_mul_f32_e32 v22, v22, v23
	v_mul_f32_e32 v23, v8, v12
	v_lshlrev_b32_e32 v8, 16, v13
	v_mul_f32_e32 v12, 0x3f3504f3, v8
	v_cmp_nlt_f32_e64 s[20:21], |v12|, 1.0
	;;#ASMSTART
	v_pk_mul_f32 v[22:23], v[22:23], v[44:45]
	;;#ASMEND
                                        ; implicit-def: $vgpr40
	s_and_saveexec_b64 s[34:35], s[20:21]
	s_xor_b64 s[20:21], exec, s[34:35]
	s_cbranch_execz .LBB562_77
; %bb.76:                               ;   in Loop: Header=BB562_3 Depth=1
	v_fma_f32 v40, |v12|, s22, v37
	v_fma_f32 v40, |v12|, v40, s23
	v_fma_f32 v40, |v12|, v40, s24
	v_fma_f32 v40, |v12|, v40, s25
	v_fma_f32 v40, |v12|, v40, s26
	v_fma_f32 v40, |v12|, v40, s27
	v_fma_f32 v40, |v12|, v40, |v12|
	v_mul_f32_e32 v41, 0xbfb8aa3b, v40
	v_fma_f32 v42, v40, s28, -v41
	v_rndne_f32_e32 v43, v41
	v_fmac_f32_e32 v42, 0xb2a5705f, v40
	v_sub_f32_e32 v41, v41, v43
	v_add_f32_e32 v41, v41, v42
	v_cvt_i32_f32_e32 v42, v43
	v_exp_f32_e32 v41, v41
	v_cmp_nlt_f32_e32 vcc, s29, v40
	v_ldexp_f32 v41, v41, v42
	s_nop 0
	v_cndmask_b32_e32 v41, 0, v41, vcc
	v_cmp_ngt_f32_e32 vcc, s30, v40
	s_nop 1
	v_cndmask_b32_e32 v40, v38, v41, vcc
	v_sub_f32_e32 v40, 1.0, v40
.LBB562_77:                             ;   in Loop: Header=BB562_3 Depth=1
	s_andn2_saveexec_b64 s[20:21], s[20:21]
; %bb.78:                               ;   in Loop: Header=BB562_3 Depth=1
	v_mul_f32_e32 v40, v12, v12
	v_fmamk_f32 v41, v40, 0xba1345e1, v36
	v_fmaak_f32 v41, v40, v41, 0xbcdac9b8
	v_fmaak_f32 v41, v40, v41, 0x3de703be
	;; [unrolled: 1-line block ×4, first 2 shown]
	v_fma_f32 v40, |v12|, v40, |v12|
; %bb.79:                               ;   in Loop: Header=BB562_3 Depth=1
	s_or_b64 exec, exec, s[20:21]
	v_and_b32_e32 v13, 0xffff0000, v13
	v_mul_f32_e32 v41, 0x3f3504f3, v13
	v_cmp_nlt_f32_e64 s[20:21], |v41|, 1.0
                                        ; implicit-def: $vgpr42
	s_and_saveexec_b64 s[34:35], s[20:21]
	s_xor_b64 s[20:21], exec, s[34:35]
	s_cbranch_execz .LBB562_81
; %bb.80:                               ;   in Loop: Header=BB562_3 Depth=1
	v_fma_f32 v42, |v41|, s22, v37
	v_fma_f32 v42, |v41|, v42, s23
	;; [unrolled: 1-line block ×6, first 2 shown]
	v_fma_f32 v42, |v41|, v42, |v41|
	v_mul_f32_e32 v43, 0xbfb8aa3b, v42
	v_fma_f32 v44, v42, s28, -v43
	v_rndne_f32_e32 v45, v43
	v_fmac_f32_e32 v44, 0xb2a5705f, v42
	v_sub_f32_e32 v43, v43, v45
	v_add_f32_e32 v43, v43, v44
	v_cvt_i32_f32_e32 v44, v45
	v_exp_f32_e32 v43, v43
	v_cmp_nlt_f32_e32 vcc, s29, v42
	v_ldexp_f32 v43, v43, v44
	s_nop 0
	v_cndmask_b32_e32 v43, 0, v43, vcc
	v_cmp_ngt_f32_e32 vcc, s30, v42
	s_nop 1
	v_cndmask_b32_e32 v42, v38, v43, vcc
	v_sub_f32_e32 v42, 1.0, v42
.LBB562_81:                             ;   in Loop: Header=BB562_3 Depth=1
	s_andn2_saveexec_b64 s[20:21], s[20:21]
; %bb.82:                               ;   in Loop: Header=BB562_3 Depth=1
	v_mul_f32_e32 v42, v41, v41
	v_fmamk_f32 v43, v42, 0xba1345e1, v36
	v_fmaak_f32 v43, v42, v43, 0xbcdac9b8
	v_fmaak_f32 v43, v42, v43, 0x3de703be
	;; [unrolled: 1-line block ×4, first 2 shown]
	v_fma_f32 v42, |v41|, v42, |v41|
; %bb.83:                               ;   in Loop: Header=BB562_3 Depth=1
	s_or_b64 exec, exec, s[20:21]
	v_bfi_b32 v12, s31, v40, v12
	v_mul_f32_e32 v8, 0.5, v8
	v_add_f32_e32 v12, 1.0, v12
	v_mul_f32_e32 v8, v8, v12
	v_bfi_b32 v12, s31, v42, v41
	v_and_b32_e32 v45, 0xffff0000, v9
	v_lshlrev_b32_e32 v44, 16, v9
	v_mul_f32_e32 v9, 0.5, v13
	v_add_f32_e32 v12, 1.0, v12
	v_mul_f32_e32 v9, v9, v12
	v_lshlrev_b32_e32 v12, 16, v14
	v_mul_f32_e32 v13, 0x3f3504f3, v12
	v_cmp_nlt_f32_e64 s[20:21], |v13|, 1.0
	;;#ASMSTART
	v_pk_mul_f32 v[8:9], v[8:9], v[44:45]
	;;#ASMEND
                                        ; implicit-def: $vgpr40
	s_and_saveexec_b64 s[34:35], s[20:21]
	s_xor_b64 s[20:21], exec, s[34:35]
	s_cbranch_execz .LBB562_85
; %bb.84:                               ;   in Loop: Header=BB562_3 Depth=1
	v_fma_f32 v40, |v13|, s22, v37
	v_fma_f32 v40, |v13|, v40, s23
	;; [unrolled: 1-line block ×6, first 2 shown]
	v_fma_f32 v40, |v13|, v40, |v13|
	v_mul_f32_e32 v41, 0xbfb8aa3b, v40
	v_fma_f32 v42, v40, s28, -v41
	v_rndne_f32_e32 v43, v41
	v_fmac_f32_e32 v42, 0xb2a5705f, v40
	v_sub_f32_e32 v41, v41, v43
	v_add_f32_e32 v41, v41, v42
	v_cvt_i32_f32_e32 v42, v43
	v_exp_f32_e32 v41, v41
	v_cmp_nlt_f32_e32 vcc, s29, v40
	v_ldexp_f32 v41, v41, v42
	s_nop 0
	v_cndmask_b32_e32 v41, 0, v41, vcc
	v_cmp_ngt_f32_e32 vcc, s30, v40
	s_nop 1
	v_cndmask_b32_e32 v40, v38, v41, vcc
	v_sub_f32_e32 v40, 1.0, v40
.LBB562_85:                             ;   in Loop: Header=BB562_3 Depth=1
	s_andn2_saveexec_b64 s[20:21], s[20:21]
; %bb.86:                               ;   in Loop: Header=BB562_3 Depth=1
	v_mul_f32_e32 v40, v13, v13
	v_fmamk_f32 v41, v40, 0xba1345e1, v36
	v_fmaak_f32 v41, v40, v41, 0xbcdac9b8
	v_fmaak_f32 v41, v40, v41, 0x3de703be
	;; [unrolled: 1-line block ×4, first 2 shown]
	v_fma_f32 v40, |v13|, v40, |v13|
; %bb.87:                               ;   in Loop: Header=BB562_3 Depth=1
	s_or_b64 exec, exec, s[20:21]
	v_and_b32_e32 v14, 0xffff0000, v14
	v_mul_f32_e32 v41, 0x3f3504f3, v14
	v_cmp_nlt_f32_e64 s[20:21], |v41|, 1.0
                                        ; implicit-def: $vgpr42
	s_and_saveexec_b64 s[34:35], s[20:21]
	s_xor_b64 s[20:21], exec, s[34:35]
	s_cbranch_execz .LBB562_89
; %bb.88:                               ;   in Loop: Header=BB562_3 Depth=1
	v_fma_f32 v42, |v41|, s22, v37
	v_fma_f32 v42, |v41|, v42, s23
	;; [unrolled: 1-line block ×6, first 2 shown]
	v_fma_f32 v42, |v41|, v42, |v41|
	v_mul_f32_e32 v43, 0xbfb8aa3b, v42
	v_fma_f32 v44, v42, s28, -v43
	v_rndne_f32_e32 v45, v43
	v_fmac_f32_e32 v44, 0xb2a5705f, v42
	v_sub_f32_e32 v43, v43, v45
	v_add_f32_e32 v43, v43, v44
	v_cvt_i32_f32_e32 v44, v45
	v_exp_f32_e32 v43, v43
	v_cmp_nlt_f32_e32 vcc, s29, v42
	v_ldexp_f32 v43, v43, v44
	s_nop 0
	v_cndmask_b32_e32 v43, 0, v43, vcc
	v_cmp_ngt_f32_e32 vcc, s30, v42
	s_nop 1
	v_cndmask_b32_e32 v42, v38, v43, vcc
	v_sub_f32_e32 v42, 1.0, v42
.LBB562_89:                             ;   in Loop: Header=BB562_3 Depth=1
	s_andn2_saveexec_b64 s[20:21], s[20:21]
; %bb.90:                               ;   in Loop: Header=BB562_3 Depth=1
	v_mul_f32_e32 v42, v41, v41
	v_fmamk_f32 v43, v42, 0xba1345e1, v36
	v_fmaak_f32 v43, v42, v43, 0xbcdac9b8
	v_fmaak_f32 v43, v42, v43, 0x3de703be
	;; [unrolled: 1-line block ×4, first 2 shown]
	v_fma_f32 v42, |v41|, v42, |v41|
; %bb.91:                               ;   in Loop: Header=BB562_3 Depth=1
	s_or_b64 exec, exec, s[20:21]
	v_bfi_b32 v13, s31, v40, v13
	v_mul_f32_e32 v12, 0.5, v12
	v_add_f32_e32 v13, 1.0, v13
	v_mul_f32_e32 v12, v12, v13
	v_bfi_b32 v13, s31, v42, v41
	v_and_b32_e32 v45, 0xffff0000, v10
	v_lshlrev_b32_e32 v44, 16, v10
	v_mul_f32_e32 v10, 0.5, v14
	v_add_f32_e32 v13, 1.0, v13
	v_mul_f32_e32 v13, v10, v13
	v_lshlrev_b32_e32 v10, 16, v15
	v_mul_f32_e32 v14, 0x3f3504f3, v10
	v_cmp_nlt_f32_e64 s[20:21], |v14|, 1.0
	;;#ASMSTART
	v_pk_mul_f32 v[12:13], v[12:13], v[44:45]
	;;#ASMEND
                                        ; implicit-def: $vgpr40
	s_and_saveexec_b64 s[34:35], s[20:21]
	s_xor_b64 s[20:21], exec, s[34:35]
	s_cbranch_execz .LBB562_93
; %bb.92:                               ;   in Loop: Header=BB562_3 Depth=1
	v_fma_f32 v40, |v14|, s22, v37
	v_fma_f32 v40, |v14|, v40, s23
	;; [unrolled: 1-line block ×6, first 2 shown]
	v_fma_f32 v40, |v14|, v40, |v14|
	v_mul_f32_e32 v41, 0xbfb8aa3b, v40
	v_fma_f32 v42, v40, s28, -v41
	v_rndne_f32_e32 v43, v41
	v_fmac_f32_e32 v42, 0xb2a5705f, v40
	v_sub_f32_e32 v41, v41, v43
	v_add_f32_e32 v41, v41, v42
	v_cvt_i32_f32_e32 v42, v43
	v_exp_f32_e32 v41, v41
	v_cmp_nlt_f32_e32 vcc, s29, v40
	v_ldexp_f32 v41, v41, v42
	s_nop 0
	v_cndmask_b32_e32 v41, 0, v41, vcc
	v_cmp_ngt_f32_e32 vcc, s30, v40
	s_nop 1
	v_cndmask_b32_e32 v40, v38, v41, vcc
	v_sub_f32_e32 v40, 1.0, v40
.LBB562_93:                             ;   in Loop: Header=BB562_3 Depth=1
	s_andn2_saveexec_b64 s[20:21], s[20:21]
; %bb.94:                               ;   in Loop: Header=BB562_3 Depth=1
	v_mul_f32_e32 v40, v14, v14
	v_fmamk_f32 v41, v40, 0xba1345e1, v36
	v_fmaak_f32 v41, v40, v41, 0xbcdac9b8
	v_fmaak_f32 v41, v40, v41, 0x3de703be
	;; [unrolled: 1-line block ×4, first 2 shown]
	v_fma_f32 v40, |v14|, v40, |v14|
; %bb.95:                               ;   in Loop: Header=BB562_3 Depth=1
	s_or_b64 exec, exec, s[20:21]
	v_and_b32_e32 v15, 0xffff0000, v15
	v_mul_f32_e32 v41, 0x3f3504f3, v15
	v_cmp_nlt_f32_e64 s[20:21], |v41|, 1.0
                                        ; implicit-def: $vgpr42
	s_and_saveexec_b64 s[34:35], s[20:21]
	s_xor_b64 s[20:21], exec, s[34:35]
	s_cbranch_execz .LBB562_97
; %bb.96:                               ;   in Loop: Header=BB562_3 Depth=1
	v_fma_f32 v42, |v41|, s22, v37
	v_fma_f32 v42, |v41|, v42, s23
	;; [unrolled: 1-line block ×6, first 2 shown]
	v_fma_f32 v42, |v41|, v42, |v41|
	v_mul_f32_e32 v43, 0xbfb8aa3b, v42
	v_fma_f32 v44, v42, s28, -v43
	v_rndne_f32_e32 v45, v43
	v_fmac_f32_e32 v44, 0xb2a5705f, v42
	v_sub_f32_e32 v43, v43, v45
	v_add_f32_e32 v43, v43, v44
	v_cvt_i32_f32_e32 v44, v45
	v_exp_f32_e32 v43, v43
	v_cmp_nlt_f32_e32 vcc, s29, v42
	v_ldexp_f32 v43, v43, v44
	s_nop 0
	v_cndmask_b32_e32 v43, 0, v43, vcc
	v_cmp_ngt_f32_e32 vcc, s30, v42
	s_nop 1
	v_cndmask_b32_e32 v42, v38, v43, vcc
	v_sub_f32_e32 v42, 1.0, v42
.LBB562_97:                             ;   in Loop: Header=BB562_3 Depth=1
	s_andn2_saveexec_b64 s[20:21], s[20:21]
; %bb.98:                               ;   in Loop: Header=BB562_3 Depth=1
	v_mul_f32_e32 v42, v41, v41
	v_fmamk_f32 v43, v42, 0xba1345e1, v36
	v_fmaak_f32 v43, v42, v43, 0xbcdac9b8
	v_fmaak_f32 v43, v42, v43, 0x3de703be
	;; [unrolled: 1-line block ×4, first 2 shown]
	v_fma_f32 v42, |v41|, v42, |v41|
; %bb.99:                               ;   in Loop: Header=BB562_3 Depth=1
	s_or_b64 exec, exec, s[20:21]
	v_bfi_b32 v14, s31, v40, v14
	v_mul_f32_e32 v10, 0.5, v10
	v_add_f32_e32 v14, 1.0, v14
	v_mul_f32_e32 v10, v10, v14
	v_bfi_b32 v14, s31, v42, v41
	v_and_b32_e32 v45, 0xffff0000, v11
	v_lshlrev_b32_e32 v44, 16, v11
	v_mul_f32_e32 v11, 0.5, v15
	v_add_f32_e32 v14, 1.0, v14
	v_mul_f32_e32 v11, v11, v14
	v_lshlrev_b32_e32 v14, 16, v4
	v_mul_f32_e32 v15, 0x3f3504f3, v14
	v_cmp_nlt_f32_e64 s[20:21], |v15|, 1.0
	;;#ASMSTART
	v_pk_mul_f32 v[10:11], v[10:11], v[44:45]
	;;#ASMEND
                                        ; implicit-def: $vgpr40
	s_and_saveexec_b64 s[34:35], s[20:21]
	s_xor_b64 s[20:21], exec, s[34:35]
	s_cbranch_execz .LBB562_101
; %bb.100:                              ;   in Loop: Header=BB562_3 Depth=1
	v_fma_f32 v40, |v15|, s22, v37
	v_fma_f32 v40, |v15|, v40, s23
	;; [unrolled: 1-line block ×6, first 2 shown]
	v_fma_f32 v40, |v15|, v40, |v15|
	v_mul_f32_e32 v41, 0xbfb8aa3b, v40
	v_fma_f32 v42, v40, s28, -v41
	v_rndne_f32_e32 v43, v41
	v_fmac_f32_e32 v42, 0xb2a5705f, v40
	v_sub_f32_e32 v41, v41, v43
	v_add_f32_e32 v41, v41, v42
	v_cvt_i32_f32_e32 v42, v43
	v_exp_f32_e32 v41, v41
	v_cmp_nlt_f32_e32 vcc, s29, v40
	v_ldexp_f32 v41, v41, v42
	s_nop 0
	v_cndmask_b32_e32 v41, 0, v41, vcc
	v_cmp_ngt_f32_e32 vcc, s30, v40
	s_nop 1
	v_cndmask_b32_e32 v40, v38, v41, vcc
	v_sub_f32_e32 v40, 1.0, v40
.LBB562_101:                            ;   in Loop: Header=BB562_3 Depth=1
	s_andn2_saveexec_b64 s[20:21], s[20:21]
; %bb.102:                              ;   in Loop: Header=BB562_3 Depth=1
	v_mul_f32_e32 v40, v15, v15
	v_fmamk_f32 v41, v40, 0xba1345e1, v36
	v_fmaak_f32 v41, v40, v41, 0xbcdac9b8
	v_fmaak_f32 v41, v40, v41, 0x3de703be
	;; [unrolled: 1-line block ×4, first 2 shown]
	v_fma_f32 v40, |v15|, v40, |v15|
; %bb.103:                              ;   in Loop: Header=BB562_3 Depth=1
	s_or_b64 exec, exec, s[20:21]
	v_and_b32_e32 v4, 0xffff0000, v4
	v_mul_f32_e32 v41, 0x3f3504f3, v4
	v_cmp_nlt_f32_e64 s[20:21], |v41|, 1.0
                                        ; implicit-def: $vgpr42
	s_and_saveexec_b64 s[34:35], s[20:21]
	s_xor_b64 s[20:21], exec, s[34:35]
	s_cbranch_execz .LBB562_105
; %bb.104:                              ;   in Loop: Header=BB562_3 Depth=1
	v_fma_f32 v42, |v41|, s22, v37
	v_fma_f32 v42, |v41|, v42, s23
	;; [unrolled: 1-line block ×6, first 2 shown]
	v_fma_f32 v42, |v41|, v42, |v41|
	v_mul_f32_e32 v43, 0xbfb8aa3b, v42
	v_fma_f32 v44, v42, s28, -v43
	v_rndne_f32_e32 v45, v43
	v_fmac_f32_e32 v44, 0xb2a5705f, v42
	v_sub_f32_e32 v43, v43, v45
	v_add_f32_e32 v43, v43, v44
	v_cvt_i32_f32_e32 v44, v45
	v_exp_f32_e32 v43, v43
	v_cmp_nlt_f32_e32 vcc, s29, v42
	v_ldexp_f32 v43, v43, v44
	s_nop 0
	v_cndmask_b32_e32 v43, 0, v43, vcc
	v_cmp_ngt_f32_e32 vcc, s30, v42
	s_nop 1
	v_cndmask_b32_e32 v42, v38, v43, vcc
	v_sub_f32_e32 v42, 1.0, v42
.LBB562_105:                            ;   in Loop: Header=BB562_3 Depth=1
	s_andn2_saveexec_b64 s[20:21], s[20:21]
; %bb.106:                              ;   in Loop: Header=BB562_3 Depth=1
	v_mul_f32_e32 v42, v41, v41
	v_fmamk_f32 v43, v42, 0xba1345e1, v36
	v_fmaak_f32 v43, v42, v43, 0xbcdac9b8
	v_fmaak_f32 v43, v42, v43, 0x3de703be
	;; [unrolled: 1-line block ×4, first 2 shown]
	v_fma_f32 v42, |v41|, v42, |v41|
; %bb.107:                              ;   in Loop: Header=BB562_3 Depth=1
	s_or_b64 exec, exec, s[20:21]
	v_bfi_b32 v15, s31, v40, v15
	s_waitcnt vmcnt(0)
	v_and_b32_e32 v45, 0xffff0000, v0
	v_lshlrev_b32_e32 v44, 16, v0
	v_mul_f32_e32 v0, 0.5, v4
	v_bfi_b32 v4, s31, v42, v41
	v_mul_f32_e32 v14, 0.5, v14
	v_add_f32_e32 v15, 1.0, v15
	v_add_f32_e32 v4, 1.0, v4
	v_mul_f32_e32 v14, v14, v15
	v_mul_f32_e32 v15, v0, v4
	v_lshlrev_b32_e32 v0, 16, v5
	v_mul_f32_e32 v4, 0x3f3504f3, v0
	v_cmp_nlt_f32_e64 s[20:21], |v4|, 1.0
	;;#ASMSTART
	v_pk_mul_f32 v[14:15], v[14:15], v[44:45]
	;;#ASMEND
                                        ; implicit-def: $vgpr40
	s_and_saveexec_b64 s[34:35], s[20:21]
	s_xor_b64 s[20:21], exec, s[34:35]
	s_cbranch_execz .LBB562_109
; %bb.108:                              ;   in Loop: Header=BB562_3 Depth=1
	v_fma_f32 v40, |v4|, s22, v37
	v_fma_f32 v40, |v4|, v40, s23
	;; [unrolled: 1-line block ×6, first 2 shown]
	v_fma_f32 v40, |v4|, v40, |v4|
	v_mul_f32_e32 v41, 0xbfb8aa3b, v40
	v_fma_f32 v42, v40, s28, -v41
	v_rndne_f32_e32 v43, v41
	v_fmac_f32_e32 v42, 0xb2a5705f, v40
	v_sub_f32_e32 v41, v41, v43
	v_add_f32_e32 v41, v41, v42
	v_cvt_i32_f32_e32 v42, v43
	v_exp_f32_e32 v41, v41
	v_cmp_nlt_f32_e32 vcc, s29, v40
	v_ldexp_f32 v41, v41, v42
	s_nop 0
	v_cndmask_b32_e32 v41, 0, v41, vcc
	v_cmp_ngt_f32_e32 vcc, s30, v40
	s_nop 1
	v_cndmask_b32_e32 v40, v38, v41, vcc
	v_sub_f32_e32 v40, 1.0, v40
.LBB562_109:                            ;   in Loop: Header=BB562_3 Depth=1
	s_andn2_saveexec_b64 s[20:21], s[20:21]
; %bb.110:                              ;   in Loop: Header=BB562_3 Depth=1
	v_mul_f32_e32 v40, v4, v4
	v_fmamk_f32 v41, v40, 0xba1345e1, v36
	v_fmaak_f32 v41, v40, v41, 0xbcdac9b8
	v_fmaak_f32 v41, v40, v41, 0x3de703be
	;; [unrolled: 1-line block ×4, first 2 shown]
	v_fma_f32 v40, |v4|, v40, |v4|
; %bb.111:                              ;   in Loop: Header=BB562_3 Depth=1
	s_or_b64 exec, exec, s[20:21]
	v_and_b32_e32 v5, 0xffff0000, v5
	v_mul_f32_e32 v41, 0x3f3504f3, v5
	v_cmp_nlt_f32_e64 s[20:21], |v41|, 1.0
                                        ; implicit-def: $vgpr42
	s_and_saveexec_b64 s[34:35], s[20:21]
	s_xor_b64 s[20:21], exec, s[34:35]
	s_cbranch_execz .LBB562_113
; %bb.112:                              ;   in Loop: Header=BB562_3 Depth=1
	v_fma_f32 v42, |v41|, s22, v37
	v_fma_f32 v42, |v41|, v42, s23
	;; [unrolled: 1-line block ×6, first 2 shown]
	v_fma_f32 v42, |v41|, v42, |v41|
	v_mul_f32_e32 v43, 0xbfb8aa3b, v42
	v_fma_f32 v44, v42, s28, -v43
	v_rndne_f32_e32 v45, v43
	v_fmac_f32_e32 v44, 0xb2a5705f, v42
	v_sub_f32_e32 v43, v43, v45
	v_add_f32_e32 v43, v43, v44
	v_cvt_i32_f32_e32 v44, v45
	v_exp_f32_e32 v43, v43
	v_cmp_nlt_f32_e32 vcc, s29, v42
	v_ldexp_f32 v43, v43, v44
	s_nop 0
	v_cndmask_b32_e32 v43, 0, v43, vcc
	v_cmp_ngt_f32_e32 vcc, s30, v42
	s_nop 1
	v_cndmask_b32_e32 v42, v38, v43, vcc
	v_sub_f32_e32 v42, 1.0, v42
.LBB562_113:                            ;   in Loop: Header=BB562_3 Depth=1
	s_andn2_saveexec_b64 s[20:21], s[20:21]
; %bb.114:                              ;   in Loop: Header=BB562_3 Depth=1
	v_mul_f32_e32 v42, v41, v41
	v_fmamk_f32 v43, v42, 0xba1345e1, v36
	v_fmaak_f32 v43, v42, v43, 0xbcdac9b8
	v_fmaak_f32 v43, v42, v43, 0x3de703be
	;; [unrolled: 1-line block ×4, first 2 shown]
	v_fma_f32 v42, |v41|, v42, |v41|
; %bb.115:                              ;   in Loop: Header=BB562_3 Depth=1
	s_or_b64 exec, exec, s[20:21]
	v_bfi_b32 v4, s31, v40, v4
	v_mul_f32_e32 v0, 0.5, v0
	v_add_f32_e32 v4, 1.0, v4
	v_mul_f32_e32 v0, v0, v4
	v_bfi_b32 v4, s31, v42, v41
	v_and_b32_e32 v45, 0xffff0000, v1
	v_lshlrev_b32_e32 v44, 16, v1
	v_mul_f32_e32 v1, 0.5, v5
	v_add_f32_e32 v4, 1.0, v4
	v_mul_f32_e32 v1, v1, v4
	v_lshlrev_b32_e32 v4, 16, v6
	v_mul_f32_e32 v5, 0x3f3504f3, v4
	v_cmp_nlt_f32_e64 s[20:21], |v5|, 1.0
	;;#ASMSTART
	v_pk_mul_f32 v[0:1], v[0:1], v[44:45]
	;;#ASMEND
                                        ; implicit-def: $vgpr40
	s_and_saveexec_b64 s[34:35], s[20:21]
	s_xor_b64 s[20:21], exec, s[34:35]
	s_cbranch_execz .LBB562_117
; %bb.116:                              ;   in Loop: Header=BB562_3 Depth=1
	v_fma_f32 v40, |v5|, s22, v37
	v_fma_f32 v40, |v5|, v40, s23
	v_fma_f32 v40, |v5|, v40, s24
	v_fma_f32 v40, |v5|, v40, s25
	v_fma_f32 v40, |v5|, v40, s26
	v_fma_f32 v40, |v5|, v40, s27
	v_fma_f32 v40, |v5|, v40, |v5|
	v_mul_f32_e32 v41, 0xbfb8aa3b, v40
	v_fma_f32 v42, v40, s28, -v41
	v_rndne_f32_e32 v43, v41
	v_fmac_f32_e32 v42, 0xb2a5705f, v40
	v_sub_f32_e32 v41, v41, v43
	v_add_f32_e32 v41, v41, v42
	v_cvt_i32_f32_e32 v42, v43
	v_exp_f32_e32 v41, v41
	v_cmp_nlt_f32_e32 vcc, s29, v40
	v_ldexp_f32 v41, v41, v42
	s_nop 0
	v_cndmask_b32_e32 v41, 0, v41, vcc
	v_cmp_ngt_f32_e32 vcc, s30, v40
	s_nop 1
	v_cndmask_b32_e32 v40, v38, v41, vcc
	v_sub_f32_e32 v40, 1.0, v40
.LBB562_117:                            ;   in Loop: Header=BB562_3 Depth=1
	s_andn2_saveexec_b64 s[20:21], s[20:21]
; %bb.118:                              ;   in Loop: Header=BB562_3 Depth=1
	v_mul_f32_e32 v40, v5, v5
	v_fmamk_f32 v41, v40, 0xba1345e1, v36
	v_fmaak_f32 v41, v40, v41, 0xbcdac9b8
	v_fmaak_f32 v41, v40, v41, 0x3de703be
	;; [unrolled: 1-line block ×4, first 2 shown]
	v_fma_f32 v40, |v5|, v40, |v5|
; %bb.119:                              ;   in Loop: Header=BB562_3 Depth=1
	s_or_b64 exec, exec, s[20:21]
	v_and_b32_e32 v6, 0xffff0000, v6
	v_mul_f32_e32 v41, 0x3f3504f3, v6
	v_cmp_nlt_f32_e64 s[20:21], |v41|, 1.0
                                        ; implicit-def: $vgpr42
	s_and_saveexec_b64 s[34:35], s[20:21]
	s_xor_b64 s[20:21], exec, s[34:35]
	s_cbranch_execz .LBB562_121
; %bb.120:                              ;   in Loop: Header=BB562_3 Depth=1
	v_fma_f32 v42, |v41|, s22, v37
	v_fma_f32 v42, |v41|, v42, s23
	;; [unrolled: 1-line block ×6, first 2 shown]
	v_fma_f32 v42, |v41|, v42, |v41|
	v_mul_f32_e32 v43, 0xbfb8aa3b, v42
	v_fma_f32 v44, v42, s28, -v43
	v_rndne_f32_e32 v45, v43
	v_fmac_f32_e32 v44, 0xb2a5705f, v42
	v_sub_f32_e32 v43, v43, v45
	v_add_f32_e32 v43, v43, v44
	v_cvt_i32_f32_e32 v44, v45
	v_exp_f32_e32 v43, v43
	v_cmp_nlt_f32_e32 vcc, s29, v42
	v_ldexp_f32 v43, v43, v44
	s_nop 0
	v_cndmask_b32_e32 v43, 0, v43, vcc
	v_cmp_ngt_f32_e32 vcc, s30, v42
	s_nop 1
	v_cndmask_b32_e32 v42, v38, v43, vcc
	v_sub_f32_e32 v42, 1.0, v42
.LBB562_121:                            ;   in Loop: Header=BB562_3 Depth=1
	s_andn2_saveexec_b64 s[20:21], s[20:21]
; %bb.122:                              ;   in Loop: Header=BB562_3 Depth=1
	v_mul_f32_e32 v42, v41, v41
	v_fmamk_f32 v43, v42, 0xba1345e1, v36
	v_fmaak_f32 v43, v42, v43, 0xbcdac9b8
	v_fmaak_f32 v43, v42, v43, 0x3de703be
	;; [unrolled: 1-line block ×4, first 2 shown]
	v_fma_f32 v42, |v41|, v42, |v41|
; %bb.123:                              ;   in Loop: Header=BB562_3 Depth=1
	s_or_b64 exec, exec, s[20:21]
	v_bfi_b32 v5, s31, v40, v5
	v_mul_f32_e32 v4, 0.5, v4
	v_add_f32_e32 v5, 1.0, v5
	v_mul_f32_e32 v4, v4, v5
	v_bfi_b32 v5, s31, v42, v41
	v_and_b32_e32 v45, 0xffff0000, v2
	v_lshlrev_b32_e32 v44, 16, v2
	v_mul_f32_e32 v2, 0.5, v6
	v_add_f32_e32 v5, 1.0, v5
	v_mul_f32_e32 v5, v2, v5
	v_lshlrev_b32_e32 v2, 16, v7
	v_mul_f32_e32 v6, 0x3f3504f3, v2
	v_cmp_nlt_f32_e64 s[20:21], |v6|, 1.0
	;;#ASMSTART
	v_pk_mul_f32 v[4:5], v[4:5], v[44:45]
	;;#ASMEND
                                        ; implicit-def: $vgpr40
	s_and_saveexec_b64 s[34:35], s[20:21]
	s_xor_b64 s[20:21], exec, s[34:35]
	s_cbranch_execz .LBB562_125
; %bb.124:                              ;   in Loop: Header=BB562_3 Depth=1
	v_fma_f32 v40, |v6|, s22, v37
	v_fma_f32 v40, |v6|, v40, s23
	;; [unrolled: 1-line block ×6, first 2 shown]
	v_fma_f32 v40, |v6|, v40, |v6|
	v_mul_f32_e32 v41, 0xbfb8aa3b, v40
	v_fma_f32 v42, v40, s28, -v41
	v_rndne_f32_e32 v43, v41
	v_fmac_f32_e32 v42, 0xb2a5705f, v40
	v_sub_f32_e32 v41, v41, v43
	v_add_f32_e32 v41, v41, v42
	v_cvt_i32_f32_e32 v42, v43
	v_exp_f32_e32 v41, v41
	v_cmp_nlt_f32_e32 vcc, s29, v40
	v_ldexp_f32 v41, v41, v42
	s_nop 0
	v_cndmask_b32_e32 v41, 0, v41, vcc
	v_cmp_ngt_f32_e32 vcc, s30, v40
	s_nop 1
	v_cndmask_b32_e32 v40, v38, v41, vcc
	v_sub_f32_e32 v40, 1.0, v40
.LBB562_125:                            ;   in Loop: Header=BB562_3 Depth=1
	s_andn2_saveexec_b64 s[20:21], s[20:21]
; %bb.126:                              ;   in Loop: Header=BB562_3 Depth=1
	v_mul_f32_e32 v40, v6, v6
	v_fmamk_f32 v41, v40, 0xba1345e1, v36
	v_fmaak_f32 v41, v40, v41, 0xbcdac9b8
	v_fmaak_f32 v41, v40, v41, 0x3de703be
	;; [unrolled: 1-line block ×4, first 2 shown]
	v_fma_f32 v40, |v6|, v40, |v6|
; %bb.127:                              ;   in Loop: Header=BB562_3 Depth=1
	s_or_b64 exec, exec, s[20:21]
	v_and_b32_e32 v7, 0xffff0000, v7
	v_mul_f32_e32 v41, 0x3f3504f3, v7
	v_cmp_nlt_f32_e64 s[20:21], |v41|, 1.0
                                        ; implicit-def: $vgpr42
	s_and_saveexec_b64 s[34:35], s[20:21]
	s_xor_b64 s[20:21], exec, s[34:35]
	s_cbranch_execz .LBB562_129
; %bb.128:                              ;   in Loop: Header=BB562_3 Depth=1
	v_fma_f32 v42, |v41|, s22, v37
	v_fma_f32 v42, |v41|, v42, s23
	;; [unrolled: 1-line block ×6, first 2 shown]
	v_fma_f32 v42, |v41|, v42, |v41|
	v_mul_f32_e32 v43, 0xbfb8aa3b, v42
	v_fma_f32 v44, v42, s28, -v43
	v_rndne_f32_e32 v45, v43
	v_fmac_f32_e32 v44, 0xb2a5705f, v42
	v_sub_f32_e32 v43, v43, v45
	v_add_f32_e32 v43, v43, v44
	v_cvt_i32_f32_e32 v44, v45
	v_exp_f32_e32 v43, v43
	v_cmp_nlt_f32_e32 vcc, s29, v42
	v_ldexp_f32 v43, v43, v44
	s_nop 0
	v_cndmask_b32_e32 v43, 0, v43, vcc
	v_cmp_ngt_f32_e32 vcc, s30, v42
	s_nop 1
	v_cndmask_b32_e32 v42, v38, v43, vcc
	v_sub_f32_e32 v42, 1.0, v42
.LBB562_129:                            ;   in Loop: Header=BB562_3 Depth=1
	s_andn2_saveexec_b64 s[20:21], s[20:21]
	s_cbranch_execz .LBB562_2
; %bb.130:                              ;   in Loop: Header=BB562_3 Depth=1
	v_mul_f32_e32 v42, v41, v41
	v_fmamk_f32 v43, v42, 0xba1345e1, v36
	v_fmaak_f32 v43, v42, v43, 0xbcdac9b8
	v_fmaak_f32 v43, v42, v43, 0x3de703be
	;; [unrolled: 1-line block ×4, first 2 shown]
	v_fma_f32 v42, |v41|, v42, |v41|
	s_branch .LBB562_2
.LBB562_131:
	s_endpgm
	.section	.rodata,"a",@progbits
	.p2align	6, 0x0
	.amdhsa_kernel _ZN5aiter18act_and_mul_kernelIttTnPFfRKT_EXadL_ZNS_11gelu_kernelItEEfS3_EELi32ELb0ELi3EEEvPT0_PS2_if
		.amdhsa_group_segment_fixed_size 0
		.amdhsa_private_segment_fixed_size 0
		.amdhsa_kernarg_size 280
		.amdhsa_user_sgpr_count 2
		.amdhsa_user_sgpr_dispatch_ptr 0
		.amdhsa_user_sgpr_queue_ptr 0
		.amdhsa_user_sgpr_kernarg_segment_ptr 1
		.amdhsa_user_sgpr_dispatch_id 0
		.amdhsa_user_sgpr_kernarg_preload_length 0
		.amdhsa_user_sgpr_kernarg_preload_offset 0
		.amdhsa_user_sgpr_private_segment_size 0
		.amdhsa_uses_dynamic_stack 0
		.amdhsa_enable_private_segment 0
		.amdhsa_system_sgpr_workgroup_id_x 1
		.amdhsa_system_sgpr_workgroup_id_y 0
		.amdhsa_system_sgpr_workgroup_id_z 0
		.amdhsa_system_sgpr_workgroup_info 0
		.amdhsa_system_vgpr_workitem_id 0
		.amdhsa_next_free_vgpr 46
		.amdhsa_next_free_sgpr 36
		.amdhsa_accum_offset 48
		.amdhsa_reserve_vcc 1
		.amdhsa_float_round_mode_32 0
		.amdhsa_float_round_mode_16_64 0
		.amdhsa_float_denorm_mode_32 3
		.amdhsa_float_denorm_mode_16_64 3
		.amdhsa_dx10_clamp 1
		.amdhsa_ieee_mode 1
		.amdhsa_fp16_overflow 0
		.amdhsa_tg_split 0
		.amdhsa_exception_fp_ieee_invalid_op 0
		.amdhsa_exception_fp_denorm_src 0
		.amdhsa_exception_fp_ieee_div_zero 0
		.amdhsa_exception_fp_ieee_overflow 0
		.amdhsa_exception_fp_ieee_underflow 0
		.amdhsa_exception_fp_ieee_inexact 0
		.amdhsa_exception_int_div_zero 0
	.end_amdhsa_kernel
	.section	.text._ZN5aiter18act_and_mul_kernelIttTnPFfRKT_EXadL_ZNS_11gelu_kernelItEEfS3_EELi32ELb0ELi3EEEvPT0_PS2_if,"axG",@progbits,_ZN5aiter18act_and_mul_kernelIttTnPFfRKT_EXadL_ZNS_11gelu_kernelItEEfS3_EELi32ELb0ELi3EEEvPT0_PS2_if,comdat
.Lfunc_end562:
	.size	_ZN5aiter18act_and_mul_kernelIttTnPFfRKT_EXadL_ZNS_11gelu_kernelItEEfS3_EELi32ELb0ELi3EEEvPT0_PS2_if, .Lfunc_end562-_ZN5aiter18act_and_mul_kernelIttTnPFfRKT_EXadL_ZNS_11gelu_kernelItEEfS3_EELi32ELb0ELi3EEEvPT0_PS2_if
                                        ; -- End function
	.section	.AMDGPU.csdata,"",@progbits
; Kernel info:
; codeLenInByte = 8924
; NumSgprs: 42
; NumVgprs: 46
; NumAgprs: 0
; TotalNumVgprs: 46
; ScratchSize: 0
; MemoryBound: 0
; FloatMode: 240
; IeeeMode: 1
; LDSByteSize: 0 bytes/workgroup (compile time only)
; SGPRBlocks: 5
; VGPRBlocks: 5
; NumSGPRsForWavesPerEU: 42
; NumVGPRsForWavesPerEU: 46
; AccumOffset: 48
; Occupancy: 8
; WaveLimiterHint : 0
; COMPUTE_PGM_RSRC2:SCRATCH_EN: 0
; COMPUTE_PGM_RSRC2:USER_SGPR: 2
; COMPUTE_PGM_RSRC2:TRAP_HANDLER: 0
; COMPUTE_PGM_RSRC2:TGID_X_EN: 1
; COMPUTE_PGM_RSRC2:TGID_Y_EN: 0
; COMPUTE_PGM_RSRC2:TGID_Z_EN: 0
; COMPUTE_PGM_RSRC2:TIDIG_COMP_CNT: 0
; COMPUTE_PGM_RSRC3_GFX90A:ACCUM_OFFSET: 11
; COMPUTE_PGM_RSRC3_GFX90A:TG_SPLIT: 0
	.section	.text._ZN5aiter18act_and_mul_kernelIttTnPFfRKT_EXadL_ZNS_11gelu_kernelItEEfS3_EELi16ELb0ELi3EEEvPT0_PS2_if,"axG",@progbits,_ZN5aiter18act_and_mul_kernelIttTnPFfRKT_EXadL_ZNS_11gelu_kernelItEEfS3_EELi16ELb0ELi3EEEvPT0_PS2_if,comdat
	.protected	_ZN5aiter18act_and_mul_kernelIttTnPFfRKT_EXadL_ZNS_11gelu_kernelItEEfS3_EELi16ELb0ELi3EEEvPT0_PS2_if ; -- Begin function _ZN5aiter18act_and_mul_kernelIttTnPFfRKT_EXadL_ZNS_11gelu_kernelItEEfS3_EELi16ELb0ELi3EEEvPT0_PS2_if
	.globl	_ZN5aiter18act_and_mul_kernelIttTnPFfRKT_EXadL_ZNS_11gelu_kernelItEEfS3_EELi16ELb0ELi3EEEvPT0_PS2_if
	.p2align	8
	.type	_ZN5aiter18act_and_mul_kernelIttTnPFfRKT_EXadL_ZNS_11gelu_kernelItEEfS3_EELi16ELb0ELi3EEEvPT0_PS2_if,@function
_ZN5aiter18act_and_mul_kernelIttTnPFfRKT_EXadL_ZNS_11gelu_kernelItEEfS3_EELi16ELb0ELi3EEEvPT0_PS2_if: ; @_ZN5aiter18act_and_mul_kernelIttTnPFfRKT_EXadL_ZNS_11gelu_kernelItEEfS3_EELi16ELb0ELi3EEEvPT0_PS2_if
; %bb.0:
	s_load_dword s16, s[0:1], 0x10
	v_lshlrev_b32_e32 v16, 4, v0
	s_waitcnt lgkmcnt(0)
	v_cmp_gt_i32_e32 vcc, s16, v16
	s_and_saveexec_b64 s[4:5], vcc
	s_cbranch_execz .LBB563_67
; %bb.1:
	s_load_dwordx4 s[12:15], s[0:1], 0x0
	s_ashr_i32 s17, s16, 31
	s_mul_hi_u32 s3, s16, s2
	s_mul_i32 s4, s17, s2
	s_add_i32 s3, s3, s4
	s_mul_i32 s2, s16, s2
	s_lshl_b64 s[10:11], s[2:3], 1
	s_lshl_b64 s[2:3], s[2:3], 2
	s_waitcnt lgkmcnt(0)
	s_add_u32 s4, s14, s2
	s_addc_u32 s5, s15, s3
	s_lshl_b64 s[2:3], s[16:17], 1
	s_add_u32 s8, s4, s2
	s_addc_u32 s2, s5, s3
	s_add_i32 s3, s16, 1
	s_lshr_b32 s6, s3, 31
	s_add_i32 s3, s3, s6
	s_lshl_b32 s3, s3, 1
	s_and_b32 s6, s3, -4
	s_and_b32 s5, s5, 0xffff
	s_and_b32 s9, s2, 0xffff
	s_add_u32 s12, s12, s10
	s_addc_u32 s2, s13, s11
	s_and_b32 s13, s2, 0xffff
	s_mov_b32 s7, 0x20000
	s_add_u32 s0, s0, 24
	v_mov_b32_e32 v17, 0
	s_addc_u32 s1, s1, 0
	s_mov_b64 s[2:3], 0
	s_mov_b32 s19, 0
	s_mov_b32 s10, s6
	;; [unrolled: 1-line block ×12, first 2 shown]
	v_mov_b32_e32 v20, 0x3ba10414
	s_brev_b32 s31, -2
	s_mov_b32 s33, 0x7060302
	v_mov_b32_e32 v21, 0xb9c68948
	v_mov_b32_e32 v22, 0x7f800000
	s_mov_b32 s14, s6
	s_mov_b32 s15, s7
                                        ; implicit-def: $vgpr0
                                        ; implicit-def: $vgpr0
	;; [unrolled: 1-line block ×4, first 2 shown]
	s_branch .LBB563_3
.LBB563_2:                              ;   in Loop: Header=BB563_3 Depth=1
	s_or_b64 exec, exec, s[20:21]
	v_bfi_b32 v6, s31, v24, v6
	v_mul_f32_e32 v2, 0.5, v2
	v_add_f32_e32 v6, 1.0, v6
	v_mul_f32_e32 v2, v2, v6
	v_bfi_b32 v6, s31, v26, v25
	v_and_b32_e32 v29, 0xffff0000, v3
	v_lshlrev_b32_e32 v28, 16, v3
	v_mul_f32_e32 v3, 0.5, v7
	v_add_f32_e32 v6, 1.0, v6
	v_mul_f32_e32 v3, v3, v6
	;;#ASMSTART
	v_pk_mul_f32 v[2:3], v[2:3], v[28:29]
	;;#ASMEND
	s_load_dword s18, s[0:1], 0xc
	v_perm_b32 v11, v11, v10, s33
	v_perm_b32 v10, v13, v12, s33
	;; [unrolled: 1-line block ×4, first 2 shown]
	s_waitcnt lgkmcnt(0)
	s_and_b32 s18, s18, 0xffff
	s_lshl_b32 s18, s18, 4
	v_lshl_add_u64 v[16:17], s[18:19], 0, v[16:17]
	v_cmp_le_i64_e32 vcc, s[16:17], v[16:17]
	v_perm_b32 v3, v3, v2, s33
	v_perm_b32 v2, v5, v4, s33
	;; [unrolled: 1-line block ×4, first 2 shown]
	s_or_b64 s[2:3], vcc, s[2:3]
	buffer_store_dwordx4 v[8:11], v23, s[12:15], 0 offen
	buffer_store_dwordx4 v[0:3], v23, s[12:15], 16 offen
	s_andn2_b64 exec, exec, s[2:3]
	s_cbranch_execz .LBB563_67
.LBB563_3:                              ; =>This Inner Loop Header: Depth=1
	v_lshlrev_b32_e32 v23, 1, v16
	buffer_load_dwordx4 v[12:15], v23, s[4:7], 0 offen sc0 nt
	buffer_load_dwordx4 v[4:7], v23, s[4:7], 16 offen sc0 nt
	;; [unrolled: 1-line block ×4, first 2 shown]
                                        ; implicit-def: $vgpr24
	s_waitcnt vmcnt(3)
	v_lshlrev_b32_e32 v18, 16, v12
	v_mul_f32_e32 v19, 0x3f3504f3, v18
	v_cmp_nlt_f32_e64 s[20:21], |v19|, 1.0
	s_and_saveexec_b64 s[34:35], s[20:21]
	s_xor_b64 s[20:21], exec, s[34:35]
	s_cbranch_execz .LBB563_5
; %bb.4:                                ;   in Loop: Header=BB563_3 Depth=1
	v_fma_f32 v24, |v19|, s22, v21
	v_fma_f32 v24, |v19|, v24, s23
	;; [unrolled: 1-line block ×6, first 2 shown]
	v_fma_f32 v24, |v19|, v24, |v19|
	v_mul_f32_e32 v25, 0xbfb8aa3b, v24
	v_fma_f32 v26, v24, s28, -v25
	v_rndne_f32_e32 v27, v25
	v_fmac_f32_e32 v26, 0xb2a5705f, v24
	v_sub_f32_e32 v25, v25, v27
	v_add_f32_e32 v25, v25, v26
	v_cvt_i32_f32_e32 v26, v27
	v_exp_f32_e32 v25, v25
	v_cmp_nlt_f32_e32 vcc, s29, v24
	v_ldexp_f32 v25, v25, v26
	s_nop 0
	v_cndmask_b32_e32 v25, 0, v25, vcc
	v_cmp_ngt_f32_e32 vcc, s30, v24
	s_nop 1
	v_cndmask_b32_e32 v24, v22, v25, vcc
	v_sub_f32_e32 v24, 1.0, v24
.LBB563_5:                              ;   in Loop: Header=BB563_3 Depth=1
	s_andn2_saveexec_b64 s[20:21], s[20:21]
; %bb.6:                                ;   in Loop: Header=BB563_3 Depth=1
	v_mul_f32_e32 v24, v19, v19
	v_fmamk_f32 v25, v24, 0xba1345e1, v20
	v_fmaak_f32 v25, v24, v25, 0xbcdac9b8
	v_fmaak_f32 v25, v24, v25, 0x3de703be
	;; [unrolled: 1-line block ×4, first 2 shown]
	v_fma_f32 v24, |v19|, v24, |v19|
; %bb.7:                                ;   in Loop: Header=BB563_3 Depth=1
	s_or_b64 exec, exec, s[20:21]
	v_and_b32_e32 v12, 0xffff0000, v12
	v_mul_f32_e32 v25, 0x3f3504f3, v12
	v_cmp_nlt_f32_e64 s[20:21], |v25|, 1.0
                                        ; implicit-def: $vgpr26
	s_and_saveexec_b64 s[34:35], s[20:21]
	s_xor_b64 s[20:21], exec, s[34:35]
	s_cbranch_execz .LBB563_9
; %bb.8:                                ;   in Loop: Header=BB563_3 Depth=1
	v_fma_f32 v26, |v25|, s22, v21
	v_fma_f32 v26, |v25|, v26, s23
	;; [unrolled: 1-line block ×6, first 2 shown]
	v_fma_f32 v26, |v25|, v26, |v25|
	v_mul_f32_e32 v27, 0xbfb8aa3b, v26
	v_fma_f32 v28, v26, s28, -v27
	v_rndne_f32_e32 v29, v27
	v_fmac_f32_e32 v28, 0xb2a5705f, v26
	v_sub_f32_e32 v27, v27, v29
	v_add_f32_e32 v27, v27, v28
	v_cvt_i32_f32_e32 v28, v29
	v_exp_f32_e32 v27, v27
	v_cmp_nlt_f32_e32 vcc, s29, v26
	v_ldexp_f32 v27, v27, v28
	s_nop 0
	v_cndmask_b32_e32 v27, 0, v27, vcc
	v_cmp_ngt_f32_e32 vcc, s30, v26
	s_nop 1
	v_cndmask_b32_e32 v26, v22, v27, vcc
	v_sub_f32_e32 v26, 1.0, v26
.LBB563_9:                              ;   in Loop: Header=BB563_3 Depth=1
	s_andn2_saveexec_b64 s[20:21], s[20:21]
; %bb.10:                               ;   in Loop: Header=BB563_3 Depth=1
	v_mul_f32_e32 v26, v25, v25
	v_fmamk_f32 v27, v26, 0xba1345e1, v20
	v_fmaak_f32 v27, v26, v27, 0xbcdac9b8
	v_fmaak_f32 v27, v26, v27, 0x3de703be
	v_fmaak_f32 v27, v26, v27, 0xbec09330
	v_fmaak_f32 v26, v26, v27, 0x3e0375d0
	v_fma_f32 v26, |v25|, v26, |v25|
; %bb.11:                               ;   in Loop: Header=BB563_3 Depth=1
	s_or_b64 exec, exec, s[20:21]
	v_bfi_b32 v19, s31, v24, v19
	s_waitcnt vmcnt(1)
	v_and_b32_e32 v29, 0xffff0000, v8
	v_lshlrev_b32_e32 v28, 16, v8
	v_mul_f32_e32 v8, 0.5, v12
	v_bfi_b32 v12, s31, v26, v25
	v_mul_f32_e32 v18, 0.5, v18
	v_add_f32_e32 v19, 1.0, v19
	v_add_f32_e32 v12, 1.0, v12
	v_mul_f32_e32 v18, v18, v19
	v_mul_f32_e32 v19, v8, v12
	v_lshlrev_b32_e32 v8, 16, v13
	v_mul_f32_e32 v12, 0x3f3504f3, v8
	v_cmp_nlt_f32_e64 s[20:21], |v12|, 1.0
	;;#ASMSTART
	v_pk_mul_f32 v[18:19], v[18:19], v[28:29]
	;;#ASMEND
                                        ; implicit-def: $vgpr24
	s_and_saveexec_b64 s[34:35], s[20:21]
	s_xor_b64 s[20:21], exec, s[34:35]
	s_cbranch_execz .LBB563_13
; %bb.12:                               ;   in Loop: Header=BB563_3 Depth=1
	v_fma_f32 v24, |v12|, s22, v21
	v_fma_f32 v24, |v12|, v24, s23
	;; [unrolled: 1-line block ×6, first 2 shown]
	v_fma_f32 v24, |v12|, v24, |v12|
	v_mul_f32_e32 v25, 0xbfb8aa3b, v24
	v_fma_f32 v26, v24, s28, -v25
	v_rndne_f32_e32 v27, v25
	v_fmac_f32_e32 v26, 0xb2a5705f, v24
	v_sub_f32_e32 v25, v25, v27
	v_add_f32_e32 v25, v25, v26
	v_cvt_i32_f32_e32 v26, v27
	v_exp_f32_e32 v25, v25
	v_cmp_nlt_f32_e32 vcc, s29, v24
	v_ldexp_f32 v25, v25, v26
	s_nop 0
	v_cndmask_b32_e32 v25, 0, v25, vcc
	v_cmp_ngt_f32_e32 vcc, s30, v24
	s_nop 1
	v_cndmask_b32_e32 v24, v22, v25, vcc
	v_sub_f32_e32 v24, 1.0, v24
.LBB563_13:                             ;   in Loop: Header=BB563_3 Depth=1
	s_andn2_saveexec_b64 s[20:21], s[20:21]
; %bb.14:                               ;   in Loop: Header=BB563_3 Depth=1
	v_mul_f32_e32 v24, v12, v12
	v_fmamk_f32 v25, v24, 0xba1345e1, v20
	v_fmaak_f32 v25, v24, v25, 0xbcdac9b8
	v_fmaak_f32 v25, v24, v25, 0x3de703be
	;; [unrolled: 1-line block ×4, first 2 shown]
	v_fma_f32 v24, |v12|, v24, |v12|
; %bb.15:                               ;   in Loop: Header=BB563_3 Depth=1
	s_or_b64 exec, exec, s[20:21]
	v_and_b32_e32 v13, 0xffff0000, v13
	v_mul_f32_e32 v25, 0x3f3504f3, v13
	v_cmp_nlt_f32_e64 s[20:21], |v25|, 1.0
                                        ; implicit-def: $vgpr26
	s_and_saveexec_b64 s[34:35], s[20:21]
	s_xor_b64 s[20:21], exec, s[34:35]
	s_cbranch_execz .LBB563_17
; %bb.16:                               ;   in Loop: Header=BB563_3 Depth=1
	v_fma_f32 v26, |v25|, s22, v21
	v_fma_f32 v26, |v25|, v26, s23
	;; [unrolled: 1-line block ×6, first 2 shown]
	v_fma_f32 v26, |v25|, v26, |v25|
	v_mul_f32_e32 v27, 0xbfb8aa3b, v26
	v_fma_f32 v28, v26, s28, -v27
	v_rndne_f32_e32 v29, v27
	v_fmac_f32_e32 v28, 0xb2a5705f, v26
	v_sub_f32_e32 v27, v27, v29
	v_add_f32_e32 v27, v27, v28
	v_cvt_i32_f32_e32 v28, v29
	v_exp_f32_e32 v27, v27
	v_cmp_nlt_f32_e32 vcc, s29, v26
	v_ldexp_f32 v27, v27, v28
	s_nop 0
	v_cndmask_b32_e32 v27, 0, v27, vcc
	v_cmp_ngt_f32_e32 vcc, s30, v26
	s_nop 1
	v_cndmask_b32_e32 v26, v22, v27, vcc
	v_sub_f32_e32 v26, 1.0, v26
.LBB563_17:                             ;   in Loop: Header=BB563_3 Depth=1
	s_andn2_saveexec_b64 s[20:21], s[20:21]
; %bb.18:                               ;   in Loop: Header=BB563_3 Depth=1
	v_mul_f32_e32 v26, v25, v25
	v_fmamk_f32 v27, v26, 0xba1345e1, v20
	v_fmaak_f32 v27, v26, v27, 0xbcdac9b8
	v_fmaak_f32 v27, v26, v27, 0x3de703be
	;; [unrolled: 1-line block ×4, first 2 shown]
	v_fma_f32 v26, |v25|, v26, |v25|
; %bb.19:                               ;   in Loop: Header=BB563_3 Depth=1
	s_or_b64 exec, exec, s[20:21]
	v_bfi_b32 v12, s31, v24, v12
	v_mul_f32_e32 v8, 0.5, v8
	v_add_f32_e32 v12, 1.0, v12
	v_mul_f32_e32 v8, v8, v12
	v_bfi_b32 v12, s31, v26, v25
	v_and_b32_e32 v29, 0xffff0000, v9
	v_lshlrev_b32_e32 v28, 16, v9
	v_mul_f32_e32 v9, 0.5, v13
	v_add_f32_e32 v12, 1.0, v12
	v_mul_f32_e32 v9, v9, v12
	v_lshlrev_b32_e32 v12, 16, v14
	v_mul_f32_e32 v13, 0x3f3504f3, v12
	v_cmp_nlt_f32_e64 s[20:21], |v13|, 1.0
	;;#ASMSTART
	v_pk_mul_f32 v[8:9], v[8:9], v[28:29]
	;;#ASMEND
                                        ; implicit-def: $vgpr24
	s_and_saveexec_b64 s[34:35], s[20:21]
	s_xor_b64 s[20:21], exec, s[34:35]
	s_cbranch_execz .LBB563_21
; %bb.20:                               ;   in Loop: Header=BB563_3 Depth=1
	v_fma_f32 v24, |v13|, s22, v21
	v_fma_f32 v24, |v13|, v24, s23
	;; [unrolled: 1-line block ×6, first 2 shown]
	v_fma_f32 v24, |v13|, v24, |v13|
	v_mul_f32_e32 v25, 0xbfb8aa3b, v24
	v_fma_f32 v26, v24, s28, -v25
	v_rndne_f32_e32 v27, v25
	v_fmac_f32_e32 v26, 0xb2a5705f, v24
	v_sub_f32_e32 v25, v25, v27
	v_add_f32_e32 v25, v25, v26
	v_cvt_i32_f32_e32 v26, v27
	v_exp_f32_e32 v25, v25
	v_cmp_nlt_f32_e32 vcc, s29, v24
	v_ldexp_f32 v25, v25, v26
	s_nop 0
	v_cndmask_b32_e32 v25, 0, v25, vcc
	v_cmp_ngt_f32_e32 vcc, s30, v24
	s_nop 1
	v_cndmask_b32_e32 v24, v22, v25, vcc
	v_sub_f32_e32 v24, 1.0, v24
.LBB563_21:                             ;   in Loop: Header=BB563_3 Depth=1
	s_andn2_saveexec_b64 s[20:21], s[20:21]
; %bb.22:                               ;   in Loop: Header=BB563_3 Depth=1
	v_mul_f32_e32 v24, v13, v13
	v_fmamk_f32 v25, v24, 0xba1345e1, v20
	v_fmaak_f32 v25, v24, v25, 0xbcdac9b8
	v_fmaak_f32 v25, v24, v25, 0x3de703be
	v_fmaak_f32 v25, v24, v25, 0xbec09330
	v_fmaak_f32 v24, v24, v25, 0x3e0375d0
	v_fma_f32 v24, |v13|, v24, |v13|
; %bb.23:                               ;   in Loop: Header=BB563_3 Depth=1
	s_or_b64 exec, exec, s[20:21]
	v_and_b32_e32 v14, 0xffff0000, v14
	v_mul_f32_e32 v25, 0x3f3504f3, v14
	v_cmp_nlt_f32_e64 s[20:21], |v25|, 1.0
                                        ; implicit-def: $vgpr26
	s_and_saveexec_b64 s[34:35], s[20:21]
	s_xor_b64 s[20:21], exec, s[34:35]
	s_cbranch_execz .LBB563_25
; %bb.24:                               ;   in Loop: Header=BB563_3 Depth=1
	v_fma_f32 v26, |v25|, s22, v21
	v_fma_f32 v26, |v25|, v26, s23
	;; [unrolled: 1-line block ×6, first 2 shown]
	v_fma_f32 v26, |v25|, v26, |v25|
	v_mul_f32_e32 v27, 0xbfb8aa3b, v26
	v_fma_f32 v28, v26, s28, -v27
	v_rndne_f32_e32 v29, v27
	v_fmac_f32_e32 v28, 0xb2a5705f, v26
	v_sub_f32_e32 v27, v27, v29
	v_add_f32_e32 v27, v27, v28
	v_cvt_i32_f32_e32 v28, v29
	v_exp_f32_e32 v27, v27
	v_cmp_nlt_f32_e32 vcc, s29, v26
	v_ldexp_f32 v27, v27, v28
	s_nop 0
	v_cndmask_b32_e32 v27, 0, v27, vcc
	v_cmp_ngt_f32_e32 vcc, s30, v26
	s_nop 1
	v_cndmask_b32_e32 v26, v22, v27, vcc
	v_sub_f32_e32 v26, 1.0, v26
.LBB563_25:                             ;   in Loop: Header=BB563_3 Depth=1
	s_andn2_saveexec_b64 s[20:21], s[20:21]
; %bb.26:                               ;   in Loop: Header=BB563_3 Depth=1
	v_mul_f32_e32 v26, v25, v25
	v_fmamk_f32 v27, v26, 0xba1345e1, v20
	v_fmaak_f32 v27, v26, v27, 0xbcdac9b8
	v_fmaak_f32 v27, v26, v27, 0x3de703be
	;; [unrolled: 1-line block ×4, first 2 shown]
	v_fma_f32 v26, |v25|, v26, |v25|
; %bb.27:                               ;   in Loop: Header=BB563_3 Depth=1
	s_or_b64 exec, exec, s[20:21]
	v_bfi_b32 v13, s31, v24, v13
	v_mul_f32_e32 v12, 0.5, v12
	v_add_f32_e32 v13, 1.0, v13
	v_mul_f32_e32 v12, v12, v13
	v_bfi_b32 v13, s31, v26, v25
	v_and_b32_e32 v29, 0xffff0000, v10
	v_lshlrev_b32_e32 v28, 16, v10
	v_mul_f32_e32 v10, 0.5, v14
	v_add_f32_e32 v13, 1.0, v13
	v_mul_f32_e32 v13, v10, v13
	v_lshlrev_b32_e32 v10, 16, v15
	v_mul_f32_e32 v14, 0x3f3504f3, v10
	v_cmp_nlt_f32_e64 s[20:21], |v14|, 1.0
	;;#ASMSTART
	v_pk_mul_f32 v[12:13], v[12:13], v[28:29]
	;;#ASMEND
                                        ; implicit-def: $vgpr24
	s_and_saveexec_b64 s[34:35], s[20:21]
	s_xor_b64 s[20:21], exec, s[34:35]
	s_cbranch_execz .LBB563_29
; %bb.28:                               ;   in Loop: Header=BB563_3 Depth=1
	v_fma_f32 v24, |v14|, s22, v21
	v_fma_f32 v24, |v14|, v24, s23
	;; [unrolled: 1-line block ×6, first 2 shown]
	v_fma_f32 v24, |v14|, v24, |v14|
	v_mul_f32_e32 v25, 0xbfb8aa3b, v24
	v_fma_f32 v26, v24, s28, -v25
	v_rndne_f32_e32 v27, v25
	v_fmac_f32_e32 v26, 0xb2a5705f, v24
	v_sub_f32_e32 v25, v25, v27
	v_add_f32_e32 v25, v25, v26
	v_cvt_i32_f32_e32 v26, v27
	v_exp_f32_e32 v25, v25
	v_cmp_nlt_f32_e32 vcc, s29, v24
	v_ldexp_f32 v25, v25, v26
	s_nop 0
	v_cndmask_b32_e32 v25, 0, v25, vcc
	v_cmp_ngt_f32_e32 vcc, s30, v24
	s_nop 1
	v_cndmask_b32_e32 v24, v22, v25, vcc
	v_sub_f32_e32 v24, 1.0, v24
.LBB563_29:                             ;   in Loop: Header=BB563_3 Depth=1
	s_andn2_saveexec_b64 s[20:21], s[20:21]
; %bb.30:                               ;   in Loop: Header=BB563_3 Depth=1
	v_mul_f32_e32 v24, v14, v14
	v_fmamk_f32 v25, v24, 0xba1345e1, v20
	v_fmaak_f32 v25, v24, v25, 0xbcdac9b8
	v_fmaak_f32 v25, v24, v25, 0x3de703be
	;; [unrolled: 1-line block ×4, first 2 shown]
	v_fma_f32 v24, |v14|, v24, |v14|
; %bb.31:                               ;   in Loop: Header=BB563_3 Depth=1
	s_or_b64 exec, exec, s[20:21]
	v_and_b32_e32 v15, 0xffff0000, v15
	v_mul_f32_e32 v25, 0x3f3504f3, v15
	v_cmp_nlt_f32_e64 s[20:21], |v25|, 1.0
                                        ; implicit-def: $vgpr26
	s_and_saveexec_b64 s[34:35], s[20:21]
	s_xor_b64 s[20:21], exec, s[34:35]
	s_cbranch_execz .LBB563_33
; %bb.32:                               ;   in Loop: Header=BB563_3 Depth=1
	v_fma_f32 v26, |v25|, s22, v21
	v_fma_f32 v26, |v25|, v26, s23
	;; [unrolled: 1-line block ×6, first 2 shown]
	v_fma_f32 v26, |v25|, v26, |v25|
	v_mul_f32_e32 v27, 0xbfb8aa3b, v26
	v_fma_f32 v28, v26, s28, -v27
	v_rndne_f32_e32 v29, v27
	v_fmac_f32_e32 v28, 0xb2a5705f, v26
	v_sub_f32_e32 v27, v27, v29
	v_add_f32_e32 v27, v27, v28
	v_cvt_i32_f32_e32 v28, v29
	v_exp_f32_e32 v27, v27
	v_cmp_nlt_f32_e32 vcc, s29, v26
	v_ldexp_f32 v27, v27, v28
	s_nop 0
	v_cndmask_b32_e32 v27, 0, v27, vcc
	v_cmp_ngt_f32_e32 vcc, s30, v26
	s_nop 1
	v_cndmask_b32_e32 v26, v22, v27, vcc
	v_sub_f32_e32 v26, 1.0, v26
.LBB563_33:                             ;   in Loop: Header=BB563_3 Depth=1
	s_andn2_saveexec_b64 s[20:21], s[20:21]
; %bb.34:                               ;   in Loop: Header=BB563_3 Depth=1
	v_mul_f32_e32 v26, v25, v25
	v_fmamk_f32 v27, v26, 0xba1345e1, v20
	v_fmaak_f32 v27, v26, v27, 0xbcdac9b8
	v_fmaak_f32 v27, v26, v27, 0x3de703be
	;; [unrolled: 1-line block ×4, first 2 shown]
	v_fma_f32 v26, |v25|, v26, |v25|
; %bb.35:                               ;   in Loop: Header=BB563_3 Depth=1
	s_or_b64 exec, exec, s[20:21]
	v_bfi_b32 v14, s31, v24, v14
	v_mul_f32_e32 v10, 0.5, v10
	v_add_f32_e32 v14, 1.0, v14
	v_mul_f32_e32 v10, v10, v14
	v_bfi_b32 v14, s31, v26, v25
	v_and_b32_e32 v29, 0xffff0000, v11
	v_lshlrev_b32_e32 v28, 16, v11
	v_mul_f32_e32 v11, 0.5, v15
	v_add_f32_e32 v14, 1.0, v14
	v_mul_f32_e32 v11, v11, v14
	v_lshlrev_b32_e32 v14, 16, v4
	v_mul_f32_e32 v15, 0x3f3504f3, v14
	v_cmp_nlt_f32_e64 s[20:21], |v15|, 1.0
	;;#ASMSTART
	v_pk_mul_f32 v[10:11], v[10:11], v[28:29]
	;;#ASMEND
                                        ; implicit-def: $vgpr24
	s_and_saveexec_b64 s[34:35], s[20:21]
	s_xor_b64 s[20:21], exec, s[34:35]
	s_cbranch_execz .LBB563_37
; %bb.36:                               ;   in Loop: Header=BB563_3 Depth=1
	v_fma_f32 v24, |v15|, s22, v21
	v_fma_f32 v24, |v15|, v24, s23
	;; [unrolled: 1-line block ×6, first 2 shown]
	v_fma_f32 v24, |v15|, v24, |v15|
	v_mul_f32_e32 v25, 0xbfb8aa3b, v24
	v_fma_f32 v26, v24, s28, -v25
	v_rndne_f32_e32 v27, v25
	v_fmac_f32_e32 v26, 0xb2a5705f, v24
	v_sub_f32_e32 v25, v25, v27
	v_add_f32_e32 v25, v25, v26
	v_cvt_i32_f32_e32 v26, v27
	v_exp_f32_e32 v25, v25
	v_cmp_nlt_f32_e32 vcc, s29, v24
	v_ldexp_f32 v25, v25, v26
	s_nop 0
	v_cndmask_b32_e32 v25, 0, v25, vcc
	v_cmp_ngt_f32_e32 vcc, s30, v24
	s_nop 1
	v_cndmask_b32_e32 v24, v22, v25, vcc
	v_sub_f32_e32 v24, 1.0, v24
.LBB563_37:                             ;   in Loop: Header=BB563_3 Depth=1
	s_andn2_saveexec_b64 s[20:21], s[20:21]
; %bb.38:                               ;   in Loop: Header=BB563_3 Depth=1
	v_mul_f32_e32 v24, v15, v15
	v_fmamk_f32 v25, v24, 0xba1345e1, v20
	v_fmaak_f32 v25, v24, v25, 0xbcdac9b8
	v_fmaak_f32 v25, v24, v25, 0x3de703be
	;; [unrolled: 1-line block ×4, first 2 shown]
	v_fma_f32 v24, |v15|, v24, |v15|
; %bb.39:                               ;   in Loop: Header=BB563_3 Depth=1
	s_or_b64 exec, exec, s[20:21]
	v_and_b32_e32 v4, 0xffff0000, v4
	v_mul_f32_e32 v25, 0x3f3504f3, v4
	v_cmp_nlt_f32_e64 s[20:21], |v25|, 1.0
                                        ; implicit-def: $vgpr26
	s_and_saveexec_b64 s[34:35], s[20:21]
	s_xor_b64 s[20:21], exec, s[34:35]
	s_cbranch_execz .LBB563_41
; %bb.40:                               ;   in Loop: Header=BB563_3 Depth=1
	v_fma_f32 v26, |v25|, s22, v21
	v_fma_f32 v26, |v25|, v26, s23
	;; [unrolled: 1-line block ×6, first 2 shown]
	v_fma_f32 v26, |v25|, v26, |v25|
	v_mul_f32_e32 v27, 0xbfb8aa3b, v26
	v_fma_f32 v28, v26, s28, -v27
	v_rndne_f32_e32 v29, v27
	v_fmac_f32_e32 v28, 0xb2a5705f, v26
	v_sub_f32_e32 v27, v27, v29
	v_add_f32_e32 v27, v27, v28
	v_cvt_i32_f32_e32 v28, v29
	v_exp_f32_e32 v27, v27
	v_cmp_nlt_f32_e32 vcc, s29, v26
	v_ldexp_f32 v27, v27, v28
	s_nop 0
	v_cndmask_b32_e32 v27, 0, v27, vcc
	v_cmp_ngt_f32_e32 vcc, s30, v26
	s_nop 1
	v_cndmask_b32_e32 v26, v22, v27, vcc
	v_sub_f32_e32 v26, 1.0, v26
.LBB563_41:                             ;   in Loop: Header=BB563_3 Depth=1
	s_andn2_saveexec_b64 s[20:21], s[20:21]
; %bb.42:                               ;   in Loop: Header=BB563_3 Depth=1
	v_mul_f32_e32 v26, v25, v25
	v_fmamk_f32 v27, v26, 0xba1345e1, v20
	v_fmaak_f32 v27, v26, v27, 0xbcdac9b8
	v_fmaak_f32 v27, v26, v27, 0x3de703be
	;; [unrolled: 1-line block ×4, first 2 shown]
	v_fma_f32 v26, |v25|, v26, |v25|
; %bb.43:                               ;   in Loop: Header=BB563_3 Depth=1
	s_or_b64 exec, exec, s[20:21]
	v_bfi_b32 v15, s31, v24, v15
	s_waitcnt vmcnt(0)
	v_and_b32_e32 v29, 0xffff0000, v0
	v_lshlrev_b32_e32 v28, 16, v0
	v_mul_f32_e32 v0, 0.5, v4
	v_bfi_b32 v4, s31, v26, v25
	v_mul_f32_e32 v14, 0.5, v14
	v_add_f32_e32 v15, 1.0, v15
	v_add_f32_e32 v4, 1.0, v4
	v_mul_f32_e32 v14, v14, v15
	v_mul_f32_e32 v15, v0, v4
	v_lshlrev_b32_e32 v0, 16, v5
	v_mul_f32_e32 v4, 0x3f3504f3, v0
	v_cmp_nlt_f32_e64 s[20:21], |v4|, 1.0
	;;#ASMSTART
	v_pk_mul_f32 v[14:15], v[14:15], v[28:29]
	;;#ASMEND
                                        ; implicit-def: $vgpr24
	s_and_saveexec_b64 s[34:35], s[20:21]
	s_xor_b64 s[20:21], exec, s[34:35]
	s_cbranch_execz .LBB563_45
; %bb.44:                               ;   in Loop: Header=BB563_3 Depth=1
	v_fma_f32 v24, |v4|, s22, v21
	v_fma_f32 v24, |v4|, v24, s23
	;; [unrolled: 1-line block ×6, first 2 shown]
	v_fma_f32 v24, |v4|, v24, |v4|
	v_mul_f32_e32 v25, 0xbfb8aa3b, v24
	v_fma_f32 v26, v24, s28, -v25
	v_rndne_f32_e32 v27, v25
	v_fmac_f32_e32 v26, 0xb2a5705f, v24
	v_sub_f32_e32 v25, v25, v27
	v_add_f32_e32 v25, v25, v26
	v_cvt_i32_f32_e32 v26, v27
	v_exp_f32_e32 v25, v25
	v_cmp_nlt_f32_e32 vcc, s29, v24
	v_ldexp_f32 v25, v25, v26
	s_nop 0
	v_cndmask_b32_e32 v25, 0, v25, vcc
	v_cmp_ngt_f32_e32 vcc, s30, v24
	s_nop 1
	v_cndmask_b32_e32 v24, v22, v25, vcc
	v_sub_f32_e32 v24, 1.0, v24
.LBB563_45:                             ;   in Loop: Header=BB563_3 Depth=1
	s_andn2_saveexec_b64 s[20:21], s[20:21]
; %bb.46:                               ;   in Loop: Header=BB563_3 Depth=1
	v_mul_f32_e32 v24, v4, v4
	v_fmamk_f32 v25, v24, 0xba1345e1, v20
	v_fmaak_f32 v25, v24, v25, 0xbcdac9b8
	v_fmaak_f32 v25, v24, v25, 0x3de703be
	;; [unrolled: 1-line block ×4, first 2 shown]
	v_fma_f32 v24, |v4|, v24, |v4|
; %bb.47:                               ;   in Loop: Header=BB563_3 Depth=1
	s_or_b64 exec, exec, s[20:21]
	v_and_b32_e32 v5, 0xffff0000, v5
	v_mul_f32_e32 v25, 0x3f3504f3, v5
	v_cmp_nlt_f32_e64 s[20:21], |v25|, 1.0
                                        ; implicit-def: $vgpr26
	s_and_saveexec_b64 s[34:35], s[20:21]
	s_xor_b64 s[20:21], exec, s[34:35]
	s_cbranch_execz .LBB563_49
; %bb.48:                               ;   in Loop: Header=BB563_3 Depth=1
	v_fma_f32 v26, |v25|, s22, v21
	v_fma_f32 v26, |v25|, v26, s23
	;; [unrolled: 1-line block ×6, first 2 shown]
	v_fma_f32 v26, |v25|, v26, |v25|
	v_mul_f32_e32 v27, 0xbfb8aa3b, v26
	v_fma_f32 v28, v26, s28, -v27
	v_rndne_f32_e32 v29, v27
	v_fmac_f32_e32 v28, 0xb2a5705f, v26
	v_sub_f32_e32 v27, v27, v29
	v_add_f32_e32 v27, v27, v28
	v_cvt_i32_f32_e32 v28, v29
	v_exp_f32_e32 v27, v27
	v_cmp_nlt_f32_e32 vcc, s29, v26
	v_ldexp_f32 v27, v27, v28
	s_nop 0
	v_cndmask_b32_e32 v27, 0, v27, vcc
	v_cmp_ngt_f32_e32 vcc, s30, v26
	s_nop 1
	v_cndmask_b32_e32 v26, v22, v27, vcc
	v_sub_f32_e32 v26, 1.0, v26
.LBB563_49:                             ;   in Loop: Header=BB563_3 Depth=1
	s_andn2_saveexec_b64 s[20:21], s[20:21]
; %bb.50:                               ;   in Loop: Header=BB563_3 Depth=1
	v_mul_f32_e32 v26, v25, v25
	v_fmamk_f32 v27, v26, 0xba1345e1, v20
	v_fmaak_f32 v27, v26, v27, 0xbcdac9b8
	v_fmaak_f32 v27, v26, v27, 0x3de703be
	;; [unrolled: 1-line block ×4, first 2 shown]
	v_fma_f32 v26, |v25|, v26, |v25|
; %bb.51:                               ;   in Loop: Header=BB563_3 Depth=1
	s_or_b64 exec, exec, s[20:21]
	v_bfi_b32 v4, s31, v24, v4
	v_mul_f32_e32 v0, 0.5, v0
	v_add_f32_e32 v4, 1.0, v4
	v_mul_f32_e32 v0, v0, v4
	v_bfi_b32 v4, s31, v26, v25
	v_and_b32_e32 v29, 0xffff0000, v1
	v_lshlrev_b32_e32 v28, 16, v1
	v_mul_f32_e32 v1, 0.5, v5
	v_add_f32_e32 v4, 1.0, v4
	v_mul_f32_e32 v1, v1, v4
	v_lshlrev_b32_e32 v4, 16, v6
	v_mul_f32_e32 v5, 0x3f3504f3, v4
	v_cmp_nlt_f32_e64 s[20:21], |v5|, 1.0
	;;#ASMSTART
	v_pk_mul_f32 v[0:1], v[0:1], v[28:29]
	;;#ASMEND
                                        ; implicit-def: $vgpr24
	s_and_saveexec_b64 s[34:35], s[20:21]
	s_xor_b64 s[20:21], exec, s[34:35]
	s_cbranch_execz .LBB563_53
; %bb.52:                               ;   in Loop: Header=BB563_3 Depth=1
	v_fma_f32 v24, |v5|, s22, v21
	v_fma_f32 v24, |v5|, v24, s23
	;; [unrolled: 1-line block ×6, first 2 shown]
	v_fma_f32 v24, |v5|, v24, |v5|
	v_mul_f32_e32 v25, 0xbfb8aa3b, v24
	v_fma_f32 v26, v24, s28, -v25
	v_rndne_f32_e32 v27, v25
	v_fmac_f32_e32 v26, 0xb2a5705f, v24
	v_sub_f32_e32 v25, v25, v27
	v_add_f32_e32 v25, v25, v26
	v_cvt_i32_f32_e32 v26, v27
	v_exp_f32_e32 v25, v25
	v_cmp_nlt_f32_e32 vcc, s29, v24
	v_ldexp_f32 v25, v25, v26
	s_nop 0
	v_cndmask_b32_e32 v25, 0, v25, vcc
	v_cmp_ngt_f32_e32 vcc, s30, v24
	s_nop 1
	v_cndmask_b32_e32 v24, v22, v25, vcc
	v_sub_f32_e32 v24, 1.0, v24
.LBB563_53:                             ;   in Loop: Header=BB563_3 Depth=1
	s_andn2_saveexec_b64 s[20:21], s[20:21]
; %bb.54:                               ;   in Loop: Header=BB563_3 Depth=1
	v_mul_f32_e32 v24, v5, v5
	v_fmamk_f32 v25, v24, 0xba1345e1, v20
	v_fmaak_f32 v25, v24, v25, 0xbcdac9b8
	v_fmaak_f32 v25, v24, v25, 0x3de703be
	;; [unrolled: 1-line block ×4, first 2 shown]
	v_fma_f32 v24, |v5|, v24, |v5|
; %bb.55:                               ;   in Loop: Header=BB563_3 Depth=1
	s_or_b64 exec, exec, s[20:21]
	v_and_b32_e32 v6, 0xffff0000, v6
	v_mul_f32_e32 v25, 0x3f3504f3, v6
	v_cmp_nlt_f32_e64 s[20:21], |v25|, 1.0
                                        ; implicit-def: $vgpr26
	s_and_saveexec_b64 s[34:35], s[20:21]
	s_xor_b64 s[20:21], exec, s[34:35]
	s_cbranch_execz .LBB563_57
; %bb.56:                               ;   in Loop: Header=BB563_3 Depth=1
	v_fma_f32 v26, |v25|, s22, v21
	v_fma_f32 v26, |v25|, v26, s23
	;; [unrolled: 1-line block ×6, first 2 shown]
	v_fma_f32 v26, |v25|, v26, |v25|
	v_mul_f32_e32 v27, 0xbfb8aa3b, v26
	v_fma_f32 v28, v26, s28, -v27
	v_rndne_f32_e32 v29, v27
	v_fmac_f32_e32 v28, 0xb2a5705f, v26
	v_sub_f32_e32 v27, v27, v29
	v_add_f32_e32 v27, v27, v28
	v_cvt_i32_f32_e32 v28, v29
	v_exp_f32_e32 v27, v27
	v_cmp_nlt_f32_e32 vcc, s29, v26
	v_ldexp_f32 v27, v27, v28
	s_nop 0
	v_cndmask_b32_e32 v27, 0, v27, vcc
	v_cmp_ngt_f32_e32 vcc, s30, v26
	s_nop 1
	v_cndmask_b32_e32 v26, v22, v27, vcc
	v_sub_f32_e32 v26, 1.0, v26
.LBB563_57:                             ;   in Loop: Header=BB563_3 Depth=1
	s_andn2_saveexec_b64 s[20:21], s[20:21]
; %bb.58:                               ;   in Loop: Header=BB563_3 Depth=1
	v_mul_f32_e32 v26, v25, v25
	v_fmamk_f32 v27, v26, 0xba1345e1, v20
	v_fmaak_f32 v27, v26, v27, 0xbcdac9b8
	v_fmaak_f32 v27, v26, v27, 0x3de703be
	v_fmaak_f32 v27, v26, v27, 0xbec09330
	v_fmaak_f32 v26, v26, v27, 0x3e0375d0
	v_fma_f32 v26, |v25|, v26, |v25|
; %bb.59:                               ;   in Loop: Header=BB563_3 Depth=1
	s_or_b64 exec, exec, s[20:21]
	v_bfi_b32 v5, s31, v24, v5
	v_mul_f32_e32 v4, 0.5, v4
	v_add_f32_e32 v5, 1.0, v5
	v_mul_f32_e32 v4, v4, v5
	v_bfi_b32 v5, s31, v26, v25
	v_and_b32_e32 v29, 0xffff0000, v2
	v_lshlrev_b32_e32 v28, 16, v2
	v_mul_f32_e32 v2, 0.5, v6
	v_add_f32_e32 v5, 1.0, v5
	v_mul_f32_e32 v5, v2, v5
	v_lshlrev_b32_e32 v2, 16, v7
	v_mul_f32_e32 v6, 0x3f3504f3, v2
	v_cmp_nlt_f32_e64 s[20:21], |v6|, 1.0
	;;#ASMSTART
	v_pk_mul_f32 v[4:5], v[4:5], v[28:29]
	;;#ASMEND
                                        ; implicit-def: $vgpr24
	s_and_saveexec_b64 s[34:35], s[20:21]
	s_xor_b64 s[20:21], exec, s[34:35]
	s_cbranch_execz .LBB563_61
; %bb.60:                               ;   in Loop: Header=BB563_3 Depth=1
	v_fma_f32 v24, |v6|, s22, v21
	v_fma_f32 v24, |v6|, v24, s23
	;; [unrolled: 1-line block ×6, first 2 shown]
	v_fma_f32 v24, |v6|, v24, |v6|
	v_mul_f32_e32 v25, 0xbfb8aa3b, v24
	v_fma_f32 v26, v24, s28, -v25
	v_rndne_f32_e32 v27, v25
	v_fmac_f32_e32 v26, 0xb2a5705f, v24
	v_sub_f32_e32 v25, v25, v27
	v_add_f32_e32 v25, v25, v26
	v_cvt_i32_f32_e32 v26, v27
	v_exp_f32_e32 v25, v25
	v_cmp_nlt_f32_e32 vcc, s29, v24
	v_ldexp_f32 v25, v25, v26
	s_nop 0
	v_cndmask_b32_e32 v25, 0, v25, vcc
	v_cmp_ngt_f32_e32 vcc, s30, v24
	s_nop 1
	v_cndmask_b32_e32 v24, v22, v25, vcc
	v_sub_f32_e32 v24, 1.0, v24
.LBB563_61:                             ;   in Loop: Header=BB563_3 Depth=1
	s_andn2_saveexec_b64 s[20:21], s[20:21]
; %bb.62:                               ;   in Loop: Header=BB563_3 Depth=1
	v_mul_f32_e32 v24, v6, v6
	v_fmamk_f32 v25, v24, 0xba1345e1, v20
	v_fmaak_f32 v25, v24, v25, 0xbcdac9b8
	v_fmaak_f32 v25, v24, v25, 0x3de703be
	;; [unrolled: 1-line block ×4, first 2 shown]
	v_fma_f32 v24, |v6|, v24, |v6|
; %bb.63:                               ;   in Loop: Header=BB563_3 Depth=1
	s_or_b64 exec, exec, s[20:21]
	v_and_b32_e32 v7, 0xffff0000, v7
	v_mul_f32_e32 v25, 0x3f3504f3, v7
	v_cmp_nlt_f32_e64 s[20:21], |v25|, 1.0
                                        ; implicit-def: $vgpr26
	s_and_saveexec_b64 s[34:35], s[20:21]
	s_xor_b64 s[20:21], exec, s[34:35]
	s_cbranch_execz .LBB563_65
; %bb.64:                               ;   in Loop: Header=BB563_3 Depth=1
	v_fma_f32 v26, |v25|, s22, v21
	v_fma_f32 v26, |v25|, v26, s23
	;; [unrolled: 1-line block ×6, first 2 shown]
	v_fma_f32 v26, |v25|, v26, |v25|
	v_mul_f32_e32 v27, 0xbfb8aa3b, v26
	v_fma_f32 v28, v26, s28, -v27
	v_rndne_f32_e32 v29, v27
	v_fmac_f32_e32 v28, 0xb2a5705f, v26
	v_sub_f32_e32 v27, v27, v29
	v_add_f32_e32 v27, v27, v28
	v_cvt_i32_f32_e32 v28, v29
	v_exp_f32_e32 v27, v27
	v_cmp_nlt_f32_e32 vcc, s29, v26
	v_ldexp_f32 v27, v27, v28
	s_nop 0
	v_cndmask_b32_e32 v27, 0, v27, vcc
	v_cmp_ngt_f32_e32 vcc, s30, v26
	s_nop 1
	v_cndmask_b32_e32 v26, v22, v27, vcc
	v_sub_f32_e32 v26, 1.0, v26
.LBB563_65:                             ;   in Loop: Header=BB563_3 Depth=1
	s_andn2_saveexec_b64 s[20:21], s[20:21]
	s_cbranch_execz .LBB563_2
; %bb.66:                               ;   in Loop: Header=BB563_3 Depth=1
	v_mul_f32_e32 v26, v25, v25
	v_fmamk_f32 v27, v26, 0xba1345e1, v20
	v_fmaak_f32 v27, v26, v27, 0xbcdac9b8
	v_fmaak_f32 v27, v26, v27, 0x3de703be
	;; [unrolled: 1-line block ×4, first 2 shown]
	v_fma_f32 v26, |v25|, v26, |v25|
	s_branch .LBB563_2
.LBB563_67:
	s_endpgm
	.section	.rodata,"a",@progbits
	.p2align	6, 0x0
	.amdhsa_kernel _ZN5aiter18act_and_mul_kernelIttTnPFfRKT_EXadL_ZNS_11gelu_kernelItEEfS3_EELi16ELb0ELi3EEEvPT0_PS2_if
		.amdhsa_group_segment_fixed_size 0
		.amdhsa_private_segment_fixed_size 0
		.amdhsa_kernarg_size 280
		.amdhsa_user_sgpr_count 2
		.amdhsa_user_sgpr_dispatch_ptr 0
		.amdhsa_user_sgpr_queue_ptr 0
		.amdhsa_user_sgpr_kernarg_segment_ptr 1
		.amdhsa_user_sgpr_dispatch_id 0
		.amdhsa_user_sgpr_kernarg_preload_length 0
		.amdhsa_user_sgpr_kernarg_preload_offset 0
		.amdhsa_user_sgpr_private_segment_size 0
		.amdhsa_uses_dynamic_stack 0
		.amdhsa_enable_private_segment 0
		.amdhsa_system_sgpr_workgroup_id_x 1
		.amdhsa_system_sgpr_workgroup_id_y 0
		.amdhsa_system_sgpr_workgroup_id_z 0
		.amdhsa_system_sgpr_workgroup_info 0
		.amdhsa_system_vgpr_workitem_id 0
		.amdhsa_next_free_vgpr 30
		.amdhsa_next_free_sgpr 36
		.amdhsa_accum_offset 32
		.amdhsa_reserve_vcc 1
		.amdhsa_float_round_mode_32 0
		.amdhsa_float_round_mode_16_64 0
		.amdhsa_float_denorm_mode_32 3
		.amdhsa_float_denorm_mode_16_64 3
		.amdhsa_dx10_clamp 1
		.amdhsa_ieee_mode 1
		.amdhsa_fp16_overflow 0
		.amdhsa_tg_split 0
		.amdhsa_exception_fp_ieee_invalid_op 0
		.amdhsa_exception_fp_denorm_src 0
		.amdhsa_exception_fp_ieee_div_zero 0
		.amdhsa_exception_fp_ieee_overflow 0
		.amdhsa_exception_fp_ieee_underflow 0
		.amdhsa_exception_fp_ieee_inexact 0
		.amdhsa_exception_int_div_zero 0
	.end_amdhsa_kernel
	.section	.text._ZN5aiter18act_and_mul_kernelIttTnPFfRKT_EXadL_ZNS_11gelu_kernelItEEfS3_EELi16ELb0ELi3EEEvPT0_PS2_if,"axG",@progbits,_ZN5aiter18act_and_mul_kernelIttTnPFfRKT_EXadL_ZNS_11gelu_kernelItEEfS3_EELi16ELb0ELi3EEEvPT0_PS2_if,comdat
.Lfunc_end563:
	.size	_ZN5aiter18act_and_mul_kernelIttTnPFfRKT_EXadL_ZNS_11gelu_kernelItEEfS3_EELi16ELb0ELi3EEEvPT0_PS2_if, .Lfunc_end563-_ZN5aiter18act_and_mul_kernelIttTnPFfRKT_EXadL_ZNS_11gelu_kernelItEEfS3_EELi16ELb0ELi3EEEvPT0_PS2_if
                                        ; -- End function
	.section	.AMDGPU.csdata,"",@progbits
; Kernel info:
; codeLenInByte = 4644
; NumSgprs: 42
; NumVgprs: 30
; NumAgprs: 0
; TotalNumVgprs: 30
; ScratchSize: 0
; MemoryBound: 0
; FloatMode: 240
; IeeeMode: 1
; LDSByteSize: 0 bytes/workgroup (compile time only)
; SGPRBlocks: 5
; VGPRBlocks: 3
; NumSGPRsForWavesPerEU: 42
; NumVGPRsForWavesPerEU: 30
; AccumOffset: 32
; Occupancy: 8
; WaveLimiterHint : 0
; COMPUTE_PGM_RSRC2:SCRATCH_EN: 0
; COMPUTE_PGM_RSRC2:USER_SGPR: 2
; COMPUTE_PGM_RSRC2:TRAP_HANDLER: 0
; COMPUTE_PGM_RSRC2:TGID_X_EN: 1
; COMPUTE_PGM_RSRC2:TGID_Y_EN: 0
; COMPUTE_PGM_RSRC2:TGID_Z_EN: 0
; COMPUTE_PGM_RSRC2:TIDIG_COMP_CNT: 0
; COMPUTE_PGM_RSRC3_GFX90A:ACCUM_OFFSET: 7
; COMPUTE_PGM_RSRC3_GFX90A:TG_SPLIT: 0
	.section	.text._ZN5aiter18act_and_mul_kernelIttTnPFfRKT_EXadL_ZNS_11gelu_kernelItEEfS3_EELi8ELb0ELi3EEEvPT0_PS2_if,"axG",@progbits,_ZN5aiter18act_and_mul_kernelIttTnPFfRKT_EXadL_ZNS_11gelu_kernelItEEfS3_EELi8ELb0ELi3EEEvPT0_PS2_if,comdat
	.protected	_ZN5aiter18act_and_mul_kernelIttTnPFfRKT_EXadL_ZNS_11gelu_kernelItEEfS3_EELi8ELb0ELi3EEEvPT0_PS2_if ; -- Begin function _ZN5aiter18act_and_mul_kernelIttTnPFfRKT_EXadL_ZNS_11gelu_kernelItEEfS3_EELi8ELb0ELi3EEEvPT0_PS2_if
	.globl	_ZN5aiter18act_and_mul_kernelIttTnPFfRKT_EXadL_ZNS_11gelu_kernelItEEfS3_EELi8ELb0ELi3EEEvPT0_PS2_if
	.p2align	8
	.type	_ZN5aiter18act_and_mul_kernelIttTnPFfRKT_EXadL_ZNS_11gelu_kernelItEEfS3_EELi8ELb0ELi3EEEvPT0_PS2_if,@function
_ZN5aiter18act_and_mul_kernelIttTnPFfRKT_EXadL_ZNS_11gelu_kernelItEEfS3_EELi8ELb0ELi3EEEvPT0_PS2_if: ; @_ZN5aiter18act_and_mul_kernelIttTnPFfRKT_EXadL_ZNS_11gelu_kernelItEEfS3_EELi8ELb0ELi3EEEvPT0_PS2_if
; %bb.0:
	s_load_dword s16, s[0:1], 0x10
	v_lshlrev_b32_e32 v8, 3, v0
	s_waitcnt lgkmcnt(0)
	v_cmp_gt_i32_e32 vcc, s16, v8
	s_and_saveexec_b64 s[4:5], vcc
	s_cbranch_execz .LBB564_35
; %bb.1:
	s_load_dwordx4 s[12:15], s[0:1], 0x0
	s_ashr_i32 s17, s16, 31
	s_mul_hi_u32 s3, s16, s2
	s_mul_i32 s4, s17, s2
	s_add_i32 s3, s3, s4
	s_mul_i32 s2, s16, s2
	s_lshl_b64 s[10:11], s[2:3], 1
	s_lshl_b64 s[2:3], s[2:3], 2
	s_waitcnt lgkmcnt(0)
	s_add_u32 s4, s14, s2
	s_addc_u32 s5, s15, s3
	s_lshl_b64 s[2:3], s[16:17], 1
	s_add_u32 s8, s4, s2
	s_addc_u32 s2, s5, s3
	s_add_i32 s3, s16, 1
	s_lshr_b32 s6, s3, 31
	s_add_i32 s3, s3, s6
	s_lshl_b32 s3, s3, 1
	s_and_b32 s6, s3, -4
	s_and_b32 s5, s5, 0xffff
	s_and_b32 s9, s2, 0xffff
	s_add_u32 s12, s12, s10
	s_addc_u32 s2, s13, s11
	s_and_b32 s13, s2, 0xffff
	s_mov_b32 s7, 0x20000
	s_add_u32 s0, s0, 24
	v_mov_b32_e32 v9, 0
	s_addc_u32 s1, s1, 0
	s_mov_b64 s[2:3], 0
	s_mov_b32 s19, 0
	s_mov_b32 s10, s6
	;; [unrolled: 1-line block ×12, first 2 shown]
	v_mov_b32_e32 v12, 0x3ba10414
	s_brev_b32 s31, -2
	s_mov_b32 s33, 0x7060302
	v_mov_b32_e32 v13, 0xb9c68948
	v_mov_b32_e32 v14, 0x7f800000
	s_mov_b32 s14, s6
	s_mov_b32 s15, s7
                                        ; implicit-def: $vgpr0
                                        ; implicit-def: $vgpr0
	;; [unrolled: 1-line block ×4, first 2 shown]
	s_branch .LBB564_3
.LBB564_2:                              ;   in Loop: Header=BB564_3 Depth=1
	s_or_b64 exec, exec, s[20:21]
	v_bfi_b32 v6, s31, v16, v6
	v_mul_f32_e32 v2, 0.5, v2
	v_add_f32_e32 v6, 1.0, v6
	v_mul_f32_e32 v2, v2, v6
	v_bfi_b32 v6, s31, v18, v17
	v_and_b32_e32 v21, 0xffff0000, v3
	v_lshlrev_b32_e32 v20, 16, v3
	v_mul_f32_e32 v3, 0.5, v7
	v_add_f32_e32 v6, 1.0, v6
	v_mul_f32_e32 v3, v3, v6
	;;#ASMSTART
	v_pk_mul_f32 v[2:3], v[2:3], v[20:21]
	;;#ASMEND
	s_load_dword s18, s[0:1], 0xc
	v_perm_b32 v3, v3, v2, s33
	v_perm_b32 v2, v5, v4, s33
	;; [unrolled: 1-line block ×4, first 2 shown]
	s_waitcnt lgkmcnt(0)
	s_and_b32 s18, s18, 0xffff
	s_lshl_b32 s18, s18, 3
	v_lshl_add_u64 v[8:9], s[18:19], 0, v[8:9]
	v_cmp_le_i64_e32 vcc, s[16:17], v[8:9]
	s_or_b64 s[2:3], vcc, s[2:3]
	buffer_store_dwordx4 v[0:3], v15, s[12:15], 0 offen
	s_andn2_b64 exec, exec, s[2:3]
	s_cbranch_execz .LBB564_35
.LBB564_3:                              ; =>This Inner Loop Header: Depth=1
	v_lshlrev_b32_e32 v15, 1, v8
	buffer_load_dwordx4 v[4:7], v15, s[4:7], 0 offen sc0 nt
	buffer_load_dwordx4 v[0:3], v15, s[8:11], 0 offen sc0 nt
                                        ; implicit-def: $vgpr16
	s_waitcnt vmcnt(1)
	v_lshlrev_b32_e32 v10, 16, v4
	v_mul_f32_e32 v11, 0x3f3504f3, v10
	v_cmp_nlt_f32_e64 s[20:21], |v11|, 1.0
	s_and_saveexec_b64 s[34:35], s[20:21]
	s_xor_b64 s[20:21], exec, s[34:35]
	s_cbranch_execz .LBB564_5
; %bb.4:                                ;   in Loop: Header=BB564_3 Depth=1
	v_fma_f32 v16, |v11|, s22, v13
	v_fma_f32 v16, |v11|, v16, s23
	;; [unrolled: 1-line block ×6, first 2 shown]
	v_fma_f32 v16, |v11|, v16, |v11|
	v_mul_f32_e32 v17, 0xbfb8aa3b, v16
	v_fma_f32 v18, v16, s28, -v17
	v_rndne_f32_e32 v19, v17
	v_fmac_f32_e32 v18, 0xb2a5705f, v16
	v_sub_f32_e32 v17, v17, v19
	v_add_f32_e32 v17, v17, v18
	v_cvt_i32_f32_e32 v18, v19
	v_exp_f32_e32 v17, v17
	v_cmp_nlt_f32_e32 vcc, s29, v16
	v_ldexp_f32 v17, v17, v18
	s_nop 0
	v_cndmask_b32_e32 v17, 0, v17, vcc
	v_cmp_ngt_f32_e32 vcc, s30, v16
	s_nop 1
	v_cndmask_b32_e32 v16, v14, v17, vcc
	v_sub_f32_e32 v16, 1.0, v16
.LBB564_5:                              ;   in Loop: Header=BB564_3 Depth=1
	s_andn2_saveexec_b64 s[20:21], s[20:21]
; %bb.6:                                ;   in Loop: Header=BB564_3 Depth=1
	v_mul_f32_e32 v16, v11, v11
	v_fmamk_f32 v17, v16, 0xba1345e1, v12
	v_fmaak_f32 v17, v16, v17, 0xbcdac9b8
	v_fmaak_f32 v17, v16, v17, 0x3de703be
	;; [unrolled: 1-line block ×4, first 2 shown]
	v_fma_f32 v16, |v11|, v16, |v11|
; %bb.7:                                ;   in Loop: Header=BB564_3 Depth=1
	s_or_b64 exec, exec, s[20:21]
	v_and_b32_e32 v4, 0xffff0000, v4
	v_mul_f32_e32 v17, 0x3f3504f3, v4
	v_cmp_nlt_f32_e64 s[20:21], |v17|, 1.0
                                        ; implicit-def: $vgpr18
	s_and_saveexec_b64 s[34:35], s[20:21]
	s_xor_b64 s[20:21], exec, s[34:35]
	s_cbranch_execz .LBB564_9
; %bb.8:                                ;   in Loop: Header=BB564_3 Depth=1
	v_fma_f32 v18, |v17|, s22, v13
	v_fma_f32 v18, |v17|, v18, s23
	v_fma_f32 v18, |v17|, v18, s24
	v_fma_f32 v18, |v17|, v18, s25
	v_fma_f32 v18, |v17|, v18, s26
	v_fma_f32 v18, |v17|, v18, s27
	v_fma_f32 v18, |v17|, v18, |v17|
	v_mul_f32_e32 v19, 0xbfb8aa3b, v18
	v_fma_f32 v20, v18, s28, -v19
	v_rndne_f32_e32 v21, v19
	v_fmac_f32_e32 v20, 0xb2a5705f, v18
	v_sub_f32_e32 v19, v19, v21
	v_add_f32_e32 v19, v19, v20
	v_cvt_i32_f32_e32 v20, v21
	v_exp_f32_e32 v19, v19
	v_cmp_nlt_f32_e32 vcc, s29, v18
	v_ldexp_f32 v19, v19, v20
	s_nop 0
	v_cndmask_b32_e32 v19, 0, v19, vcc
	v_cmp_ngt_f32_e32 vcc, s30, v18
	s_nop 1
	v_cndmask_b32_e32 v18, v14, v19, vcc
	v_sub_f32_e32 v18, 1.0, v18
.LBB564_9:                              ;   in Loop: Header=BB564_3 Depth=1
	s_andn2_saveexec_b64 s[20:21], s[20:21]
; %bb.10:                               ;   in Loop: Header=BB564_3 Depth=1
	v_mul_f32_e32 v18, v17, v17
	v_fmamk_f32 v19, v18, 0xba1345e1, v12
	v_fmaak_f32 v19, v18, v19, 0xbcdac9b8
	v_fmaak_f32 v19, v18, v19, 0x3de703be
	;; [unrolled: 1-line block ×4, first 2 shown]
	v_fma_f32 v18, |v17|, v18, |v17|
; %bb.11:                               ;   in Loop: Header=BB564_3 Depth=1
	s_or_b64 exec, exec, s[20:21]
	v_bfi_b32 v11, s31, v16, v11
	s_waitcnt vmcnt(0)
	v_and_b32_e32 v21, 0xffff0000, v0
	v_lshlrev_b32_e32 v20, 16, v0
	v_mul_f32_e32 v0, 0.5, v4
	v_bfi_b32 v4, s31, v18, v17
	v_mul_f32_e32 v10, 0.5, v10
	v_add_f32_e32 v11, 1.0, v11
	v_add_f32_e32 v4, 1.0, v4
	v_mul_f32_e32 v10, v10, v11
	v_mul_f32_e32 v11, v0, v4
	v_lshlrev_b32_e32 v0, 16, v5
	v_mul_f32_e32 v4, 0x3f3504f3, v0
	v_cmp_nlt_f32_e64 s[20:21], |v4|, 1.0
	;;#ASMSTART
	v_pk_mul_f32 v[10:11], v[10:11], v[20:21]
	;;#ASMEND
                                        ; implicit-def: $vgpr16
	s_and_saveexec_b64 s[34:35], s[20:21]
	s_xor_b64 s[20:21], exec, s[34:35]
	s_cbranch_execz .LBB564_13
; %bb.12:                               ;   in Loop: Header=BB564_3 Depth=1
	v_fma_f32 v16, |v4|, s22, v13
	v_fma_f32 v16, |v4|, v16, s23
	;; [unrolled: 1-line block ×6, first 2 shown]
	v_fma_f32 v16, |v4|, v16, |v4|
	v_mul_f32_e32 v17, 0xbfb8aa3b, v16
	v_fma_f32 v18, v16, s28, -v17
	v_rndne_f32_e32 v19, v17
	v_fmac_f32_e32 v18, 0xb2a5705f, v16
	v_sub_f32_e32 v17, v17, v19
	v_add_f32_e32 v17, v17, v18
	v_cvt_i32_f32_e32 v18, v19
	v_exp_f32_e32 v17, v17
	v_cmp_nlt_f32_e32 vcc, s29, v16
	v_ldexp_f32 v17, v17, v18
	s_nop 0
	v_cndmask_b32_e32 v17, 0, v17, vcc
	v_cmp_ngt_f32_e32 vcc, s30, v16
	s_nop 1
	v_cndmask_b32_e32 v16, v14, v17, vcc
	v_sub_f32_e32 v16, 1.0, v16
.LBB564_13:                             ;   in Loop: Header=BB564_3 Depth=1
	s_andn2_saveexec_b64 s[20:21], s[20:21]
; %bb.14:                               ;   in Loop: Header=BB564_3 Depth=1
	v_mul_f32_e32 v16, v4, v4
	v_fmamk_f32 v17, v16, 0xba1345e1, v12
	v_fmaak_f32 v17, v16, v17, 0xbcdac9b8
	v_fmaak_f32 v17, v16, v17, 0x3de703be
	;; [unrolled: 1-line block ×4, first 2 shown]
	v_fma_f32 v16, |v4|, v16, |v4|
; %bb.15:                               ;   in Loop: Header=BB564_3 Depth=1
	s_or_b64 exec, exec, s[20:21]
	v_and_b32_e32 v5, 0xffff0000, v5
	v_mul_f32_e32 v17, 0x3f3504f3, v5
	v_cmp_nlt_f32_e64 s[20:21], |v17|, 1.0
                                        ; implicit-def: $vgpr18
	s_and_saveexec_b64 s[34:35], s[20:21]
	s_xor_b64 s[20:21], exec, s[34:35]
	s_cbranch_execz .LBB564_17
; %bb.16:                               ;   in Loop: Header=BB564_3 Depth=1
	v_fma_f32 v18, |v17|, s22, v13
	v_fma_f32 v18, |v17|, v18, s23
	;; [unrolled: 1-line block ×6, first 2 shown]
	v_fma_f32 v18, |v17|, v18, |v17|
	v_mul_f32_e32 v19, 0xbfb8aa3b, v18
	v_fma_f32 v20, v18, s28, -v19
	v_rndne_f32_e32 v21, v19
	v_fmac_f32_e32 v20, 0xb2a5705f, v18
	v_sub_f32_e32 v19, v19, v21
	v_add_f32_e32 v19, v19, v20
	v_cvt_i32_f32_e32 v20, v21
	v_exp_f32_e32 v19, v19
	v_cmp_nlt_f32_e32 vcc, s29, v18
	v_ldexp_f32 v19, v19, v20
	s_nop 0
	v_cndmask_b32_e32 v19, 0, v19, vcc
	v_cmp_ngt_f32_e32 vcc, s30, v18
	s_nop 1
	v_cndmask_b32_e32 v18, v14, v19, vcc
	v_sub_f32_e32 v18, 1.0, v18
.LBB564_17:                             ;   in Loop: Header=BB564_3 Depth=1
	s_andn2_saveexec_b64 s[20:21], s[20:21]
; %bb.18:                               ;   in Loop: Header=BB564_3 Depth=1
	v_mul_f32_e32 v18, v17, v17
	v_fmamk_f32 v19, v18, 0xba1345e1, v12
	v_fmaak_f32 v19, v18, v19, 0xbcdac9b8
	v_fmaak_f32 v19, v18, v19, 0x3de703be
	;; [unrolled: 1-line block ×4, first 2 shown]
	v_fma_f32 v18, |v17|, v18, |v17|
; %bb.19:                               ;   in Loop: Header=BB564_3 Depth=1
	s_or_b64 exec, exec, s[20:21]
	v_bfi_b32 v4, s31, v16, v4
	v_mul_f32_e32 v0, 0.5, v0
	v_add_f32_e32 v4, 1.0, v4
	v_mul_f32_e32 v0, v0, v4
	v_bfi_b32 v4, s31, v18, v17
	v_and_b32_e32 v21, 0xffff0000, v1
	v_lshlrev_b32_e32 v20, 16, v1
	v_mul_f32_e32 v1, 0.5, v5
	v_add_f32_e32 v4, 1.0, v4
	v_mul_f32_e32 v1, v1, v4
	v_lshlrev_b32_e32 v4, 16, v6
	v_mul_f32_e32 v5, 0x3f3504f3, v4
	v_cmp_nlt_f32_e64 s[20:21], |v5|, 1.0
	;;#ASMSTART
	v_pk_mul_f32 v[0:1], v[0:1], v[20:21]
	;;#ASMEND
                                        ; implicit-def: $vgpr16
	s_and_saveexec_b64 s[34:35], s[20:21]
	s_xor_b64 s[20:21], exec, s[34:35]
	s_cbranch_execz .LBB564_21
; %bb.20:                               ;   in Loop: Header=BB564_3 Depth=1
	v_fma_f32 v16, |v5|, s22, v13
	v_fma_f32 v16, |v5|, v16, s23
	;; [unrolled: 1-line block ×6, first 2 shown]
	v_fma_f32 v16, |v5|, v16, |v5|
	v_mul_f32_e32 v17, 0xbfb8aa3b, v16
	v_fma_f32 v18, v16, s28, -v17
	v_rndne_f32_e32 v19, v17
	v_fmac_f32_e32 v18, 0xb2a5705f, v16
	v_sub_f32_e32 v17, v17, v19
	v_add_f32_e32 v17, v17, v18
	v_cvt_i32_f32_e32 v18, v19
	v_exp_f32_e32 v17, v17
	v_cmp_nlt_f32_e32 vcc, s29, v16
	v_ldexp_f32 v17, v17, v18
	s_nop 0
	v_cndmask_b32_e32 v17, 0, v17, vcc
	v_cmp_ngt_f32_e32 vcc, s30, v16
	s_nop 1
	v_cndmask_b32_e32 v16, v14, v17, vcc
	v_sub_f32_e32 v16, 1.0, v16
.LBB564_21:                             ;   in Loop: Header=BB564_3 Depth=1
	s_andn2_saveexec_b64 s[20:21], s[20:21]
; %bb.22:                               ;   in Loop: Header=BB564_3 Depth=1
	v_mul_f32_e32 v16, v5, v5
	v_fmamk_f32 v17, v16, 0xba1345e1, v12
	v_fmaak_f32 v17, v16, v17, 0xbcdac9b8
	v_fmaak_f32 v17, v16, v17, 0x3de703be
	;; [unrolled: 1-line block ×4, first 2 shown]
	v_fma_f32 v16, |v5|, v16, |v5|
; %bb.23:                               ;   in Loop: Header=BB564_3 Depth=1
	s_or_b64 exec, exec, s[20:21]
	v_and_b32_e32 v6, 0xffff0000, v6
	v_mul_f32_e32 v17, 0x3f3504f3, v6
	v_cmp_nlt_f32_e64 s[20:21], |v17|, 1.0
                                        ; implicit-def: $vgpr18
	s_and_saveexec_b64 s[34:35], s[20:21]
	s_xor_b64 s[20:21], exec, s[34:35]
	s_cbranch_execz .LBB564_25
; %bb.24:                               ;   in Loop: Header=BB564_3 Depth=1
	v_fma_f32 v18, |v17|, s22, v13
	v_fma_f32 v18, |v17|, v18, s23
	;; [unrolled: 1-line block ×6, first 2 shown]
	v_fma_f32 v18, |v17|, v18, |v17|
	v_mul_f32_e32 v19, 0xbfb8aa3b, v18
	v_fma_f32 v20, v18, s28, -v19
	v_rndne_f32_e32 v21, v19
	v_fmac_f32_e32 v20, 0xb2a5705f, v18
	v_sub_f32_e32 v19, v19, v21
	v_add_f32_e32 v19, v19, v20
	v_cvt_i32_f32_e32 v20, v21
	v_exp_f32_e32 v19, v19
	v_cmp_nlt_f32_e32 vcc, s29, v18
	v_ldexp_f32 v19, v19, v20
	s_nop 0
	v_cndmask_b32_e32 v19, 0, v19, vcc
	v_cmp_ngt_f32_e32 vcc, s30, v18
	s_nop 1
	v_cndmask_b32_e32 v18, v14, v19, vcc
	v_sub_f32_e32 v18, 1.0, v18
.LBB564_25:                             ;   in Loop: Header=BB564_3 Depth=1
	s_andn2_saveexec_b64 s[20:21], s[20:21]
; %bb.26:                               ;   in Loop: Header=BB564_3 Depth=1
	v_mul_f32_e32 v18, v17, v17
	v_fmamk_f32 v19, v18, 0xba1345e1, v12
	v_fmaak_f32 v19, v18, v19, 0xbcdac9b8
	v_fmaak_f32 v19, v18, v19, 0x3de703be
	v_fmaak_f32 v19, v18, v19, 0xbec09330
	v_fmaak_f32 v18, v18, v19, 0x3e0375d0
	v_fma_f32 v18, |v17|, v18, |v17|
; %bb.27:                               ;   in Loop: Header=BB564_3 Depth=1
	s_or_b64 exec, exec, s[20:21]
	v_bfi_b32 v5, s31, v16, v5
	v_mul_f32_e32 v4, 0.5, v4
	v_add_f32_e32 v5, 1.0, v5
	v_mul_f32_e32 v4, v4, v5
	v_bfi_b32 v5, s31, v18, v17
	v_and_b32_e32 v21, 0xffff0000, v2
	v_lshlrev_b32_e32 v20, 16, v2
	v_mul_f32_e32 v2, 0.5, v6
	v_add_f32_e32 v5, 1.0, v5
	v_mul_f32_e32 v5, v2, v5
	v_lshlrev_b32_e32 v2, 16, v7
	v_mul_f32_e32 v6, 0x3f3504f3, v2
	v_cmp_nlt_f32_e64 s[20:21], |v6|, 1.0
	;;#ASMSTART
	v_pk_mul_f32 v[4:5], v[4:5], v[20:21]
	;;#ASMEND
                                        ; implicit-def: $vgpr16
	s_and_saveexec_b64 s[34:35], s[20:21]
	s_xor_b64 s[20:21], exec, s[34:35]
	s_cbranch_execz .LBB564_29
; %bb.28:                               ;   in Loop: Header=BB564_3 Depth=1
	v_fma_f32 v16, |v6|, s22, v13
	v_fma_f32 v16, |v6|, v16, s23
	v_fma_f32 v16, |v6|, v16, s24
	v_fma_f32 v16, |v6|, v16, s25
	v_fma_f32 v16, |v6|, v16, s26
	v_fma_f32 v16, |v6|, v16, s27
	v_fma_f32 v16, |v6|, v16, |v6|
	v_mul_f32_e32 v17, 0xbfb8aa3b, v16
	v_fma_f32 v18, v16, s28, -v17
	v_rndne_f32_e32 v19, v17
	v_fmac_f32_e32 v18, 0xb2a5705f, v16
	v_sub_f32_e32 v17, v17, v19
	v_add_f32_e32 v17, v17, v18
	v_cvt_i32_f32_e32 v18, v19
	v_exp_f32_e32 v17, v17
	v_cmp_nlt_f32_e32 vcc, s29, v16
	v_ldexp_f32 v17, v17, v18
	s_nop 0
	v_cndmask_b32_e32 v17, 0, v17, vcc
	v_cmp_ngt_f32_e32 vcc, s30, v16
	s_nop 1
	v_cndmask_b32_e32 v16, v14, v17, vcc
	v_sub_f32_e32 v16, 1.0, v16
.LBB564_29:                             ;   in Loop: Header=BB564_3 Depth=1
	s_andn2_saveexec_b64 s[20:21], s[20:21]
; %bb.30:                               ;   in Loop: Header=BB564_3 Depth=1
	v_mul_f32_e32 v16, v6, v6
	v_fmamk_f32 v17, v16, 0xba1345e1, v12
	v_fmaak_f32 v17, v16, v17, 0xbcdac9b8
	v_fmaak_f32 v17, v16, v17, 0x3de703be
	;; [unrolled: 1-line block ×4, first 2 shown]
	v_fma_f32 v16, |v6|, v16, |v6|
; %bb.31:                               ;   in Loop: Header=BB564_3 Depth=1
	s_or_b64 exec, exec, s[20:21]
	v_and_b32_e32 v7, 0xffff0000, v7
	v_mul_f32_e32 v17, 0x3f3504f3, v7
	v_cmp_nlt_f32_e64 s[20:21], |v17|, 1.0
                                        ; implicit-def: $vgpr18
	s_and_saveexec_b64 s[34:35], s[20:21]
	s_xor_b64 s[20:21], exec, s[34:35]
	s_cbranch_execz .LBB564_33
; %bb.32:                               ;   in Loop: Header=BB564_3 Depth=1
	v_fma_f32 v18, |v17|, s22, v13
	v_fma_f32 v18, |v17|, v18, s23
	;; [unrolled: 1-line block ×6, first 2 shown]
	v_fma_f32 v18, |v17|, v18, |v17|
	v_mul_f32_e32 v19, 0xbfb8aa3b, v18
	v_fma_f32 v20, v18, s28, -v19
	v_rndne_f32_e32 v21, v19
	v_fmac_f32_e32 v20, 0xb2a5705f, v18
	v_sub_f32_e32 v19, v19, v21
	v_add_f32_e32 v19, v19, v20
	v_cvt_i32_f32_e32 v20, v21
	v_exp_f32_e32 v19, v19
	v_cmp_nlt_f32_e32 vcc, s29, v18
	v_ldexp_f32 v19, v19, v20
	s_nop 0
	v_cndmask_b32_e32 v19, 0, v19, vcc
	v_cmp_ngt_f32_e32 vcc, s30, v18
	s_nop 1
	v_cndmask_b32_e32 v18, v14, v19, vcc
	v_sub_f32_e32 v18, 1.0, v18
.LBB564_33:                             ;   in Loop: Header=BB564_3 Depth=1
	s_andn2_saveexec_b64 s[20:21], s[20:21]
	s_cbranch_execz .LBB564_2
; %bb.34:                               ;   in Loop: Header=BB564_3 Depth=1
	v_mul_f32_e32 v18, v17, v17
	v_fmamk_f32 v19, v18, 0xba1345e1, v12
	v_fmaak_f32 v19, v18, v19, 0xbcdac9b8
	v_fmaak_f32 v19, v18, v19, 0x3de703be
	;; [unrolled: 1-line block ×4, first 2 shown]
	v_fma_f32 v18, |v17|, v18, |v17|
	s_branch .LBB564_2
.LBB564_35:
	s_endpgm
	.section	.rodata,"a",@progbits
	.p2align	6, 0x0
	.amdhsa_kernel _ZN5aiter18act_and_mul_kernelIttTnPFfRKT_EXadL_ZNS_11gelu_kernelItEEfS3_EELi8ELb0ELi3EEEvPT0_PS2_if
		.amdhsa_group_segment_fixed_size 0
		.amdhsa_private_segment_fixed_size 0
		.amdhsa_kernarg_size 280
		.amdhsa_user_sgpr_count 2
		.amdhsa_user_sgpr_dispatch_ptr 0
		.amdhsa_user_sgpr_queue_ptr 0
		.amdhsa_user_sgpr_kernarg_segment_ptr 1
		.amdhsa_user_sgpr_dispatch_id 0
		.amdhsa_user_sgpr_kernarg_preload_length 0
		.amdhsa_user_sgpr_kernarg_preload_offset 0
		.amdhsa_user_sgpr_private_segment_size 0
		.amdhsa_uses_dynamic_stack 0
		.amdhsa_enable_private_segment 0
		.amdhsa_system_sgpr_workgroup_id_x 1
		.amdhsa_system_sgpr_workgroup_id_y 0
		.amdhsa_system_sgpr_workgroup_id_z 0
		.amdhsa_system_sgpr_workgroup_info 0
		.amdhsa_system_vgpr_workitem_id 0
		.amdhsa_next_free_vgpr 22
		.amdhsa_next_free_sgpr 36
		.amdhsa_accum_offset 24
		.amdhsa_reserve_vcc 1
		.amdhsa_float_round_mode_32 0
		.amdhsa_float_round_mode_16_64 0
		.amdhsa_float_denorm_mode_32 3
		.amdhsa_float_denorm_mode_16_64 3
		.amdhsa_dx10_clamp 1
		.amdhsa_ieee_mode 1
		.amdhsa_fp16_overflow 0
		.amdhsa_tg_split 0
		.amdhsa_exception_fp_ieee_invalid_op 0
		.amdhsa_exception_fp_denorm_src 0
		.amdhsa_exception_fp_ieee_div_zero 0
		.amdhsa_exception_fp_ieee_overflow 0
		.amdhsa_exception_fp_ieee_underflow 0
		.amdhsa_exception_fp_ieee_inexact 0
		.amdhsa_exception_int_div_zero 0
	.end_amdhsa_kernel
	.section	.text._ZN5aiter18act_and_mul_kernelIttTnPFfRKT_EXadL_ZNS_11gelu_kernelItEEfS3_EELi8ELb0ELi3EEEvPT0_PS2_if,"axG",@progbits,_ZN5aiter18act_and_mul_kernelIttTnPFfRKT_EXadL_ZNS_11gelu_kernelItEEfS3_EELi8ELb0ELi3EEEvPT0_PS2_if,comdat
.Lfunc_end564:
	.size	_ZN5aiter18act_and_mul_kernelIttTnPFfRKT_EXadL_ZNS_11gelu_kernelItEEfS3_EELi8ELb0ELi3EEEvPT0_PS2_if, .Lfunc_end564-_ZN5aiter18act_and_mul_kernelIttTnPFfRKT_EXadL_ZNS_11gelu_kernelItEEfS3_EELi8ELb0ELi3EEEvPT0_PS2_if
                                        ; -- End function
	.section	.AMDGPU.csdata,"",@progbits
; Kernel info:
; codeLenInByte = 2504
; NumSgprs: 42
; NumVgprs: 22
; NumAgprs: 0
; TotalNumVgprs: 22
; ScratchSize: 0
; MemoryBound: 0
; FloatMode: 240
; IeeeMode: 1
; LDSByteSize: 0 bytes/workgroup (compile time only)
; SGPRBlocks: 5
; VGPRBlocks: 2
; NumSGPRsForWavesPerEU: 42
; NumVGPRsForWavesPerEU: 22
; AccumOffset: 24
; Occupancy: 8
; WaveLimiterHint : 0
; COMPUTE_PGM_RSRC2:SCRATCH_EN: 0
; COMPUTE_PGM_RSRC2:USER_SGPR: 2
; COMPUTE_PGM_RSRC2:TRAP_HANDLER: 0
; COMPUTE_PGM_RSRC2:TGID_X_EN: 1
; COMPUTE_PGM_RSRC2:TGID_Y_EN: 0
; COMPUTE_PGM_RSRC2:TGID_Z_EN: 0
; COMPUTE_PGM_RSRC2:TIDIG_COMP_CNT: 0
; COMPUTE_PGM_RSRC3_GFX90A:ACCUM_OFFSET: 5
; COMPUTE_PGM_RSRC3_GFX90A:TG_SPLIT: 0
	.section	.text._ZN5aiter18act_and_mul_kernelIttTnPFfRKT_EXadL_ZNS_11gelu_kernelItEEfS3_EELi4ELb0ELi3EEEvPT0_PS2_if,"axG",@progbits,_ZN5aiter18act_and_mul_kernelIttTnPFfRKT_EXadL_ZNS_11gelu_kernelItEEfS3_EELi4ELb0ELi3EEEvPT0_PS2_if,comdat
	.protected	_ZN5aiter18act_and_mul_kernelIttTnPFfRKT_EXadL_ZNS_11gelu_kernelItEEfS3_EELi4ELb0ELi3EEEvPT0_PS2_if ; -- Begin function _ZN5aiter18act_and_mul_kernelIttTnPFfRKT_EXadL_ZNS_11gelu_kernelItEEfS3_EELi4ELb0ELi3EEEvPT0_PS2_if
	.globl	_ZN5aiter18act_and_mul_kernelIttTnPFfRKT_EXadL_ZNS_11gelu_kernelItEEfS3_EELi4ELb0ELi3EEEvPT0_PS2_if
	.p2align	8
	.type	_ZN5aiter18act_and_mul_kernelIttTnPFfRKT_EXadL_ZNS_11gelu_kernelItEEfS3_EELi4ELb0ELi3EEEvPT0_PS2_if,@function
_ZN5aiter18act_and_mul_kernelIttTnPFfRKT_EXadL_ZNS_11gelu_kernelItEEfS3_EELi4ELb0ELi3EEEvPT0_PS2_if: ; @_ZN5aiter18act_and_mul_kernelIttTnPFfRKT_EXadL_ZNS_11gelu_kernelItEEfS3_EELi4ELb0ELi3EEEvPT0_PS2_if
; %bb.0:
	s_load_dword s16, s[0:1], 0x10
	v_lshlrev_b32_e32 v0, 2, v0
	s_waitcnt lgkmcnt(0)
	v_cmp_gt_i32_e32 vcc, s16, v0
	s_and_saveexec_b64 s[4:5], vcc
	s_cbranch_execz .LBB565_19
; %bb.1:
	s_load_dwordx4 s[12:15], s[0:1], 0x0
	s_ashr_i32 s17, s16, 31
	s_mul_hi_u32 s3, s16, s2
	s_mul_i32 s4, s17, s2
	s_add_i32 s3, s3, s4
	s_mul_i32 s2, s16, s2
	s_lshl_b64 s[10:11], s[2:3], 1
	s_lshl_b64 s[2:3], s[2:3], 2
	s_waitcnt lgkmcnt(0)
	s_add_u32 s4, s14, s2
	s_addc_u32 s5, s15, s3
	s_lshl_b64 s[2:3], s[16:17], 1
	s_add_u32 s8, s4, s2
	s_addc_u32 s2, s5, s3
	s_add_i32 s3, s16, 1
	s_lshr_b32 s6, s3, 31
	s_add_i32 s3, s3, s6
	s_lshl_b32 s3, s3, 1
	s_and_b32 s6, s3, -4
	s_and_b32 s5, s5, 0xffff
	s_and_b32 s9, s2, 0xffff
	s_add_u32 s12, s12, s10
	s_addc_u32 s2, s13, s11
	s_and_b32 s13, s2, 0xffff
	s_mov_b32 s7, 0x20000
	s_add_u32 s0, s0, 24
	v_mov_b32_e32 v1, 0
	s_addc_u32 s1, s1, 0
	s_mov_b64 s[2:3], 0
	s_mov_b32 s19, 0
	s_mov_b32 s10, s6
	;; [unrolled: 1-line block ×12, first 2 shown]
	v_mov_b32_e32 v8, 0x3ba10414
	s_brev_b32 s31, -2
	s_mov_b32 s33, 0x7060302
	v_mov_b32_e32 v9, 0xb9c68948
	v_mov_b32_e32 v10, 0x7f800000
	s_mov_b32 s14, s6
	s_mov_b32 s15, s7
                                        ; implicit-def: $vgpr2
                                        ; implicit-def: $vgpr2
	;; [unrolled: 1-line block ×4, first 2 shown]
	s_branch .LBB565_3
.LBB565_2:                              ;   in Loop: Header=BB565_3 Depth=1
	s_or_b64 exec, exec, s[20:21]
	v_bfi_b32 v4, s31, v12, v4
	v_mul_f32_e32 v2, 0.5, v2
	v_add_f32_e32 v4, 1.0, v4
	v_mul_f32_e32 v2, v2, v4
	v_bfi_b32 v4, s31, v14, v13
	v_and_b32_e32 v17, 0xffff0000, v3
	v_lshlrev_b32_e32 v16, 16, v3
	v_mul_f32_e32 v3, 0.5, v5
	v_add_f32_e32 v4, 1.0, v4
	v_mul_f32_e32 v3, v3, v4
	;;#ASMSTART
	v_pk_mul_f32 v[2:3], v[2:3], v[16:17]
	;;#ASMEND
	s_load_dword s18, s[0:1], 0xc
	v_perm_b32 v3, v3, v2, s33
	v_perm_b32 v2, v7, v6, s33
	buffer_store_dwordx2 v[2:3], v11, s[12:15], 0 offen
	s_waitcnt lgkmcnt(0)
	s_and_b32 s18, s18, 0xffff
	s_lshl_b32 s18, s18, 2
	v_lshl_add_u64 v[0:1], s[18:19], 0, v[0:1]
	v_cmp_le_i64_e32 vcc, s[16:17], v[0:1]
	s_or_b64 s[2:3], vcc, s[2:3]
	s_andn2_b64 exec, exec, s[2:3]
	s_cbranch_execz .LBB565_19
.LBB565_3:                              ; =>This Inner Loop Header: Depth=1
	v_lshlrev_b32_e32 v11, 1, v0
	buffer_load_dwordx2 v[4:5], v11, s[4:7], 0 offen sc0 nt
	buffer_load_dwordx2 v[2:3], v11, s[8:11], 0 offen sc0 nt
                                        ; implicit-def: $vgpr12
	s_waitcnt vmcnt(1)
	v_lshlrev_b32_e32 v6, 16, v4
	v_mul_f32_e32 v7, 0x3f3504f3, v6
	v_cmp_nlt_f32_e64 s[20:21], |v7|, 1.0
	s_and_saveexec_b64 s[34:35], s[20:21]
	s_xor_b64 s[20:21], exec, s[34:35]
	s_cbranch_execz .LBB565_5
; %bb.4:                                ;   in Loop: Header=BB565_3 Depth=1
	v_fma_f32 v12, |v7|, s22, v9
	v_fma_f32 v12, |v7|, v12, s23
	;; [unrolled: 1-line block ×6, first 2 shown]
	v_fma_f32 v12, |v7|, v12, |v7|
	v_mul_f32_e32 v13, 0xbfb8aa3b, v12
	v_fma_f32 v14, v12, s28, -v13
	v_rndne_f32_e32 v15, v13
	v_fmac_f32_e32 v14, 0xb2a5705f, v12
	v_sub_f32_e32 v13, v13, v15
	v_add_f32_e32 v13, v13, v14
	v_cvt_i32_f32_e32 v14, v15
	v_exp_f32_e32 v13, v13
	v_cmp_nlt_f32_e32 vcc, s29, v12
	v_ldexp_f32 v13, v13, v14
	s_nop 0
	v_cndmask_b32_e32 v13, 0, v13, vcc
	v_cmp_ngt_f32_e32 vcc, s30, v12
	s_nop 1
	v_cndmask_b32_e32 v12, v10, v13, vcc
	v_sub_f32_e32 v12, 1.0, v12
.LBB565_5:                              ;   in Loop: Header=BB565_3 Depth=1
	s_andn2_saveexec_b64 s[20:21], s[20:21]
; %bb.6:                                ;   in Loop: Header=BB565_3 Depth=1
	v_mul_f32_e32 v12, v7, v7
	v_fmamk_f32 v13, v12, 0xba1345e1, v8
	v_fmaak_f32 v13, v12, v13, 0xbcdac9b8
	v_fmaak_f32 v13, v12, v13, 0x3de703be
	;; [unrolled: 1-line block ×4, first 2 shown]
	v_fma_f32 v12, |v7|, v12, |v7|
; %bb.7:                                ;   in Loop: Header=BB565_3 Depth=1
	s_or_b64 exec, exec, s[20:21]
	v_and_b32_e32 v4, 0xffff0000, v4
	v_mul_f32_e32 v13, 0x3f3504f3, v4
	v_cmp_nlt_f32_e64 s[20:21], |v13|, 1.0
                                        ; implicit-def: $vgpr14
	s_and_saveexec_b64 s[34:35], s[20:21]
	s_xor_b64 s[20:21], exec, s[34:35]
	s_cbranch_execz .LBB565_9
; %bb.8:                                ;   in Loop: Header=BB565_3 Depth=1
	v_fma_f32 v14, |v13|, s22, v9
	v_fma_f32 v14, |v13|, v14, s23
	;; [unrolled: 1-line block ×6, first 2 shown]
	v_fma_f32 v14, |v13|, v14, |v13|
	v_mul_f32_e32 v15, 0xbfb8aa3b, v14
	v_fma_f32 v16, v14, s28, -v15
	v_rndne_f32_e32 v17, v15
	v_fmac_f32_e32 v16, 0xb2a5705f, v14
	v_sub_f32_e32 v15, v15, v17
	v_add_f32_e32 v15, v15, v16
	v_cvt_i32_f32_e32 v16, v17
	v_exp_f32_e32 v15, v15
	v_cmp_nlt_f32_e32 vcc, s29, v14
	v_ldexp_f32 v15, v15, v16
	s_nop 0
	v_cndmask_b32_e32 v15, 0, v15, vcc
	v_cmp_ngt_f32_e32 vcc, s30, v14
	s_nop 1
	v_cndmask_b32_e32 v14, v10, v15, vcc
	v_sub_f32_e32 v14, 1.0, v14
.LBB565_9:                              ;   in Loop: Header=BB565_3 Depth=1
	s_andn2_saveexec_b64 s[20:21], s[20:21]
; %bb.10:                               ;   in Loop: Header=BB565_3 Depth=1
	v_mul_f32_e32 v14, v13, v13
	v_fmamk_f32 v15, v14, 0xba1345e1, v8
	v_fmaak_f32 v15, v14, v15, 0xbcdac9b8
	v_fmaak_f32 v15, v14, v15, 0x3de703be
	;; [unrolled: 1-line block ×4, first 2 shown]
	v_fma_f32 v14, |v13|, v14, |v13|
; %bb.11:                               ;   in Loop: Header=BB565_3 Depth=1
	s_or_b64 exec, exec, s[20:21]
	v_bfi_b32 v7, s31, v12, v7
	s_waitcnt vmcnt(0)
	v_and_b32_e32 v17, 0xffff0000, v2
	v_lshlrev_b32_e32 v16, 16, v2
	v_mul_f32_e32 v2, 0.5, v4
	v_bfi_b32 v4, s31, v14, v13
	v_mul_f32_e32 v6, 0.5, v6
	v_add_f32_e32 v7, 1.0, v7
	v_add_f32_e32 v4, 1.0, v4
	v_mul_f32_e32 v6, v6, v7
	v_mul_f32_e32 v7, v2, v4
	v_lshlrev_b32_e32 v2, 16, v5
	v_mul_f32_e32 v4, 0x3f3504f3, v2
	v_cmp_nlt_f32_e64 s[20:21], |v4|, 1.0
	;;#ASMSTART
	v_pk_mul_f32 v[6:7], v[6:7], v[16:17]
	;;#ASMEND
                                        ; implicit-def: $vgpr12
	s_and_saveexec_b64 s[34:35], s[20:21]
	s_xor_b64 s[20:21], exec, s[34:35]
	s_cbranch_execz .LBB565_13
; %bb.12:                               ;   in Loop: Header=BB565_3 Depth=1
	v_fma_f32 v12, |v4|, s22, v9
	v_fma_f32 v12, |v4|, v12, s23
	;; [unrolled: 1-line block ×6, first 2 shown]
	v_fma_f32 v12, |v4|, v12, |v4|
	v_mul_f32_e32 v13, 0xbfb8aa3b, v12
	v_fma_f32 v14, v12, s28, -v13
	v_rndne_f32_e32 v15, v13
	v_fmac_f32_e32 v14, 0xb2a5705f, v12
	v_sub_f32_e32 v13, v13, v15
	v_add_f32_e32 v13, v13, v14
	v_cvt_i32_f32_e32 v14, v15
	v_exp_f32_e32 v13, v13
	v_cmp_nlt_f32_e32 vcc, s29, v12
	v_ldexp_f32 v13, v13, v14
	s_nop 0
	v_cndmask_b32_e32 v13, 0, v13, vcc
	v_cmp_ngt_f32_e32 vcc, s30, v12
	s_nop 1
	v_cndmask_b32_e32 v12, v10, v13, vcc
	v_sub_f32_e32 v12, 1.0, v12
.LBB565_13:                             ;   in Loop: Header=BB565_3 Depth=1
	s_andn2_saveexec_b64 s[20:21], s[20:21]
; %bb.14:                               ;   in Loop: Header=BB565_3 Depth=1
	v_mul_f32_e32 v12, v4, v4
	v_fmamk_f32 v13, v12, 0xba1345e1, v8
	v_fmaak_f32 v13, v12, v13, 0xbcdac9b8
	v_fmaak_f32 v13, v12, v13, 0x3de703be
	;; [unrolled: 1-line block ×4, first 2 shown]
	v_fma_f32 v12, |v4|, v12, |v4|
; %bb.15:                               ;   in Loop: Header=BB565_3 Depth=1
	s_or_b64 exec, exec, s[20:21]
	v_and_b32_e32 v5, 0xffff0000, v5
	v_mul_f32_e32 v13, 0x3f3504f3, v5
	v_cmp_nlt_f32_e64 s[20:21], |v13|, 1.0
                                        ; implicit-def: $vgpr14
	s_and_saveexec_b64 s[34:35], s[20:21]
	s_xor_b64 s[20:21], exec, s[34:35]
	s_cbranch_execz .LBB565_17
; %bb.16:                               ;   in Loop: Header=BB565_3 Depth=1
	v_fma_f32 v14, |v13|, s22, v9
	v_fma_f32 v14, |v13|, v14, s23
	;; [unrolled: 1-line block ×6, first 2 shown]
	v_fma_f32 v14, |v13|, v14, |v13|
	v_mul_f32_e32 v15, 0xbfb8aa3b, v14
	v_fma_f32 v16, v14, s28, -v15
	v_rndne_f32_e32 v17, v15
	v_fmac_f32_e32 v16, 0xb2a5705f, v14
	v_sub_f32_e32 v15, v15, v17
	v_add_f32_e32 v15, v15, v16
	v_cvt_i32_f32_e32 v16, v17
	v_exp_f32_e32 v15, v15
	v_cmp_nlt_f32_e32 vcc, s29, v14
	v_ldexp_f32 v15, v15, v16
	s_nop 0
	v_cndmask_b32_e32 v15, 0, v15, vcc
	v_cmp_ngt_f32_e32 vcc, s30, v14
	s_nop 1
	v_cndmask_b32_e32 v14, v10, v15, vcc
	v_sub_f32_e32 v14, 1.0, v14
.LBB565_17:                             ;   in Loop: Header=BB565_3 Depth=1
	s_andn2_saveexec_b64 s[20:21], s[20:21]
	s_cbranch_execz .LBB565_2
; %bb.18:                               ;   in Loop: Header=BB565_3 Depth=1
	v_mul_f32_e32 v14, v13, v13
	v_fmamk_f32 v15, v14, 0xba1345e1, v8
	v_fmaak_f32 v15, v14, v15, 0xbcdac9b8
	v_fmaak_f32 v15, v14, v15, 0x3de703be
	;; [unrolled: 1-line block ×4, first 2 shown]
	v_fma_f32 v14, |v13|, v14, |v13|
	s_branch .LBB565_2
.LBB565_19:
	s_endpgm
	.section	.rodata,"a",@progbits
	.p2align	6, 0x0
	.amdhsa_kernel _ZN5aiter18act_and_mul_kernelIttTnPFfRKT_EXadL_ZNS_11gelu_kernelItEEfS3_EELi4ELb0ELi3EEEvPT0_PS2_if
		.amdhsa_group_segment_fixed_size 0
		.amdhsa_private_segment_fixed_size 0
		.amdhsa_kernarg_size 280
		.amdhsa_user_sgpr_count 2
		.amdhsa_user_sgpr_dispatch_ptr 0
		.amdhsa_user_sgpr_queue_ptr 0
		.amdhsa_user_sgpr_kernarg_segment_ptr 1
		.amdhsa_user_sgpr_dispatch_id 0
		.amdhsa_user_sgpr_kernarg_preload_length 0
		.amdhsa_user_sgpr_kernarg_preload_offset 0
		.amdhsa_user_sgpr_private_segment_size 0
		.amdhsa_uses_dynamic_stack 0
		.amdhsa_enable_private_segment 0
		.amdhsa_system_sgpr_workgroup_id_x 1
		.amdhsa_system_sgpr_workgroup_id_y 0
		.amdhsa_system_sgpr_workgroup_id_z 0
		.amdhsa_system_sgpr_workgroup_info 0
		.amdhsa_system_vgpr_workitem_id 0
		.amdhsa_next_free_vgpr 18
		.amdhsa_next_free_sgpr 36
		.amdhsa_accum_offset 20
		.amdhsa_reserve_vcc 1
		.amdhsa_float_round_mode_32 0
		.amdhsa_float_round_mode_16_64 0
		.amdhsa_float_denorm_mode_32 3
		.amdhsa_float_denorm_mode_16_64 3
		.amdhsa_dx10_clamp 1
		.amdhsa_ieee_mode 1
		.amdhsa_fp16_overflow 0
		.amdhsa_tg_split 0
		.amdhsa_exception_fp_ieee_invalid_op 0
		.amdhsa_exception_fp_denorm_src 0
		.amdhsa_exception_fp_ieee_div_zero 0
		.amdhsa_exception_fp_ieee_overflow 0
		.amdhsa_exception_fp_ieee_underflow 0
		.amdhsa_exception_fp_ieee_inexact 0
		.amdhsa_exception_int_div_zero 0
	.end_amdhsa_kernel
	.section	.text._ZN5aiter18act_and_mul_kernelIttTnPFfRKT_EXadL_ZNS_11gelu_kernelItEEfS3_EELi4ELb0ELi3EEEvPT0_PS2_if,"axG",@progbits,_ZN5aiter18act_and_mul_kernelIttTnPFfRKT_EXadL_ZNS_11gelu_kernelItEEfS3_EELi4ELb0ELi3EEEvPT0_PS2_if,comdat
.Lfunc_end565:
	.size	_ZN5aiter18act_and_mul_kernelIttTnPFfRKT_EXadL_ZNS_11gelu_kernelItEEfS3_EELi4ELb0ELi3EEEvPT0_PS2_if, .Lfunc_end565-_ZN5aiter18act_and_mul_kernelIttTnPFfRKT_EXadL_ZNS_11gelu_kernelItEEfS3_EELi4ELb0ELi3EEEvPT0_PS2_if
                                        ; -- End function
	.section	.AMDGPU.csdata,"",@progbits
; Kernel info:
; codeLenInByte = 1448
; NumSgprs: 42
; NumVgprs: 18
; NumAgprs: 0
; TotalNumVgprs: 18
; ScratchSize: 0
; MemoryBound: 0
; FloatMode: 240
; IeeeMode: 1
; LDSByteSize: 0 bytes/workgroup (compile time only)
; SGPRBlocks: 5
; VGPRBlocks: 2
; NumSGPRsForWavesPerEU: 42
; NumVGPRsForWavesPerEU: 18
; AccumOffset: 20
; Occupancy: 8
; WaveLimiterHint : 0
; COMPUTE_PGM_RSRC2:SCRATCH_EN: 0
; COMPUTE_PGM_RSRC2:USER_SGPR: 2
; COMPUTE_PGM_RSRC2:TRAP_HANDLER: 0
; COMPUTE_PGM_RSRC2:TGID_X_EN: 1
; COMPUTE_PGM_RSRC2:TGID_Y_EN: 0
; COMPUTE_PGM_RSRC2:TGID_Z_EN: 0
; COMPUTE_PGM_RSRC2:TIDIG_COMP_CNT: 0
; COMPUTE_PGM_RSRC3_GFX90A:ACCUM_OFFSET: 4
; COMPUTE_PGM_RSRC3_GFX90A:TG_SPLIT: 0
	.section	.text._ZN5aiter18act_and_mul_kernelIttTnPFfRKT_EXadL_ZNS_11gelu_kernelItEEfS3_EELi2ELb0ELi3EEEvPT0_PS2_if,"axG",@progbits,_ZN5aiter18act_and_mul_kernelIttTnPFfRKT_EXadL_ZNS_11gelu_kernelItEEfS3_EELi2ELb0ELi3EEEvPT0_PS2_if,comdat
	.protected	_ZN5aiter18act_and_mul_kernelIttTnPFfRKT_EXadL_ZNS_11gelu_kernelItEEfS3_EELi2ELb0ELi3EEEvPT0_PS2_if ; -- Begin function _ZN5aiter18act_and_mul_kernelIttTnPFfRKT_EXadL_ZNS_11gelu_kernelItEEfS3_EELi2ELb0ELi3EEEvPT0_PS2_if
	.globl	_ZN5aiter18act_and_mul_kernelIttTnPFfRKT_EXadL_ZNS_11gelu_kernelItEEfS3_EELi2ELb0ELi3EEEvPT0_PS2_if
	.p2align	8
	.type	_ZN5aiter18act_and_mul_kernelIttTnPFfRKT_EXadL_ZNS_11gelu_kernelItEEfS3_EELi2ELb0ELi3EEEvPT0_PS2_if,@function
_ZN5aiter18act_and_mul_kernelIttTnPFfRKT_EXadL_ZNS_11gelu_kernelItEEfS3_EELi2ELb0ELi3EEEvPT0_PS2_if: ; @_ZN5aiter18act_and_mul_kernelIttTnPFfRKT_EXadL_ZNS_11gelu_kernelItEEfS3_EELi2ELb0ELi3EEEvPT0_PS2_if
; %bb.0:
	s_load_dword s16, s[0:1], 0x10
	v_lshlrev_b32_e32 v0, 1, v0
	s_waitcnt lgkmcnt(0)
	v_cmp_gt_i32_e32 vcc, s16, v0
	s_and_saveexec_b64 s[4:5], vcc
	s_cbranch_execz .LBB566_7
; %bb.1:
	s_load_dwordx4 s[12:15], s[0:1], 0x0
	s_ashr_i32 s17, s16, 31
	s_mul_hi_u32 s3, s16, s2
	s_mul_i32 s4, s17, s2
	s_add_i32 s3, s3, s4
	s_mul_i32 s2, s16, s2
	s_lshl_b64 s[10:11], s[2:3], 1
	s_lshl_b64 s[2:3], s[2:3], 2
	s_waitcnt lgkmcnt(0)
	s_add_u32 s4, s14, s2
	s_addc_u32 s5, s15, s3
	s_lshl_b64 s[2:3], s[16:17], 1
	s_add_u32 s8, s4, s2
	s_addc_u32 s2, s5, s3
	s_add_i32 s3, s16, 1
	s_lshr_b32 s6, s3, 31
	s_add_i32 s3, s3, s6
	s_lshl_b32 s3, s3, 1
	s_and_b32 s6, s3, -4
	s_and_b32 s5, s5, 0xffff
	s_and_b32 s9, s2, 0xffff
	s_add_u32 s12, s12, s10
	s_addc_u32 s2, s13, s11
	s_and_b32 s13, s2, 0xffff
	s_mov_b32 s7, 0x20000
	s_add_u32 s0, s0, 24
	v_mov_b32_e32 v1, 0
	s_addc_u32 s1, s1, 0
	s_mov_b64 s[2:3], 0
	s_mov_b32 s19, 0
	s_mov_b32 s10, s6
	;; [unrolled: 1-line block ×13, first 2 shown]
	v_mov_b32_e32 v8, 0x3ba10414
	v_mov_b32_e32 v9, 0xb9c68948
	;; [unrolled: 1-line block ×3, first 2 shown]
	s_brev_b32 s33, -2
	s_mov_b32 s34, 0x7060302
	s_mov_b32 s14, s6
	;; [unrolled: 1-line block ×3, first 2 shown]
                                        ; implicit-def: $vgpr2
                                        ; implicit-def: $vgpr2
	;; [unrolled: 1-line block ×4, first 2 shown]
	s_branch .LBB566_3
.LBB566_2:                              ;   in Loop: Header=BB566_3 Depth=1
	s_or_b64 exec, exec, s[22:23]
	v_fma_f32 v6, |v3|, s21, v9
	v_fma_f32 v6, |v3|, v6, s24
	v_fma_f32 v6, |v3|, v6, s25
	v_fma_f32 v6, |v3|, v6, s26
	v_fma_f32 v6, |v3|, v6, s27
	v_fma_f32 v6, |v3|, v6, s28
	v_fma_f32 v6, |v3|, v6, |v3|
	v_mul_f32_e32 v14, 0xbfb8aa3b, v6
	v_fma_f32 v15, v6, s29, -v14
	v_rndne_f32_e32 v16, v14
	v_fmac_f32_e32 v15, 0xb2a5705f, v6
	v_sub_f32_e32 v14, v14, v16
	v_add_f32_e32 v14, v14, v15
	v_exp_f32_e32 v17, v14
	v_cvt_i32_f32_e32 v16, v16
	s_waitcnt vmcnt(0)
	v_and_b32_e32 v15, 0xffff0000, v12
	v_lshlrev_b32_e32 v14, 16, v12
	v_cmp_nlt_f32_e32 vcc, s30, v6
	v_ldexp_f32 v12, v17, v16
	v_bfi_b32 v2, s33, v13, v2
	v_cndmask_b32_e32 v12, 0, v12, vcc
	v_cmp_ngt_f32_e32 vcc, s31, v6
	v_mul_f32_e32 v5, 0.5, v5
	v_mul_f32_e32 v4, 0.5, v4
	v_cndmask_b32_e32 v6, v10, v12, vcc
	v_fmamk_f32 v12, v7, 0xba1345e1, v8
	v_fmaak_f32 v12, v7, v12, 0xbcdac9b8
	v_fmaak_f32 v12, v7, v12, 0x3de703be
	;; [unrolled: 1-line block ×4, first 2 shown]
	v_sub_f32_e32 v6, 1.0, v6
	v_fma_f32 v7, |v3|, v7, |v3|
	v_cmp_lt_f32_e64 vcc, |v3|, 1.0
	s_nop 1
	v_cndmask_b32_e32 v6, v6, v7, vcc
	v_bfi_b32 v3, s33, v6, v3
	v_pk_add_f32 v[2:3], v[2:3], 1.0 op_sel_hi:[1,0]
	s_nop 0
	v_pk_mul_f32 v[2:3], v[4:5], v[2:3]
	s_nop 0
	;;#ASMSTART
	v_pk_mul_f32 v[2:3], v[2:3], v[14:15]
	;;#ASMEND
	s_load_dword s18, s[0:1], 0xc
	v_perm_b32 v2, v3, v2, s34
	buffer_store_dword v2, v11, s[12:15], 0 offen
	s_waitcnt lgkmcnt(0)
	s_and_b32 s18, s18, 0xffff
	s_lshl_b32 s18, s18, 1
	v_lshl_add_u64 v[0:1], s[18:19], 0, v[0:1]
	v_cmp_le_i64_e32 vcc, s[16:17], v[0:1]
	s_or_b64 s[2:3], vcc, s[2:3]
	s_andn2_b64 exec, exec, s[2:3]
	s_cbranch_execz .LBB566_7
.LBB566_3:                              ; =>This Inner Loop Header: Depth=1
	v_lshlrev_b32_e32 v11, 1, v0
	buffer_load_dword v2, v11, s[4:7], 0 offen sc0 nt
	buffer_load_dword v12, v11, s[8:11], 0 offen sc0 nt
                                        ; implicit-def: $vgpr13
	s_waitcnt vmcnt(1)
	v_and_b32_e32 v5, 0xffff0000, v2
	v_lshlrev_b32_e32 v4, 16, v2
	v_pk_mul_f32 v[2:3], v[4:5], s[20:21] op_sel_hi:[1,0]
	s_nop 0
	v_cmp_nlt_f32_e64 s[22:23], |v2|, 1.0
	s_and_saveexec_b64 s[36:37], s[22:23]
	s_xor_b64 s[22:23], exec, s[36:37]
	s_cbranch_execz .LBB566_5
; %bb.4:                                ;   in Loop: Header=BB566_3 Depth=1
	v_fma_f32 v6, |v2|, s21, v9
	v_fma_f32 v6, |v2|, v6, s24
	;; [unrolled: 1-line block ×6, first 2 shown]
	v_fma_f32 v6, |v2|, v6, |v2|
	v_mul_f32_e32 v7, 0xbfb8aa3b, v6
	v_fma_f32 v13, v6, s29, -v7
	v_rndne_f32_e32 v14, v7
	v_fmac_f32_e32 v13, 0xb2a5705f, v6
	v_sub_f32_e32 v7, v7, v14
	v_add_f32_e32 v7, v7, v13
	v_cvt_i32_f32_e32 v13, v14
	v_exp_f32_e32 v7, v7
	v_cmp_nlt_f32_e32 vcc, s30, v6
	v_ldexp_f32 v7, v7, v13
	s_nop 0
	v_cndmask_b32_e32 v7, 0, v7, vcc
	v_cmp_ngt_f32_e32 vcc, s31, v6
	s_nop 1
	v_cndmask_b32_e32 v6, v10, v7, vcc
	v_sub_f32_e32 v13, 1.0, v6
.LBB566_5:                              ;   in Loop: Header=BB566_3 Depth=1
	s_or_saveexec_b64 s[22:23], s[22:23]
	v_pk_mul_f32 v[6:7], v[2:3], v[2:3]
	s_xor_b64 exec, exec, s[22:23]
	s_cbranch_execz .LBB566_2
; %bb.6:                                ;   in Loop: Header=BB566_3 Depth=1
	v_fmamk_f32 v13, v6, 0xba1345e1, v8
	v_fmaak_f32 v13, v6, v13, 0xbcdac9b8
	v_fmaak_f32 v13, v6, v13, 0x3de703be
	;; [unrolled: 1-line block ×4, first 2 shown]
	v_fma_f32 v13, |v2|, v6, |v2|
	s_branch .LBB566_2
.LBB566_7:
	s_endpgm
	.section	.rodata,"a",@progbits
	.p2align	6, 0x0
	.amdhsa_kernel _ZN5aiter18act_and_mul_kernelIttTnPFfRKT_EXadL_ZNS_11gelu_kernelItEEfS3_EELi2ELb0ELi3EEEvPT0_PS2_if
		.amdhsa_group_segment_fixed_size 0
		.amdhsa_private_segment_fixed_size 0
		.amdhsa_kernarg_size 280
		.amdhsa_user_sgpr_count 2
		.amdhsa_user_sgpr_dispatch_ptr 0
		.amdhsa_user_sgpr_queue_ptr 0
		.amdhsa_user_sgpr_kernarg_segment_ptr 1
		.amdhsa_user_sgpr_dispatch_id 0
		.amdhsa_user_sgpr_kernarg_preload_length 0
		.amdhsa_user_sgpr_kernarg_preload_offset 0
		.amdhsa_user_sgpr_private_segment_size 0
		.amdhsa_uses_dynamic_stack 0
		.amdhsa_enable_private_segment 0
		.amdhsa_system_sgpr_workgroup_id_x 1
		.amdhsa_system_sgpr_workgroup_id_y 0
		.amdhsa_system_sgpr_workgroup_id_z 0
		.amdhsa_system_sgpr_workgroup_info 0
		.amdhsa_system_vgpr_workitem_id 0
		.amdhsa_next_free_vgpr 18
		.amdhsa_next_free_sgpr 38
		.amdhsa_accum_offset 20
		.amdhsa_reserve_vcc 1
		.amdhsa_float_round_mode_32 0
		.amdhsa_float_round_mode_16_64 0
		.amdhsa_float_denorm_mode_32 3
		.amdhsa_float_denorm_mode_16_64 3
		.amdhsa_dx10_clamp 1
		.amdhsa_ieee_mode 1
		.amdhsa_fp16_overflow 0
		.amdhsa_tg_split 0
		.amdhsa_exception_fp_ieee_invalid_op 0
		.amdhsa_exception_fp_denorm_src 0
		.amdhsa_exception_fp_ieee_div_zero 0
		.amdhsa_exception_fp_ieee_overflow 0
		.amdhsa_exception_fp_ieee_underflow 0
		.amdhsa_exception_fp_ieee_inexact 0
		.amdhsa_exception_int_div_zero 0
	.end_amdhsa_kernel
	.section	.text._ZN5aiter18act_and_mul_kernelIttTnPFfRKT_EXadL_ZNS_11gelu_kernelItEEfS3_EELi2ELb0ELi3EEEvPT0_PS2_if,"axG",@progbits,_ZN5aiter18act_and_mul_kernelIttTnPFfRKT_EXadL_ZNS_11gelu_kernelItEEfS3_EELi2ELb0ELi3EEEvPT0_PS2_if,comdat
.Lfunc_end566:
	.size	_ZN5aiter18act_and_mul_kernelIttTnPFfRKT_EXadL_ZNS_11gelu_kernelItEEfS3_EELi2ELb0ELi3EEEvPT0_PS2_if, .Lfunc_end566-_ZN5aiter18act_and_mul_kernelIttTnPFfRKT_EXadL_ZNS_11gelu_kernelItEEfS3_EELi2ELb0ELi3EEEvPT0_PS2_if
                                        ; -- End function
	.section	.AMDGPU.csdata,"",@progbits
; Kernel info:
; codeLenInByte = 916
; NumSgprs: 44
; NumVgprs: 18
; NumAgprs: 0
; TotalNumVgprs: 18
; ScratchSize: 0
; MemoryBound: 0
; FloatMode: 240
; IeeeMode: 1
; LDSByteSize: 0 bytes/workgroup (compile time only)
; SGPRBlocks: 5
; VGPRBlocks: 2
; NumSGPRsForWavesPerEU: 44
; NumVGPRsForWavesPerEU: 18
; AccumOffset: 20
; Occupancy: 8
; WaveLimiterHint : 0
; COMPUTE_PGM_RSRC2:SCRATCH_EN: 0
; COMPUTE_PGM_RSRC2:USER_SGPR: 2
; COMPUTE_PGM_RSRC2:TRAP_HANDLER: 0
; COMPUTE_PGM_RSRC2:TGID_X_EN: 1
; COMPUTE_PGM_RSRC2:TGID_Y_EN: 0
; COMPUTE_PGM_RSRC2:TGID_Z_EN: 0
; COMPUTE_PGM_RSRC2:TIDIG_COMP_CNT: 0
; COMPUTE_PGM_RSRC3_GFX90A:ACCUM_OFFSET: 4
; COMPUTE_PGM_RSRC3_GFX90A:TG_SPLIT: 0
	.section	.text._ZN5aiter18act_and_mul_kernelIttTnPFfRKT_EXadL_ZNS_11gelu_kernelItEEfS3_EELi1ELb0ELi3EEEvPT0_PS2_if,"axG",@progbits,_ZN5aiter18act_and_mul_kernelIttTnPFfRKT_EXadL_ZNS_11gelu_kernelItEEfS3_EELi1ELb0ELi3EEEvPT0_PS2_if,comdat
	.protected	_ZN5aiter18act_and_mul_kernelIttTnPFfRKT_EXadL_ZNS_11gelu_kernelItEEfS3_EELi1ELb0ELi3EEEvPT0_PS2_if ; -- Begin function _ZN5aiter18act_and_mul_kernelIttTnPFfRKT_EXadL_ZNS_11gelu_kernelItEEfS3_EELi1ELb0ELi3EEEvPT0_PS2_if
	.globl	_ZN5aiter18act_and_mul_kernelIttTnPFfRKT_EXadL_ZNS_11gelu_kernelItEEfS3_EELi1ELb0ELi3EEEvPT0_PS2_if
	.p2align	8
	.type	_ZN5aiter18act_and_mul_kernelIttTnPFfRKT_EXadL_ZNS_11gelu_kernelItEEfS3_EELi1ELb0ELi3EEEvPT0_PS2_if,@function
_ZN5aiter18act_and_mul_kernelIttTnPFfRKT_EXadL_ZNS_11gelu_kernelItEEfS3_EELi1ELb0ELi3EEEvPT0_PS2_if: ; @_ZN5aiter18act_and_mul_kernelIttTnPFfRKT_EXadL_ZNS_11gelu_kernelItEEfS3_EELi1ELb0ELi3EEEvPT0_PS2_if
; %bb.0:
	s_load_dword s12, s[0:1], 0x10
	s_waitcnt lgkmcnt(0)
	v_cmp_gt_i32_e32 vcc, s12, v0
	s_and_saveexec_b64 s[4:5], vcc
	s_cbranch_execz .LBB567_7
; %bb.1:
	s_load_dwordx4 s[8:11], s[0:1], 0x0
	s_load_dword s14, s[0:1], 0x24
	s_ashr_i32 s13, s12, 31
	s_mul_hi_u32 s3, s12, s2
	s_mul_i32 s4, s13, s2
	s_add_i32 s3, s3, s4
	s_mul_i32 s2, s12, s2
	s_lshl_b64 s[6:7], s[2:3], 1
	s_lshl_b64 s[2:3], s[2:3], 2
	s_waitcnt lgkmcnt(0)
	s_add_u32 s0, s10, s2
	s_addc_u32 s1, s11, s3
	s_lshl_b64 s[2:3], s[12:13], 1
	s_add_u32 s4, s0, s2
	s_addc_u32 s5, s1, s3
	s_add_i32 s2, s12, 1
	s_lshr_b32 s3, s2, 31
	s_add_i32 s2, s2, s3
	s_lshl_b32 s2, s2, 1
	s_and_b32 s2, s2, -4
	s_and_b32 s1, s1, 0xffff
	s_and_b32 s5, s5, 0xffff
	s_add_u32 s8, s8, s6
	s_mov_b32 s3, 0x20000
	s_addc_u32 s6, s9, s7
	s_and_b32 s14, s14, 0xffff
                                        ; implicit-def: $vgpr4
                                        ; implicit-def: $vgpr4
	;; [unrolled: 1-line block ×4, first 2 shown]
	s_and_b32 s9, s6, 0xffff
	s_mov_b32 s15, 0
	v_mov_b32_e32 v1, 0
	v_lshlrev_b32_e32 v2, 1, v0
	s_lshl_b32 s20, s14, 1
	s_mov_b64 s[16:17], 0
	s_mov_b32 s6, s2
	s_mov_b32 s7, s3
	;; [unrolled: 1-line block ×11, first 2 shown]
	v_mov_b32_e32 v3, 0x3ba10414
	s_brev_b32 s30, -2
	v_mov_b32_e32 v4, 0xb9c68948
	v_mov_b32_e32 v5, 0x7f800000
	s_mov_b32 s10, s2
	s_mov_b32 s11, s3
	s_branch .LBB567_3
.LBB567_2:                              ;   in Loop: Header=BB567_3 Depth=1
	s_or_b64 exec, exec, s[18:19]
	v_bfi_b32 v7, s30, v9, v7
	v_mul_f32_e32 v6, 0.5, v6
	v_add_f32_e32 v7, 1.0, v7
	s_waitcnt vmcnt(0)
	v_lshlrev_b32_e32 v8, 16, v8
	v_mul_f32_e32 v6, v6, v7
	v_mul_f32_e32 v6, v6, v8
	v_lshl_add_u64 v[0:1], v[0:1], 0, s[14:15]
	v_lshrrev_b32_e32 v6, 16, v6
	v_cmp_le_i64_e32 vcc, s[12:13], v[0:1]
	buffer_store_short v6, v2, s[8:11], 0 offen
	s_or_b64 s[16:17], vcc, s[16:17]
	v_add_u32_e32 v2, s20, v2
	s_andn2_b64 exec, exec, s[16:17]
	s_cbranch_execz .LBB567_7
.LBB567_3:                              ; =>This Inner Loop Header: Depth=1
	buffer_load_ushort v6, v2, s[0:3], 0 offen sc0 nt
	buffer_load_ushort v8, v2, s[4:7], 0 offen sc0 nt
                                        ; implicit-def: $vgpr9
	s_waitcnt vmcnt(1)
	v_lshlrev_b32_e32 v6, 16, v6
	v_mul_f32_e32 v7, 0x3f3504f3, v6
	v_cmp_nlt_f32_e64 s[18:19], |v7|, 1.0
	s_and_saveexec_b64 s[34:35], s[18:19]
	s_xor_b64 s[18:19], exec, s[34:35]
	s_cbranch_execz .LBB567_5
; %bb.4:                                ;   in Loop: Header=BB567_3 Depth=1
	v_fma_f32 v9, |v7|, s21, v4
	v_fma_f32 v9, |v7|, v9, s22
	v_fma_f32 v9, |v7|, v9, s23
	v_fma_f32 v9, |v7|, v9, s24
	v_fma_f32 v9, |v7|, v9, s25
	v_fma_f32 v9, |v7|, v9, s26
	v_fma_f32 v9, |v7|, v9, |v7|
	v_mul_f32_e32 v10, 0xbfb8aa3b, v9
	v_fma_f32 v11, v9, s27, -v10
	v_rndne_f32_e32 v12, v10
	v_fmac_f32_e32 v11, 0xb2a5705f, v9
	v_sub_f32_e32 v10, v10, v12
	v_add_f32_e32 v10, v10, v11
	v_cvt_i32_f32_e32 v11, v12
	v_exp_f32_e32 v10, v10
	v_cmp_nlt_f32_e32 vcc, s28, v9
	v_ldexp_f32 v10, v10, v11
	s_nop 0
	v_cndmask_b32_e32 v10, 0, v10, vcc
	v_cmp_ngt_f32_e32 vcc, s29, v9
	s_nop 1
	v_cndmask_b32_e32 v9, v5, v10, vcc
	v_sub_f32_e32 v9, 1.0, v9
.LBB567_5:                              ;   in Loop: Header=BB567_3 Depth=1
	s_andn2_saveexec_b64 s[18:19], s[18:19]
	s_cbranch_execz .LBB567_2
; %bb.6:                                ;   in Loop: Header=BB567_3 Depth=1
	v_mul_f32_e32 v9, v7, v7
	v_fmamk_f32 v10, v9, 0xba1345e1, v3
	v_fmaak_f32 v10, v9, v10, 0xbcdac9b8
	v_fmaak_f32 v10, v9, v10, 0x3de703be
	;; [unrolled: 1-line block ×4, first 2 shown]
	v_fma_f32 v9, |v7|, v9, |v7|
	s_branch .LBB567_2
.LBB567_7:
	s_endpgm
	.section	.rodata,"a",@progbits
	.p2align	6, 0x0
	.amdhsa_kernel _ZN5aiter18act_and_mul_kernelIttTnPFfRKT_EXadL_ZNS_11gelu_kernelItEEfS3_EELi1ELb0ELi3EEEvPT0_PS2_if
		.amdhsa_group_segment_fixed_size 0
		.amdhsa_private_segment_fixed_size 0
		.amdhsa_kernarg_size 280
		.amdhsa_user_sgpr_count 2
		.amdhsa_user_sgpr_dispatch_ptr 0
		.amdhsa_user_sgpr_queue_ptr 0
		.amdhsa_user_sgpr_kernarg_segment_ptr 1
		.amdhsa_user_sgpr_dispatch_id 0
		.amdhsa_user_sgpr_kernarg_preload_length 0
		.amdhsa_user_sgpr_kernarg_preload_offset 0
		.amdhsa_user_sgpr_private_segment_size 0
		.amdhsa_uses_dynamic_stack 0
		.amdhsa_enable_private_segment 0
		.amdhsa_system_sgpr_workgroup_id_x 1
		.amdhsa_system_sgpr_workgroup_id_y 0
		.amdhsa_system_sgpr_workgroup_id_z 0
		.amdhsa_system_sgpr_workgroup_info 0
		.amdhsa_system_vgpr_workitem_id 0
		.amdhsa_next_free_vgpr 13
		.amdhsa_next_free_sgpr 36
		.amdhsa_accum_offset 16
		.amdhsa_reserve_vcc 1
		.amdhsa_float_round_mode_32 0
		.amdhsa_float_round_mode_16_64 0
		.amdhsa_float_denorm_mode_32 3
		.amdhsa_float_denorm_mode_16_64 3
		.amdhsa_dx10_clamp 1
		.amdhsa_ieee_mode 1
		.amdhsa_fp16_overflow 0
		.amdhsa_tg_split 0
		.amdhsa_exception_fp_ieee_invalid_op 0
		.amdhsa_exception_fp_denorm_src 0
		.amdhsa_exception_fp_ieee_div_zero 0
		.amdhsa_exception_fp_ieee_overflow 0
		.amdhsa_exception_fp_ieee_underflow 0
		.amdhsa_exception_fp_ieee_inexact 0
		.amdhsa_exception_int_div_zero 0
	.end_amdhsa_kernel
	.section	.text._ZN5aiter18act_and_mul_kernelIttTnPFfRKT_EXadL_ZNS_11gelu_kernelItEEfS3_EELi1ELb0ELi3EEEvPT0_PS2_if,"axG",@progbits,_ZN5aiter18act_and_mul_kernelIttTnPFfRKT_EXadL_ZNS_11gelu_kernelItEEfS3_EELi1ELb0ELi3EEEvPT0_PS2_if,comdat
.Lfunc_end567:
	.size	_ZN5aiter18act_and_mul_kernelIttTnPFfRKT_EXadL_ZNS_11gelu_kernelItEEfS3_EELi1ELb0ELi3EEEvPT0_PS2_if, .Lfunc_end567-_ZN5aiter18act_and_mul_kernelIttTnPFfRKT_EXadL_ZNS_11gelu_kernelItEEfS3_EELi1ELb0ELi3EEEvPT0_PS2_if
                                        ; -- End function
	.section	.AMDGPU.csdata,"",@progbits
; Kernel info:
; codeLenInByte = 632
; NumSgprs: 42
; NumVgprs: 13
; NumAgprs: 0
; TotalNumVgprs: 13
; ScratchSize: 0
; MemoryBound: 0
; FloatMode: 240
; IeeeMode: 1
; LDSByteSize: 0 bytes/workgroup (compile time only)
; SGPRBlocks: 5
; VGPRBlocks: 1
; NumSGPRsForWavesPerEU: 42
; NumVGPRsForWavesPerEU: 13
; AccumOffset: 16
; Occupancy: 8
; WaveLimiterHint : 0
; COMPUTE_PGM_RSRC2:SCRATCH_EN: 0
; COMPUTE_PGM_RSRC2:USER_SGPR: 2
; COMPUTE_PGM_RSRC2:TRAP_HANDLER: 0
; COMPUTE_PGM_RSRC2:TGID_X_EN: 1
; COMPUTE_PGM_RSRC2:TGID_Y_EN: 0
; COMPUTE_PGM_RSRC2:TGID_Z_EN: 0
; COMPUTE_PGM_RSRC2:TIDIG_COMP_CNT: 0
; COMPUTE_PGM_RSRC3_GFX90A:ACCUM_OFFSET: 3
; COMPUTE_PGM_RSRC3_GFX90A:TG_SPLIT: 0
	.section	.text._ZN5aiter18act_and_mul_kernelIftTnPFfRKT_EXadL_ZNS_16gelu_tanh_kernelIfEEfS3_EELi16ELb0ELi0EEEvPT0_PS2_if,"axG",@progbits,_ZN5aiter18act_and_mul_kernelIftTnPFfRKT_EXadL_ZNS_16gelu_tanh_kernelIfEEfS3_EELi16ELb0ELi0EEEvPT0_PS2_if,comdat
	.protected	_ZN5aiter18act_and_mul_kernelIftTnPFfRKT_EXadL_ZNS_16gelu_tanh_kernelIfEEfS3_EELi16ELb0ELi0EEEvPT0_PS2_if ; -- Begin function _ZN5aiter18act_and_mul_kernelIftTnPFfRKT_EXadL_ZNS_16gelu_tanh_kernelIfEEfS3_EELi16ELb0ELi0EEEvPT0_PS2_if
	.globl	_ZN5aiter18act_and_mul_kernelIftTnPFfRKT_EXadL_ZNS_16gelu_tanh_kernelIfEEfS3_EELi16ELb0ELi0EEEvPT0_PS2_if
	.p2align	8
	.type	_ZN5aiter18act_and_mul_kernelIftTnPFfRKT_EXadL_ZNS_16gelu_tanh_kernelIfEEfS3_EELi16ELb0ELi0EEEvPT0_PS2_if,@function
_ZN5aiter18act_and_mul_kernelIftTnPFfRKT_EXadL_ZNS_16gelu_tanh_kernelIfEEfS3_EELi16ELb0ELi0EEEvPT0_PS2_if: ; @_ZN5aiter18act_and_mul_kernelIftTnPFfRKT_EXadL_ZNS_16gelu_tanh_kernelIfEEfS3_EELi16ELb0ELi0EEEvPT0_PS2_if
; %bb.0:
	s_load_dword s16, s[0:1], 0x10
	v_lshlrev_b32_e32 v32, 4, v0
	s_waitcnt lgkmcnt(0)
	v_cmp_gt_i32_e32 vcc, s16, v32
	s_and_saveexec_b64 s[4:5], vcc
	s_cbranch_execz .LBB568_67
; %bb.1:
	s_load_dwordx4 s[12:15], s[0:1], 0x0
	s_ashr_i32 s17, s16, 31
	s_mul_hi_u32 s3, s16, s2
	s_mul_i32 s4, s17, s2
	s_add_i32 s3, s3, s4
	s_mul_i32 s2, s16, s2
	s_lshl_b64 s[10:11], s[2:3], 1
	s_lshl_b64 s[2:3], s[2:3], 3
	s_waitcnt lgkmcnt(0)
	s_add_u32 s4, s14, s2
	s_addc_u32 s5, s15, s3
	s_lshl_b64 s[2:3], s[16:17], 2
	s_add_u32 s8, s4, s2
	s_addc_u32 s2, s5, s3
	s_lshl_b32 s6, s16, 2
	s_and_b32 s5, s5, 0xffff
	s_and_b32 s9, s2, 0xffff
	s_add_u32 s12, s12, s10
	s_addc_u32 s2, s13, s11
	s_add_i32 s3, s16, 1
	s_lshr_b32 s10, s3, 31
	s_add_i32 s3, s3, s10
	s_lshl_b32 s3, s3, 1
	s_and_b32 s14, s3, -4
	s_and_b32 s13, s2, 0xffff
	s_mov_b32 s7, 0x20000
	s_add_u32 s0, s0, 24
	s_mov_b32 s15, s7
	v_mov_b32_e32 v33, 0
	s_addc_u32 s1, s1, 0
	s_mov_b64 s[2:3], 0
	s_mov_b32 s19, 0
	s_mov_b32 s22, 0x3f200000
	;; [unrolled: 1-line block ×5, first 2 shown]
	v_mov_b32_e32 v34, 0x3ca908c9
	s_brev_b32 s26, -2
	s_mov_b32 s27, 0x7060302
	s_mov_b32 s10, s6
	;; [unrolled: 1-line block ×3, first 2 shown]
	v_mov_b32_e32 v35, 0x7f800000
                                        ; implicit-def: $vgpr0
                                        ; implicit-def: $vgpr0
	;; [unrolled: 1-line block ×3, first 2 shown]
	s_branch .LBB568_3
.LBB568_2:                              ;   in Loop: Header=BB568_3 Depth=1
	s_or_b64 exec, exec, s[20:21]
	v_bfi_b32 v4, s26, v5, v4
	v_mul_f32_e32 v6, 0.5, v6
	v_add_f32_e32 v4, 1.0, v4
	v_mul_f32_e32 v4, v6, v4
	v_bfi_b32 v6, s26, v13, v12
	v_mul_f32_e32 v5, 0.5, v7
	v_add_f32_e32 v6, 1.0, v6
	v_mul_f32_e32 v5, v5, v6
	;;#ASMSTART
	v_pk_mul_f32 v[6:7], v[4:5], v[2:3]
	;;#ASMEND
	s_load_dword s18, s[0:1], 0xc
	v_lshlrev_b32_e32 v12, 1, v32
	v_perm_b32 v5, v19, v18, s27
	v_perm_b32 v4, v17, v16, s27
	;; [unrolled: 1-line block ×3, first 2 shown]
	s_waitcnt lgkmcnt(0)
	s_and_b32 s18, s18, 0xffff
	s_lshl_b32 s18, s18, 4
	v_lshl_add_u64 v[32:33], s[18:19], 0, v[32:33]
	v_perm_b32 v2, v25, v24, s27
	v_cmp_le_i64_e32 vcc, s[16:17], v[32:33]
	buffer_store_dwordx4 v[2:5], v12, s[12:15], 0 offen
	s_or_b64 s[2:3], vcc, s[2:3]
	s_nop 0
	v_perm_b32 v3, v7, v6, s27
	v_perm_b32 v2, v1, v0, s27
	;; [unrolled: 1-line block ×4, first 2 shown]
	buffer_store_dwordx4 v[0:3], v12, s[12:15], 16 offen
	s_andn2_b64 exec, exec, s[2:3]
	s_cbranch_execz .LBB568_67
.LBB568_3:                              ; =>This Inner Loop Header: Depth=1
	v_lshlrev_b32_e32 v36, 2, v32
	buffer_load_dwordx4 v[28:31], v36, s[4:7], 0 offen
	buffer_load_dwordx4 v[20:23], v36, s[4:7], 16 offen
	;; [unrolled: 1-line block ×8, first 2 shown]
                                        ; implicit-def: $vgpr37
	s_waitcnt vmcnt(7)
	v_mul_f32_e32 v36, v28, v28
	v_mul_f32_e32 v36, v28, v36
	v_fmamk_f32 v36, v36, 0x3d372713, v28
	v_mul_f32_e32 v36, 0x3f4c422a, v36
	v_cmp_nlt_f32_e64 s[20:21], |v36|, s22
	s_and_saveexec_b64 s[28:29], s[20:21]
	s_xor_b64 s[20:21], exec, s[28:29]
	s_cbranch_execz .LBB568_5
; %bb.4:                                ;   in Loop: Header=BB568_3 Depth=1
	v_add_f32_e64 v37, |v36|, |v36|
	v_mul_f32_e32 v38, 0x3fb8aa3b, v37
	v_rndne_f32_e32 v39, v38
	v_sub_f32_e32 v40, v38, v39
	v_fma_f32 v38, v37, s23, -v38
	v_fmac_f32_e32 v38, 0x32a5705f, v37
	v_add_f32_e32 v38, v40, v38
	v_cvt_i32_f32_e32 v39, v39
	v_exp_f32_e32 v38, v38
	v_cmp_ngt_f32_e32 vcc, s24, v37
	v_ldexp_f32 v38, v38, v39
	s_nop 0
	v_cndmask_b32_e32 v38, 0, v38, vcc
	v_cmp_nlt_f32_e32 vcc, s25, v37
	s_nop 1
	v_cndmask_b32_e32 v37, v35, v38, vcc
	v_add_f32_e32 v37, 1.0, v37
	v_rcp_f32_e32 v37, v37
	s_nop 0
	v_fma_f32 v37, v37, -2.0, 1.0
.LBB568_5:                              ;   in Loop: Header=BB568_3 Depth=1
	s_andn2_saveexec_b64 s[20:21], s[20:21]
; %bb.6:                                ;   in Loop: Header=BB568_3 Depth=1
	v_mul_f32_e32 v37, v36, v36
	v_fmamk_f32 v38, v37, 0xbbbac73d, v34
	v_fmaak_f32 v38, v37, v38, 0xbd5c1c4e
	v_fmaak_f32 v38, v37, v38, 0x3e088382
	v_fmaak_f32 v38, v37, v38, 0xbeaaaa99
	v_mul_f32_e64 v38, |v36|, v38
	v_fma_f32 v37, v37, v38, |v36|
; %bb.7:                                ;   in Loop: Header=BB568_3 Depth=1
	s_or_b64 exec, exec, s[20:21]
	v_mul_f32_e32 v38, v29, v29
	v_mul_f32_e32 v38, v29, v38
	v_fmamk_f32 v38, v38, 0x3d372713, v29
	v_mul_f32_e32 v38, 0x3f4c422a, v38
	v_cmp_nlt_f32_e64 s[20:21], |v38|, s22
                                        ; implicit-def: $vgpr39
	s_and_saveexec_b64 s[28:29], s[20:21]
	s_xor_b64 s[20:21], exec, s[28:29]
	s_cbranch_execz .LBB568_9
; %bb.8:                                ;   in Loop: Header=BB568_3 Depth=1
	v_add_f32_e64 v39, |v38|, |v38|
	v_mul_f32_e32 v40, 0x3fb8aa3b, v39
	v_rndne_f32_e32 v41, v40
	v_sub_f32_e32 v42, v40, v41
	v_fma_f32 v40, v39, s23, -v40
	v_fmac_f32_e32 v40, 0x32a5705f, v39
	v_add_f32_e32 v40, v42, v40
	v_cvt_i32_f32_e32 v41, v41
	v_exp_f32_e32 v40, v40
	v_cmp_ngt_f32_e32 vcc, s24, v39
	v_ldexp_f32 v40, v40, v41
	s_nop 0
	v_cndmask_b32_e32 v40, 0, v40, vcc
	v_cmp_nlt_f32_e32 vcc, s25, v39
	s_nop 1
	v_cndmask_b32_e32 v39, v35, v40, vcc
	v_add_f32_e32 v39, 1.0, v39
	v_rcp_f32_e32 v39, v39
	s_nop 0
	v_fma_f32 v39, v39, -2.0, 1.0
.LBB568_9:                              ;   in Loop: Header=BB568_3 Depth=1
	s_andn2_saveexec_b64 s[20:21], s[20:21]
; %bb.10:                               ;   in Loop: Header=BB568_3 Depth=1
	v_mul_f32_e32 v39, v38, v38
	v_fmamk_f32 v40, v39, 0xbbbac73d, v34
	v_fmaak_f32 v40, v39, v40, 0xbd5c1c4e
	v_fmaak_f32 v40, v39, v40, 0x3e088382
	v_fmaak_f32 v40, v39, v40, 0xbeaaaa99
	v_mul_f32_e64 v40, |v38|, v40
	v_fma_f32 v39, v39, v40, |v38|
; %bb.11:                               ;   in Loop: Header=BB568_3 Depth=1
	s_or_b64 exec, exec, s[20:21]
	v_bfi_b32 v36, s26, v37, v36
	v_mul_f32_e32 v28, 0.5, v28
	v_add_f32_e32 v36, 1.0, v36
	v_mul_f32_e32 v28, v28, v36
	v_bfi_b32 v36, s26, v39, v38
	v_mul_f32_e32 v29, 0.5, v29
	v_add_f32_e32 v36, 1.0, v36
	v_mul_f32_e32 v29, v29, v36
	s_waitcnt vmcnt(3)
	;;#ASMSTART
	v_pk_mul_f32 v[24:25], v[28:29], v[24:25]
	;;#ASMEND
	v_mul_f32_e32 v28, v30, v30
	v_mul_f32_e32 v28, v30, v28
	v_fmamk_f32 v28, v28, 0x3d372713, v30
	v_mul_f32_e32 v28, 0x3f4c422a, v28
	v_cmp_nlt_f32_e64 s[20:21], |v28|, s22
                                        ; implicit-def: $vgpr29
	s_and_saveexec_b64 s[28:29], s[20:21]
	s_xor_b64 s[20:21], exec, s[28:29]
	s_cbranch_execz .LBB568_13
; %bb.12:                               ;   in Loop: Header=BB568_3 Depth=1
	v_add_f32_e64 v29, |v28|, |v28|
	v_mul_f32_e32 v36, 0x3fb8aa3b, v29
	v_rndne_f32_e32 v37, v36
	v_sub_f32_e32 v38, v36, v37
	v_fma_f32 v36, v29, s23, -v36
	v_fmac_f32_e32 v36, 0x32a5705f, v29
	v_add_f32_e32 v36, v38, v36
	v_cvt_i32_f32_e32 v37, v37
	v_exp_f32_e32 v36, v36
	v_cmp_ngt_f32_e32 vcc, s24, v29
	v_ldexp_f32 v36, v36, v37
	s_nop 0
	v_cndmask_b32_e32 v36, 0, v36, vcc
	v_cmp_nlt_f32_e32 vcc, s25, v29
	s_nop 1
	v_cndmask_b32_e32 v29, v35, v36, vcc
	v_add_f32_e32 v29, 1.0, v29
	v_rcp_f32_e32 v29, v29
	s_nop 0
	v_fma_f32 v29, v29, -2.0, 1.0
.LBB568_13:                             ;   in Loop: Header=BB568_3 Depth=1
	s_andn2_saveexec_b64 s[20:21], s[20:21]
; %bb.14:                               ;   in Loop: Header=BB568_3 Depth=1
	v_mul_f32_e32 v29, v28, v28
	v_fmamk_f32 v36, v29, 0xbbbac73d, v34
	v_fmaak_f32 v36, v29, v36, 0xbd5c1c4e
	v_fmaak_f32 v36, v29, v36, 0x3e088382
	;; [unrolled: 1-line block ×3, first 2 shown]
	v_mul_f32_e64 v36, |v28|, v36
	v_fma_f32 v29, v29, v36, |v28|
; %bb.15:                               ;   in Loop: Header=BB568_3 Depth=1
	s_or_b64 exec, exec, s[20:21]
	v_mul_f32_e32 v36, v31, v31
	v_mul_f32_e32 v36, v31, v36
	v_fmamk_f32 v36, v36, 0x3d372713, v31
	v_mul_f32_e32 v36, 0x3f4c422a, v36
	v_cmp_nlt_f32_e64 s[20:21], |v36|, s22
                                        ; implicit-def: $vgpr37
	s_and_saveexec_b64 s[28:29], s[20:21]
	s_xor_b64 s[20:21], exec, s[28:29]
	s_cbranch_execz .LBB568_17
; %bb.16:                               ;   in Loop: Header=BB568_3 Depth=1
	v_add_f32_e64 v37, |v36|, |v36|
	v_mul_f32_e32 v38, 0x3fb8aa3b, v37
	v_rndne_f32_e32 v39, v38
	v_sub_f32_e32 v40, v38, v39
	v_fma_f32 v38, v37, s23, -v38
	v_fmac_f32_e32 v38, 0x32a5705f, v37
	v_add_f32_e32 v38, v40, v38
	v_cvt_i32_f32_e32 v39, v39
	v_exp_f32_e32 v38, v38
	v_cmp_ngt_f32_e32 vcc, s24, v37
	v_ldexp_f32 v38, v38, v39
	s_nop 0
	v_cndmask_b32_e32 v38, 0, v38, vcc
	v_cmp_nlt_f32_e32 vcc, s25, v37
	s_nop 1
	v_cndmask_b32_e32 v37, v35, v38, vcc
	v_add_f32_e32 v37, 1.0, v37
	v_rcp_f32_e32 v37, v37
	s_nop 0
	v_fma_f32 v37, v37, -2.0, 1.0
.LBB568_17:                             ;   in Loop: Header=BB568_3 Depth=1
	s_andn2_saveexec_b64 s[20:21], s[20:21]
; %bb.18:                               ;   in Loop: Header=BB568_3 Depth=1
	v_mul_f32_e32 v37, v36, v36
	v_fmamk_f32 v38, v37, 0xbbbac73d, v34
	v_fmaak_f32 v38, v37, v38, 0xbd5c1c4e
	v_fmaak_f32 v38, v37, v38, 0x3e088382
	;; [unrolled: 1-line block ×3, first 2 shown]
	v_mul_f32_e64 v38, |v36|, v38
	v_fma_f32 v37, v37, v38, |v36|
; %bb.19:                               ;   in Loop: Header=BB568_3 Depth=1
	s_or_b64 exec, exec, s[20:21]
	v_bfi_b32 v28, s26, v29, v28
	v_mul_f32_e32 v30, 0.5, v30
	v_add_f32_e32 v28, 1.0, v28
	v_mul_f32_e32 v28, v30, v28
	v_bfi_b32 v30, s26, v37, v36
	v_mul_f32_e32 v29, 0.5, v31
	v_add_f32_e32 v30, 1.0, v30
	v_mul_f32_e32 v29, v29, v30
	;;#ASMSTART
	v_pk_mul_f32 v[26:27], v[28:29], v[26:27]
	;;#ASMEND
	v_mul_f32_e32 v28, v20, v20
	v_mul_f32_e32 v28, v20, v28
	v_fmamk_f32 v28, v28, 0x3d372713, v20
	v_mul_f32_e32 v28, 0x3f4c422a, v28
	v_cmp_nlt_f32_e64 s[20:21], |v28|, s22
                                        ; implicit-def: $vgpr29
	s_and_saveexec_b64 s[28:29], s[20:21]
	s_xor_b64 s[20:21], exec, s[28:29]
	s_cbranch_execz .LBB568_21
; %bb.20:                               ;   in Loop: Header=BB568_3 Depth=1
	v_add_f32_e64 v29, |v28|, |v28|
	v_mul_f32_e32 v30, 0x3fb8aa3b, v29
	v_rndne_f32_e32 v31, v30
	v_sub_f32_e32 v36, v30, v31
	v_fma_f32 v30, v29, s23, -v30
	v_fmac_f32_e32 v30, 0x32a5705f, v29
	v_add_f32_e32 v30, v36, v30
	v_cvt_i32_f32_e32 v31, v31
	v_exp_f32_e32 v30, v30
	v_cmp_ngt_f32_e32 vcc, s24, v29
	v_ldexp_f32 v30, v30, v31
	s_nop 0
	v_cndmask_b32_e32 v30, 0, v30, vcc
	v_cmp_nlt_f32_e32 vcc, s25, v29
	s_nop 1
	v_cndmask_b32_e32 v29, v35, v30, vcc
	v_add_f32_e32 v29, 1.0, v29
	v_rcp_f32_e32 v29, v29
	s_nop 0
	v_fma_f32 v29, v29, -2.0, 1.0
.LBB568_21:                             ;   in Loop: Header=BB568_3 Depth=1
	s_andn2_saveexec_b64 s[20:21], s[20:21]
; %bb.22:                               ;   in Loop: Header=BB568_3 Depth=1
	v_mul_f32_e32 v29, v28, v28
	v_fmamk_f32 v30, v29, 0xbbbac73d, v34
	v_fmaak_f32 v30, v29, v30, 0xbd5c1c4e
	v_fmaak_f32 v30, v29, v30, 0x3e088382
	;; [unrolled: 1-line block ×3, first 2 shown]
	v_mul_f32_e64 v30, |v28|, v30
	v_fma_f32 v29, v29, v30, |v28|
; %bb.23:                               ;   in Loop: Header=BB568_3 Depth=1
	s_or_b64 exec, exec, s[20:21]
	v_mul_f32_e32 v30, v21, v21
	v_mul_f32_e32 v30, v21, v30
	v_fmamk_f32 v30, v30, 0x3d372713, v21
	v_mul_f32_e32 v30, 0x3f4c422a, v30
	v_cmp_nlt_f32_e64 s[20:21], |v30|, s22
                                        ; implicit-def: $vgpr31
	s_and_saveexec_b64 s[28:29], s[20:21]
	s_xor_b64 s[20:21], exec, s[28:29]
	s_cbranch_execz .LBB568_25
; %bb.24:                               ;   in Loop: Header=BB568_3 Depth=1
	v_add_f32_e64 v31, |v30|, |v30|
	v_mul_f32_e32 v36, 0x3fb8aa3b, v31
	v_rndne_f32_e32 v37, v36
	v_sub_f32_e32 v38, v36, v37
	v_fma_f32 v36, v31, s23, -v36
	v_fmac_f32_e32 v36, 0x32a5705f, v31
	v_add_f32_e32 v36, v38, v36
	v_cvt_i32_f32_e32 v37, v37
	v_exp_f32_e32 v36, v36
	v_cmp_ngt_f32_e32 vcc, s24, v31
	v_ldexp_f32 v36, v36, v37
	s_nop 0
	v_cndmask_b32_e32 v36, 0, v36, vcc
	v_cmp_nlt_f32_e32 vcc, s25, v31
	s_nop 1
	v_cndmask_b32_e32 v31, v35, v36, vcc
	v_add_f32_e32 v31, 1.0, v31
	v_rcp_f32_e32 v31, v31
	s_nop 0
	v_fma_f32 v31, v31, -2.0, 1.0
.LBB568_25:                             ;   in Loop: Header=BB568_3 Depth=1
	s_andn2_saveexec_b64 s[20:21], s[20:21]
; %bb.26:                               ;   in Loop: Header=BB568_3 Depth=1
	v_mul_f32_e32 v31, v30, v30
	v_fmamk_f32 v36, v31, 0xbbbac73d, v34
	v_fmaak_f32 v36, v31, v36, 0xbd5c1c4e
	v_fmaak_f32 v36, v31, v36, 0x3e088382
	;; [unrolled: 1-line block ×3, first 2 shown]
	v_mul_f32_e64 v36, |v30|, v36
	v_fma_f32 v31, v31, v36, |v30|
; %bb.27:                               ;   in Loop: Header=BB568_3 Depth=1
	s_or_b64 exec, exec, s[20:21]
	v_bfi_b32 v28, s26, v29, v28
	v_mul_f32_e32 v20, 0.5, v20
	v_add_f32_e32 v28, 1.0, v28
	v_mul_f32_e32 v20, v20, v28
	v_bfi_b32 v28, s26, v31, v30
	v_mul_f32_e32 v21, 0.5, v21
	v_add_f32_e32 v28, 1.0, v28
	v_mul_f32_e32 v21, v21, v28
	s_waitcnt vmcnt(2)
	;;#ASMSTART
	v_pk_mul_f32 v[16:17], v[20:21], v[16:17]
	;;#ASMEND
	v_mul_f32_e32 v20, v22, v22
	v_mul_f32_e32 v20, v22, v20
	v_fmamk_f32 v20, v20, 0x3d372713, v22
	v_mul_f32_e32 v20, 0x3f4c422a, v20
	v_cmp_nlt_f32_e64 s[20:21], |v20|, s22
                                        ; implicit-def: $vgpr21
	s_and_saveexec_b64 s[28:29], s[20:21]
	s_xor_b64 s[20:21], exec, s[28:29]
	s_cbranch_execz .LBB568_29
; %bb.28:                               ;   in Loop: Header=BB568_3 Depth=1
	v_add_f32_e64 v21, |v20|, |v20|
	v_mul_f32_e32 v28, 0x3fb8aa3b, v21
	v_rndne_f32_e32 v29, v28
	v_sub_f32_e32 v30, v28, v29
	v_fma_f32 v28, v21, s23, -v28
	v_fmac_f32_e32 v28, 0x32a5705f, v21
	v_add_f32_e32 v28, v30, v28
	v_cvt_i32_f32_e32 v29, v29
	v_exp_f32_e32 v28, v28
	v_cmp_ngt_f32_e32 vcc, s24, v21
	v_ldexp_f32 v28, v28, v29
	s_nop 0
	v_cndmask_b32_e32 v28, 0, v28, vcc
	v_cmp_nlt_f32_e32 vcc, s25, v21
	s_nop 1
	v_cndmask_b32_e32 v21, v35, v28, vcc
	v_add_f32_e32 v21, 1.0, v21
	v_rcp_f32_e32 v21, v21
	s_nop 0
	v_fma_f32 v21, v21, -2.0, 1.0
.LBB568_29:                             ;   in Loop: Header=BB568_3 Depth=1
	s_andn2_saveexec_b64 s[20:21], s[20:21]
; %bb.30:                               ;   in Loop: Header=BB568_3 Depth=1
	v_mul_f32_e32 v21, v20, v20
	v_fmamk_f32 v28, v21, 0xbbbac73d, v34
	v_fmaak_f32 v28, v21, v28, 0xbd5c1c4e
	v_fmaak_f32 v28, v21, v28, 0x3e088382
	;; [unrolled: 1-line block ×3, first 2 shown]
	v_mul_f32_e64 v28, |v20|, v28
	v_fma_f32 v21, v21, v28, |v20|
; %bb.31:                               ;   in Loop: Header=BB568_3 Depth=1
	s_or_b64 exec, exec, s[20:21]
	v_mul_f32_e32 v28, v23, v23
	v_mul_f32_e32 v28, v23, v28
	v_fmamk_f32 v28, v28, 0x3d372713, v23
	v_mul_f32_e32 v28, 0x3f4c422a, v28
	v_cmp_nlt_f32_e64 s[20:21], |v28|, s22
                                        ; implicit-def: $vgpr29
	s_and_saveexec_b64 s[28:29], s[20:21]
	s_xor_b64 s[20:21], exec, s[28:29]
	s_cbranch_execz .LBB568_33
; %bb.32:                               ;   in Loop: Header=BB568_3 Depth=1
	v_add_f32_e64 v29, |v28|, |v28|
	v_mul_f32_e32 v30, 0x3fb8aa3b, v29
	v_rndne_f32_e32 v31, v30
	v_sub_f32_e32 v36, v30, v31
	v_fma_f32 v30, v29, s23, -v30
	v_fmac_f32_e32 v30, 0x32a5705f, v29
	v_add_f32_e32 v30, v36, v30
	v_cvt_i32_f32_e32 v31, v31
	v_exp_f32_e32 v30, v30
	v_cmp_ngt_f32_e32 vcc, s24, v29
	v_ldexp_f32 v30, v30, v31
	s_nop 0
	v_cndmask_b32_e32 v30, 0, v30, vcc
	v_cmp_nlt_f32_e32 vcc, s25, v29
	s_nop 1
	v_cndmask_b32_e32 v29, v35, v30, vcc
	v_add_f32_e32 v29, 1.0, v29
	v_rcp_f32_e32 v29, v29
	s_nop 0
	v_fma_f32 v29, v29, -2.0, 1.0
.LBB568_33:                             ;   in Loop: Header=BB568_3 Depth=1
	s_andn2_saveexec_b64 s[20:21], s[20:21]
; %bb.34:                               ;   in Loop: Header=BB568_3 Depth=1
	v_mul_f32_e32 v29, v28, v28
	v_fmamk_f32 v30, v29, 0xbbbac73d, v34
	v_fmaak_f32 v30, v29, v30, 0xbd5c1c4e
	v_fmaak_f32 v30, v29, v30, 0x3e088382
	;; [unrolled: 1-line block ×3, first 2 shown]
	v_mul_f32_e64 v30, |v28|, v30
	v_fma_f32 v29, v29, v30, |v28|
; %bb.35:                               ;   in Loop: Header=BB568_3 Depth=1
	s_or_b64 exec, exec, s[20:21]
	v_bfi_b32 v20, s26, v21, v20
	v_mul_f32_e32 v22, 0.5, v22
	v_add_f32_e32 v20, 1.0, v20
	v_mul_f32_e32 v20, v22, v20
	v_bfi_b32 v22, s26, v29, v28
	v_mul_f32_e32 v21, 0.5, v23
	v_add_f32_e32 v22, 1.0, v22
	v_mul_f32_e32 v21, v21, v22
	;;#ASMSTART
	v_pk_mul_f32 v[18:19], v[20:21], v[18:19]
	;;#ASMEND
	v_mul_f32_e32 v20, v12, v12
	v_mul_f32_e32 v20, v12, v20
	v_fmamk_f32 v20, v20, 0x3d372713, v12
	v_mul_f32_e32 v20, 0x3f4c422a, v20
	v_cmp_nlt_f32_e64 s[20:21], |v20|, s22
                                        ; implicit-def: $vgpr21
	s_and_saveexec_b64 s[28:29], s[20:21]
	s_xor_b64 s[20:21], exec, s[28:29]
	s_cbranch_execz .LBB568_37
; %bb.36:                               ;   in Loop: Header=BB568_3 Depth=1
	v_add_f32_e64 v21, |v20|, |v20|
	v_mul_f32_e32 v22, 0x3fb8aa3b, v21
	v_rndne_f32_e32 v23, v22
	v_sub_f32_e32 v28, v22, v23
	v_fma_f32 v22, v21, s23, -v22
	v_fmac_f32_e32 v22, 0x32a5705f, v21
	v_add_f32_e32 v22, v28, v22
	v_cvt_i32_f32_e32 v23, v23
	v_exp_f32_e32 v22, v22
	v_cmp_ngt_f32_e32 vcc, s24, v21
	v_ldexp_f32 v22, v22, v23
	s_nop 0
	v_cndmask_b32_e32 v22, 0, v22, vcc
	v_cmp_nlt_f32_e32 vcc, s25, v21
	s_nop 1
	v_cndmask_b32_e32 v21, v35, v22, vcc
	v_add_f32_e32 v21, 1.0, v21
	v_rcp_f32_e32 v21, v21
	s_nop 0
	v_fma_f32 v21, v21, -2.0, 1.0
.LBB568_37:                             ;   in Loop: Header=BB568_3 Depth=1
	s_andn2_saveexec_b64 s[20:21], s[20:21]
; %bb.38:                               ;   in Loop: Header=BB568_3 Depth=1
	v_mul_f32_e32 v21, v20, v20
	v_fmamk_f32 v22, v21, 0xbbbac73d, v34
	v_fmaak_f32 v22, v21, v22, 0xbd5c1c4e
	v_fmaak_f32 v22, v21, v22, 0x3e088382
	;; [unrolled: 1-line block ×3, first 2 shown]
	v_mul_f32_e64 v22, |v20|, v22
	v_fma_f32 v21, v21, v22, |v20|
; %bb.39:                               ;   in Loop: Header=BB568_3 Depth=1
	s_or_b64 exec, exec, s[20:21]
	v_mul_f32_e32 v22, v13, v13
	v_mul_f32_e32 v22, v13, v22
	v_fmamk_f32 v22, v22, 0x3d372713, v13
	v_mul_f32_e32 v22, 0x3f4c422a, v22
	v_cmp_nlt_f32_e64 s[20:21], |v22|, s22
                                        ; implicit-def: $vgpr23
	s_and_saveexec_b64 s[28:29], s[20:21]
	s_xor_b64 s[20:21], exec, s[28:29]
	s_cbranch_execz .LBB568_41
; %bb.40:                               ;   in Loop: Header=BB568_3 Depth=1
	v_add_f32_e64 v23, |v22|, |v22|
	v_mul_f32_e32 v28, 0x3fb8aa3b, v23
	v_rndne_f32_e32 v29, v28
	v_sub_f32_e32 v30, v28, v29
	v_fma_f32 v28, v23, s23, -v28
	v_fmac_f32_e32 v28, 0x32a5705f, v23
	v_add_f32_e32 v28, v30, v28
	v_cvt_i32_f32_e32 v29, v29
	v_exp_f32_e32 v28, v28
	v_cmp_ngt_f32_e32 vcc, s24, v23
	v_ldexp_f32 v28, v28, v29
	s_nop 0
	v_cndmask_b32_e32 v28, 0, v28, vcc
	v_cmp_nlt_f32_e32 vcc, s25, v23
	s_nop 1
	v_cndmask_b32_e32 v23, v35, v28, vcc
	v_add_f32_e32 v23, 1.0, v23
	v_rcp_f32_e32 v23, v23
	s_nop 0
	v_fma_f32 v23, v23, -2.0, 1.0
.LBB568_41:                             ;   in Loop: Header=BB568_3 Depth=1
	s_andn2_saveexec_b64 s[20:21], s[20:21]
; %bb.42:                               ;   in Loop: Header=BB568_3 Depth=1
	v_mul_f32_e32 v23, v22, v22
	v_fmamk_f32 v28, v23, 0xbbbac73d, v34
	v_fmaak_f32 v28, v23, v28, 0xbd5c1c4e
	v_fmaak_f32 v28, v23, v28, 0x3e088382
	;; [unrolled: 1-line block ×3, first 2 shown]
	v_mul_f32_e64 v28, |v22|, v28
	v_fma_f32 v23, v23, v28, |v22|
; %bb.43:                               ;   in Loop: Header=BB568_3 Depth=1
	s_or_b64 exec, exec, s[20:21]
	v_bfi_b32 v20, s26, v21, v20
	v_mul_f32_e32 v12, 0.5, v12
	v_add_f32_e32 v20, 1.0, v20
	v_mul_f32_e32 v12, v12, v20
	v_bfi_b32 v20, s26, v23, v22
	v_mul_f32_e32 v13, 0.5, v13
	v_add_f32_e32 v20, 1.0, v20
	v_mul_f32_e32 v13, v13, v20
	s_waitcnt vmcnt(1)
	;;#ASMSTART
	v_pk_mul_f32 v[8:9], v[12:13], v[8:9]
	;;#ASMEND
	v_mul_f32_e32 v12, v14, v14
	v_mul_f32_e32 v12, v14, v12
	v_fmamk_f32 v12, v12, 0x3d372713, v14
	v_mul_f32_e32 v12, 0x3f4c422a, v12
	v_cmp_nlt_f32_e64 s[20:21], |v12|, s22
                                        ; implicit-def: $vgpr13
	s_and_saveexec_b64 s[28:29], s[20:21]
	s_xor_b64 s[20:21], exec, s[28:29]
	s_cbranch_execz .LBB568_45
; %bb.44:                               ;   in Loop: Header=BB568_3 Depth=1
	v_add_f32_e64 v13, |v12|, |v12|
	v_mul_f32_e32 v20, 0x3fb8aa3b, v13
	v_rndne_f32_e32 v21, v20
	v_sub_f32_e32 v22, v20, v21
	v_fma_f32 v20, v13, s23, -v20
	v_fmac_f32_e32 v20, 0x32a5705f, v13
	v_add_f32_e32 v20, v22, v20
	v_cvt_i32_f32_e32 v21, v21
	v_exp_f32_e32 v20, v20
	v_cmp_ngt_f32_e32 vcc, s24, v13
	v_ldexp_f32 v20, v20, v21
	s_nop 0
	v_cndmask_b32_e32 v20, 0, v20, vcc
	v_cmp_nlt_f32_e32 vcc, s25, v13
	s_nop 1
	v_cndmask_b32_e32 v13, v35, v20, vcc
	v_add_f32_e32 v13, 1.0, v13
	v_rcp_f32_e32 v13, v13
	s_nop 0
	v_fma_f32 v13, v13, -2.0, 1.0
.LBB568_45:                             ;   in Loop: Header=BB568_3 Depth=1
	s_andn2_saveexec_b64 s[20:21], s[20:21]
; %bb.46:                               ;   in Loop: Header=BB568_3 Depth=1
	v_mul_f32_e32 v13, v12, v12
	v_fmamk_f32 v20, v13, 0xbbbac73d, v34
	v_fmaak_f32 v20, v13, v20, 0xbd5c1c4e
	v_fmaak_f32 v20, v13, v20, 0x3e088382
	v_fmaak_f32 v20, v13, v20, 0xbeaaaa99
	v_mul_f32_e64 v20, |v12|, v20
	v_fma_f32 v13, v13, v20, |v12|
; %bb.47:                               ;   in Loop: Header=BB568_3 Depth=1
	s_or_b64 exec, exec, s[20:21]
	v_mul_f32_e32 v20, v15, v15
	v_mul_f32_e32 v20, v15, v20
	v_fmamk_f32 v20, v20, 0x3d372713, v15
	v_mul_f32_e32 v20, 0x3f4c422a, v20
	v_cmp_nlt_f32_e64 s[20:21], |v20|, s22
                                        ; implicit-def: $vgpr21
	s_and_saveexec_b64 s[28:29], s[20:21]
	s_xor_b64 s[20:21], exec, s[28:29]
	s_cbranch_execz .LBB568_49
; %bb.48:                               ;   in Loop: Header=BB568_3 Depth=1
	v_add_f32_e64 v21, |v20|, |v20|
	v_mul_f32_e32 v22, 0x3fb8aa3b, v21
	v_rndne_f32_e32 v23, v22
	v_sub_f32_e32 v28, v22, v23
	v_fma_f32 v22, v21, s23, -v22
	v_fmac_f32_e32 v22, 0x32a5705f, v21
	v_add_f32_e32 v22, v28, v22
	v_cvt_i32_f32_e32 v23, v23
	v_exp_f32_e32 v22, v22
	v_cmp_ngt_f32_e32 vcc, s24, v21
	v_ldexp_f32 v22, v22, v23
	s_nop 0
	v_cndmask_b32_e32 v22, 0, v22, vcc
	v_cmp_nlt_f32_e32 vcc, s25, v21
	s_nop 1
	v_cndmask_b32_e32 v21, v35, v22, vcc
	v_add_f32_e32 v21, 1.0, v21
	v_rcp_f32_e32 v21, v21
	s_nop 0
	v_fma_f32 v21, v21, -2.0, 1.0
.LBB568_49:                             ;   in Loop: Header=BB568_3 Depth=1
	s_andn2_saveexec_b64 s[20:21], s[20:21]
; %bb.50:                               ;   in Loop: Header=BB568_3 Depth=1
	v_mul_f32_e32 v21, v20, v20
	v_fmamk_f32 v22, v21, 0xbbbac73d, v34
	v_fmaak_f32 v22, v21, v22, 0xbd5c1c4e
	v_fmaak_f32 v22, v21, v22, 0x3e088382
	;; [unrolled: 1-line block ×3, first 2 shown]
	v_mul_f32_e64 v22, |v20|, v22
	v_fma_f32 v21, v21, v22, |v20|
; %bb.51:                               ;   in Loop: Header=BB568_3 Depth=1
	s_or_b64 exec, exec, s[20:21]
	v_bfi_b32 v12, s26, v13, v12
	v_mul_f32_e32 v14, 0.5, v14
	v_add_f32_e32 v12, 1.0, v12
	v_mul_f32_e32 v12, v14, v12
	v_bfi_b32 v14, s26, v21, v20
	v_mul_f32_e32 v13, 0.5, v15
	v_add_f32_e32 v14, 1.0, v14
	v_mul_f32_e32 v13, v13, v14
	;;#ASMSTART
	v_pk_mul_f32 v[10:11], v[12:13], v[10:11]
	;;#ASMEND
	v_mul_f32_e32 v12, v4, v4
	v_mul_f32_e32 v12, v4, v12
	v_fmamk_f32 v12, v12, 0x3d372713, v4
	v_mul_f32_e32 v12, 0x3f4c422a, v12
	v_cmp_nlt_f32_e64 s[20:21], |v12|, s22
                                        ; implicit-def: $vgpr13
	s_and_saveexec_b64 s[28:29], s[20:21]
	s_xor_b64 s[20:21], exec, s[28:29]
	s_cbranch_execz .LBB568_53
; %bb.52:                               ;   in Loop: Header=BB568_3 Depth=1
	v_add_f32_e64 v13, |v12|, |v12|
	v_mul_f32_e32 v14, 0x3fb8aa3b, v13
	v_rndne_f32_e32 v15, v14
	v_sub_f32_e32 v20, v14, v15
	v_fma_f32 v14, v13, s23, -v14
	v_fmac_f32_e32 v14, 0x32a5705f, v13
	v_add_f32_e32 v14, v20, v14
	v_cvt_i32_f32_e32 v15, v15
	v_exp_f32_e32 v14, v14
	v_cmp_ngt_f32_e32 vcc, s24, v13
	v_ldexp_f32 v14, v14, v15
	s_nop 0
	v_cndmask_b32_e32 v14, 0, v14, vcc
	v_cmp_nlt_f32_e32 vcc, s25, v13
	s_nop 1
	v_cndmask_b32_e32 v13, v35, v14, vcc
	v_add_f32_e32 v13, 1.0, v13
	v_rcp_f32_e32 v13, v13
	s_nop 0
	v_fma_f32 v13, v13, -2.0, 1.0
.LBB568_53:                             ;   in Loop: Header=BB568_3 Depth=1
	s_andn2_saveexec_b64 s[20:21], s[20:21]
; %bb.54:                               ;   in Loop: Header=BB568_3 Depth=1
	v_mul_f32_e32 v13, v12, v12
	v_fmamk_f32 v14, v13, 0xbbbac73d, v34
	v_fmaak_f32 v14, v13, v14, 0xbd5c1c4e
	v_fmaak_f32 v14, v13, v14, 0x3e088382
	;; [unrolled: 1-line block ×3, first 2 shown]
	v_mul_f32_e64 v14, |v12|, v14
	v_fma_f32 v13, v13, v14, |v12|
; %bb.55:                               ;   in Loop: Header=BB568_3 Depth=1
	s_or_b64 exec, exec, s[20:21]
	v_mul_f32_e32 v14, v5, v5
	v_mul_f32_e32 v14, v5, v14
	v_fmamk_f32 v14, v14, 0x3d372713, v5
	v_mul_f32_e32 v14, 0x3f4c422a, v14
	v_cmp_nlt_f32_e64 s[20:21], |v14|, s22
                                        ; implicit-def: $vgpr15
	s_and_saveexec_b64 s[28:29], s[20:21]
	s_xor_b64 s[20:21], exec, s[28:29]
	s_cbranch_execz .LBB568_57
; %bb.56:                               ;   in Loop: Header=BB568_3 Depth=1
	v_add_f32_e64 v15, |v14|, |v14|
	v_mul_f32_e32 v20, 0x3fb8aa3b, v15
	v_rndne_f32_e32 v21, v20
	v_sub_f32_e32 v22, v20, v21
	v_fma_f32 v20, v15, s23, -v20
	v_fmac_f32_e32 v20, 0x32a5705f, v15
	v_add_f32_e32 v20, v22, v20
	v_cvt_i32_f32_e32 v21, v21
	v_exp_f32_e32 v20, v20
	v_cmp_ngt_f32_e32 vcc, s24, v15
	v_ldexp_f32 v20, v20, v21
	s_nop 0
	v_cndmask_b32_e32 v20, 0, v20, vcc
	v_cmp_nlt_f32_e32 vcc, s25, v15
	s_nop 1
	v_cndmask_b32_e32 v15, v35, v20, vcc
	v_add_f32_e32 v15, 1.0, v15
	v_rcp_f32_e32 v15, v15
	s_nop 0
	v_fma_f32 v15, v15, -2.0, 1.0
.LBB568_57:                             ;   in Loop: Header=BB568_3 Depth=1
	s_andn2_saveexec_b64 s[20:21], s[20:21]
; %bb.58:                               ;   in Loop: Header=BB568_3 Depth=1
	v_mul_f32_e32 v15, v14, v14
	v_fmamk_f32 v20, v15, 0xbbbac73d, v34
	v_fmaak_f32 v20, v15, v20, 0xbd5c1c4e
	v_fmaak_f32 v20, v15, v20, 0x3e088382
	;; [unrolled: 1-line block ×3, first 2 shown]
	v_mul_f32_e64 v20, |v14|, v20
	v_fma_f32 v15, v15, v20, |v14|
; %bb.59:                               ;   in Loop: Header=BB568_3 Depth=1
	s_or_b64 exec, exec, s[20:21]
	v_bfi_b32 v12, s26, v13, v12
	v_mul_f32_e32 v4, 0.5, v4
	v_add_f32_e32 v12, 1.0, v12
	v_mul_f32_e32 v4, v4, v12
	v_bfi_b32 v12, s26, v15, v14
	v_mul_f32_e32 v5, 0.5, v5
	v_add_f32_e32 v12, 1.0, v12
	v_mul_f32_e32 v5, v5, v12
	s_waitcnt vmcnt(0)
	;;#ASMSTART
	v_pk_mul_f32 v[0:1], v[4:5], v[0:1]
	;;#ASMEND
	v_mul_f32_e32 v4, v6, v6
	v_mul_f32_e32 v4, v6, v4
	v_fmamk_f32 v4, v4, 0x3d372713, v6
	v_mul_f32_e32 v4, 0x3f4c422a, v4
	v_cmp_nlt_f32_e64 s[20:21], |v4|, s22
                                        ; implicit-def: $vgpr5
	s_and_saveexec_b64 s[28:29], s[20:21]
	s_xor_b64 s[20:21], exec, s[28:29]
	s_cbranch_execz .LBB568_61
; %bb.60:                               ;   in Loop: Header=BB568_3 Depth=1
	v_add_f32_e64 v5, |v4|, |v4|
	v_mul_f32_e32 v12, 0x3fb8aa3b, v5
	v_rndne_f32_e32 v13, v12
	v_sub_f32_e32 v14, v12, v13
	v_fma_f32 v12, v5, s23, -v12
	v_fmac_f32_e32 v12, 0x32a5705f, v5
	v_add_f32_e32 v12, v14, v12
	v_cvt_i32_f32_e32 v13, v13
	v_exp_f32_e32 v12, v12
	v_cmp_ngt_f32_e32 vcc, s24, v5
	v_ldexp_f32 v12, v12, v13
	s_nop 0
	v_cndmask_b32_e32 v12, 0, v12, vcc
	v_cmp_nlt_f32_e32 vcc, s25, v5
	s_nop 1
	v_cndmask_b32_e32 v5, v35, v12, vcc
	v_add_f32_e32 v5, 1.0, v5
	v_rcp_f32_e32 v5, v5
	s_nop 0
	v_fma_f32 v5, v5, -2.0, 1.0
.LBB568_61:                             ;   in Loop: Header=BB568_3 Depth=1
	s_andn2_saveexec_b64 s[20:21], s[20:21]
; %bb.62:                               ;   in Loop: Header=BB568_3 Depth=1
	v_mul_f32_e32 v5, v4, v4
	v_fmamk_f32 v12, v5, 0xbbbac73d, v34
	v_fmaak_f32 v12, v5, v12, 0xbd5c1c4e
	v_fmaak_f32 v12, v5, v12, 0x3e088382
	;; [unrolled: 1-line block ×3, first 2 shown]
	v_mul_f32_e64 v12, |v4|, v12
	v_fma_f32 v5, v5, v12, |v4|
; %bb.63:                               ;   in Loop: Header=BB568_3 Depth=1
	s_or_b64 exec, exec, s[20:21]
	v_mul_f32_e32 v12, v7, v7
	v_mul_f32_e32 v12, v7, v12
	v_fmamk_f32 v12, v12, 0x3d372713, v7
	v_mul_f32_e32 v12, 0x3f4c422a, v12
	v_cmp_nlt_f32_e64 s[20:21], |v12|, s22
                                        ; implicit-def: $vgpr13
	s_and_saveexec_b64 s[28:29], s[20:21]
	s_xor_b64 s[20:21], exec, s[28:29]
	s_cbranch_execz .LBB568_65
; %bb.64:                               ;   in Loop: Header=BB568_3 Depth=1
	v_add_f32_e64 v13, |v12|, |v12|
	v_mul_f32_e32 v14, 0x3fb8aa3b, v13
	v_rndne_f32_e32 v15, v14
	v_sub_f32_e32 v20, v14, v15
	v_fma_f32 v14, v13, s23, -v14
	v_fmac_f32_e32 v14, 0x32a5705f, v13
	v_add_f32_e32 v14, v20, v14
	v_cvt_i32_f32_e32 v15, v15
	v_exp_f32_e32 v14, v14
	v_cmp_ngt_f32_e32 vcc, s24, v13
	v_ldexp_f32 v14, v14, v15
	s_nop 0
	v_cndmask_b32_e32 v14, 0, v14, vcc
	v_cmp_nlt_f32_e32 vcc, s25, v13
	s_nop 1
	v_cndmask_b32_e32 v13, v35, v14, vcc
	v_add_f32_e32 v13, 1.0, v13
	v_rcp_f32_e32 v13, v13
	s_nop 0
	v_fma_f32 v13, v13, -2.0, 1.0
.LBB568_65:                             ;   in Loop: Header=BB568_3 Depth=1
	s_andn2_saveexec_b64 s[20:21], s[20:21]
	s_cbranch_execz .LBB568_2
; %bb.66:                               ;   in Loop: Header=BB568_3 Depth=1
	v_mul_f32_e32 v13, v12, v12
	v_fmamk_f32 v14, v13, 0xbbbac73d, v34
	v_fmaak_f32 v14, v13, v14, 0xbd5c1c4e
	v_fmaak_f32 v14, v13, v14, 0x3e088382
	;; [unrolled: 1-line block ×3, first 2 shown]
	v_mul_f32_e64 v14, |v12|, v14
	v_fma_f32 v13, v13, v14, |v12|
	s_branch .LBB568_2
.LBB568_67:
	s_endpgm
	.section	.rodata,"a",@progbits
	.p2align	6, 0x0
	.amdhsa_kernel _ZN5aiter18act_and_mul_kernelIftTnPFfRKT_EXadL_ZNS_16gelu_tanh_kernelIfEEfS3_EELi16ELb0ELi0EEEvPT0_PS2_if
		.amdhsa_group_segment_fixed_size 0
		.amdhsa_private_segment_fixed_size 0
		.amdhsa_kernarg_size 280
		.amdhsa_user_sgpr_count 2
		.amdhsa_user_sgpr_dispatch_ptr 0
		.amdhsa_user_sgpr_queue_ptr 0
		.amdhsa_user_sgpr_kernarg_segment_ptr 1
		.amdhsa_user_sgpr_dispatch_id 0
		.amdhsa_user_sgpr_kernarg_preload_length 0
		.amdhsa_user_sgpr_kernarg_preload_offset 0
		.amdhsa_user_sgpr_private_segment_size 0
		.amdhsa_uses_dynamic_stack 0
		.amdhsa_enable_private_segment 0
		.amdhsa_system_sgpr_workgroup_id_x 1
		.amdhsa_system_sgpr_workgroup_id_y 0
		.amdhsa_system_sgpr_workgroup_id_z 0
		.amdhsa_system_sgpr_workgroup_info 0
		.amdhsa_system_vgpr_workitem_id 0
		.amdhsa_next_free_vgpr 43
		.amdhsa_next_free_sgpr 30
		.amdhsa_accum_offset 44
		.amdhsa_reserve_vcc 1
		.amdhsa_float_round_mode_32 0
		.amdhsa_float_round_mode_16_64 0
		.amdhsa_float_denorm_mode_32 3
		.amdhsa_float_denorm_mode_16_64 3
		.amdhsa_dx10_clamp 1
		.amdhsa_ieee_mode 1
		.amdhsa_fp16_overflow 0
		.amdhsa_tg_split 0
		.amdhsa_exception_fp_ieee_invalid_op 0
		.amdhsa_exception_fp_denorm_src 0
		.amdhsa_exception_fp_ieee_div_zero 0
		.amdhsa_exception_fp_ieee_overflow 0
		.amdhsa_exception_fp_ieee_underflow 0
		.amdhsa_exception_fp_ieee_inexact 0
		.amdhsa_exception_int_div_zero 0
	.end_amdhsa_kernel
	.section	.text._ZN5aiter18act_and_mul_kernelIftTnPFfRKT_EXadL_ZNS_16gelu_tanh_kernelIfEEfS3_EELi16ELb0ELi0EEEvPT0_PS2_if,"axG",@progbits,_ZN5aiter18act_and_mul_kernelIftTnPFfRKT_EXadL_ZNS_16gelu_tanh_kernelIfEEfS3_EELi16ELb0ELi0EEEvPT0_PS2_if,comdat
.Lfunc_end568:
	.size	_ZN5aiter18act_and_mul_kernelIftTnPFfRKT_EXadL_ZNS_16gelu_tanh_kernelIfEEfS3_EELi16ELb0ELi0EEEvPT0_PS2_if, .Lfunc_end568-_ZN5aiter18act_and_mul_kernelIftTnPFfRKT_EXadL_ZNS_16gelu_tanh_kernelIfEEfS3_EELi16ELb0ELi0EEEvPT0_PS2_if
                                        ; -- End function
	.section	.AMDGPU.csdata,"",@progbits
; Kernel info:
; codeLenInByte = 4196
; NumSgprs: 36
; NumVgprs: 43
; NumAgprs: 0
; TotalNumVgprs: 43
; ScratchSize: 0
; MemoryBound: 0
; FloatMode: 240
; IeeeMode: 1
; LDSByteSize: 0 bytes/workgroup (compile time only)
; SGPRBlocks: 4
; VGPRBlocks: 5
; NumSGPRsForWavesPerEU: 36
; NumVGPRsForWavesPerEU: 43
; AccumOffset: 44
; Occupancy: 8
; WaveLimiterHint : 0
; COMPUTE_PGM_RSRC2:SCRATCH_EN: 0
; COMPUTE_PGM_RSRC2:USER_SGPR: 2
; COMPUTE_PGM_RSRC2:TRAP_HANDLER: 0
; COMPUTE_PGM_RSRC2:TGID_X_EN: 1
; COMPUTE_PGM_RSRC2:TGID_Y_EN: 0
; COMPUTE_PGM_RSRC2:TGID_Z_EN: 0
; COMPUTE_PGM_RSRC2:TIDIG_COMP_CNT: 0
; COMPUTE_PGM_RSRC3_GFX90A:ACCUM_OFFSET: 10
; COMPUTE_PGM_RSRC3_GFX90A:TG_SPLIT: 0
	.section	.text._ZN5aiter18act_and_mul_kernelIftTnPFfRKT_EXadL_ZNS_16gelu_tanh_kernelIfEEfS3_EELi8ELb0ELi0EEEvPT0_PS2_if,"axG",@progbits,_ZN5aiter18act_and_mul_kernelIftTnPFfRKT_EXadL_ZNS_16gelu_tanh_kernelIfEEfS3_EELi8ELb0ELi0EEEvPT0_PS2_if,comdat
	.protected	_ZN5aiter18act_and_mul_kernelIftTnPFfRKT_EXadL_ZNS_16gelu_tanh_kernelIfEEfS3_EELi8ELb0ELi0EEEvPT0_PS2_if ; -- Begin function _ZN5aiter18act_and_mul_kernelIftTnPFfRKT_EXadL_ZNS_16gelu_tanh_kernelIfEEfS3_EELi8ELb0ELi0EEEvPT0_PS2_if
	.globl	_ZN5aiter18act_and_mul_kernelIftTnPFfRKT_EXadL_ZNS_16gelu_tanh_kernelIfEEfS3_EELi8ELb0ELi0EEEvPT0_PS2_if
	.p2align	8
	.type	_ZN5aiter18act_and_mul_kernelIftTnPFfRKT_EXadL_ZNS_16gelu_tanh_kernelIfEEfS3_EELi8ELb0ELi0EEEvPT0_PS2_if,@function
_ZN5aiter18act_and_mul_kernelIftTnPFfRKT_EXadL_ZNS_16gelu_tanh_kernelIfEEfS3_EELi8ELb0ELi0EEEvPT0_PS2_if: ; @_ZN5aiter18act_and_mul_kernelIftTnPFfRKT_EXadL_ZNS_16gelu_tanh_kernelIfEEfS3_EELi8ELb0ELi0EEEvPT0_PS2_if
; %bb.0:
	s_load_dword s16, s[0:1], 0x10
	v_lshlrev_b32_e32 v16, 3, v0
	s_waitcnt lgkmcnt(0)
	v_cmp_gt_i32_e32 vcc, s16, v16
	s_and_saveexec_b64 s[4:5], vcc
	s_cbranch_execz .LBB569_35
; %bb.1:
	s_load_dwordx4 s[12:15], s[0:1], 0x0
	s_ashr_i32 s17, s16, 31
	s_mul_hi_u32 s3, s16, s2
	s_mul_i32 s4, s17, s2
	s_add_i32 s3, s3, s4
	s_mul_i32 s2, s16, s2
	s_lshl_b64 s[10:11], s[2:3], 1
	s_lshl_b64 s[2:3], s[2:3], 3
	s_waitcnt lgkmcnt(0)
	s_add_u32 s4, s14, s2
	s_addc_u32 s5, s15, s3
	s_lshl_b64 s[2:3], s[16:17], 2
	s_add_u32 s8, s4, s2
	s_addc_u32 s2, s5, s3
	s_lshl_b32 s6, s16, 2
	s_and_b32 s5, s5, 0xffff
	s_and_b32 s9, s2, 0xffff
	s_add_u32 s12, s12, s10
	s_addc_u32 s2, s13, s11
	s_add_i32 s3, s16, 1
	s_lshr_b32 s10, s3, 31
	s_add_i32 s3, s3, s10
	s_lshl_b32 s3, s3, 1
	s_and_b32 s14, s3, -4
	s_and_b32 s13, s2, 0xffff
	s_mov_b32 s7, 0x20000
	s_add_u32 s0, s0, 24
	s_mov_b32 s15, s7
	v_mov_b32_e32 v17, 0
	s_addc_u32 s1, s1, 0
	s_mov_b64 s[2:3], 0
	s_mov_b32 s19, 0
	s_mov_b32 s10, s6
	s_mov_b32 s11, s7
	s_mov_b32 s22, 0x3f200000
	s_mov_b32 s23, 0x3fb8aa3b
	s_mov_b32 s24, 0xc2ce8ed0
	s_mov_b32 s25, 0x42b17218
	v_mov_b32_e32 v18, 0x3ca908c9
	s_brev_b32 s26, -2
	s_mov_b32 s27, 0x7060302
	v_mov_b32_e32 v19, 0x7f800000
                                        ; implicit-def: $vgpr0
                                        ; implicit-def: $vgpr0
	;; [unrolled: 1-line block ×3, first 2 shown]
	s_branch .LBB569_3
.LBB569_2:                              ;   in Loop: Header=BB569_3 Depth=1
	s_or_b64 exec, exec, s[20:21]
	v_bfi_b32 v4, s26, v5, v4
	v_mul_f32_e32 v6, 0.5, v6
	v_add_f32_e32 v4, 1.0, v4
	v_mul_f32_e32 v4, v6, v4
	v_bfi_b32 v6, s26, v13, v12
	v_mul_f32_e32 v5, 0.5, v7
	v_add_f32_e32 v6, 1.0, v6
	v_mul_f32_e32 v5, v5, v6
	;;#ASMSTART
	v_pk_mul_f32 v[2:3], v[4:5], v[2:3]
	;;#ASMEND
	s_load_dword s18, s[0:1], 0xc
	v_lshlrev_b32_e32 v4, 1, v16
	v_perm_b32 v3, v3, v2, s27
	v_perm_b32 v2, v1, v0, s27
	;; [unrolled: 1-line block ×3, first 2 shown]
	s_waitcnt lgkmcnt(0)
	s_and_b32 s18, s18, 0xffff
	s_lshl_b32 s18, s18, 3
	v_lshl_add_u64 v[16:17], s[18:19], 0, v[16:17]
	v_cmp_le_i64_e32 vcc, s[16:17], v[16:17]
	v_perm_b32 v0, v9, v8, s27
	s_or_b64 s[2:3], vcc, s[2:3]
	buffer_store_dwordx4 v[0:3], v4, s[12:15], 0 offen
	s_andn2_b64 exec, exec, s[2:3]
	s_cbranch_execz .LBB569_35
.LBB569_3:                              ; =>This Inner Loop Header: Depth=1
	v_lshlrev_b32_e32 v20, 2, v16
	buffer_load_dwordx4 v[12:15], v20, s[4:7], 0 offen
	buffer_load_dwordx4 v[4:7], v20, s[4:7], 16 offen
	;; [unrolled: 1-line block ×4, first 2 shown]
                                        ; implicit-def: $vgpr21
	s_waitcnt vmcnt(3)
	v_mul_f32_e32 v20, v12, v12
	v_mul_f32_e32 v20, v12, v20
	v_fmamk_f32 v20, v20, 0x3d372713, v12
	v_mul_f32_e32 v20, 0x3f4c422a, v20
	v_cmp_nlt_f32_e64 s[20:21], |v20|, s22
	s_and_saveexec_b64 s[28:29], s[20:21]
	s_xor_b64 s[20:21], exec, s[28:29]
	s_cbranch_execz .LBB569_5
; %bb.4:                                ;   in Loop: Header=BB569_3 Depth=1
	v_add_f32_e64 v21, |v20|, |v20|
	v_mul_f32_e32 v22, 0x3fb8aa3b, v21
	v_rndne_f32_e32 v23, v22
	v_sub_f32_e32 v24, v22, v23
	v_fma_f32 v22, v21, s23, -v22
	v_fmac_f32_e32 v22, 0x32a5705f, v21
	v_add_f32_e32 v22, v24, v22
	v_cvt_i32_f32_e32 v23, v23
	v_exp_f32_e32 v22, v22
	v_cmp_ngt_f32_e32 vcc, s24, v21
	v_ldexp_f32 v22, v22, v23
	s_nop 0
	v_cndmask_b32_e32 v22, 0, v22, vcc
	v_cmp_nlt_f32_e32 vcc, s25, v21
	s_nop 1
	v_cndmask_b32_e32 v21, v19, v22, vcc
	v_add_f32_e32 v21, 1.0, v21
	v_rcp_f32_e32 v21, v21
	s_nop 0
	v_fma_f32 v21, v21, -2.0, 1.0
.LBB569_5:                              ;   in Loop: Header=BB569_3 Depth=1
	s_andn2_saveexec_b64 s[20:21], s[20:21]
; %bb.6:                                ;   in Loop: Header=BB569_3 Depth=1
	v_mul_f32_e32 v21, v20, v20
	v_fmamk_f32 v22, v21, 0xbbbac73d, v18
	v_fmaak_f32 v22, v21, v22, 0xbd5c1c4e
	v_fmaak_f32 v22, v21, v22, 0x3e088382
	;; [unrolled: 1-line block ×3, first 2 shown]
	v_mul_f32_e64 v22, |v20|, v22
	v_fma_f32 v21, v21, v22, |v20|
; %bb.7:                                ;   in Loop: Header=BB569_3 Depth=1
	s_or_b64 exec, exec, s[20:21]
	v_mul_f32_e32 v22, v13, v13
	v_mul_f32_e32 v22, v13, v22
	v_fmamk_f32 v22, v22, 0x3d372713, v13
	v_mul_f32_e32 v22, 0x3f4c422a, v22
	v_cmp_nlt_f32_e64 s[20:21], |v22|, s22
                                        ; implicit-def: $vgpr23
	s_and_saveexec_b64 s[28:29], s[20:21]
	s_xor_b64 s[20:21], exec, s[28:29]
	s_cbranch_execz .LBB569_9
; %bb.8:                                ;   in Loop: Header=BB569_3 Depth=1
	v_add_f32_e64 v23, |v22|, |v22|
	v_mul_f32_e32 v24, 0x3fb8aa3b, v23
	v_rndne_f32_e32 v25, v24
	v_sub_f32_e32 v26, v24, v25
	v_fma_f32 v24, v23, s23, -v24
	v_fmac_f32_e32 v24, 0x32a5705f, v23
	v_add_f32_e32 v24, v26, v24
	v_cvt_i32_f32_e32 v25, v25
	v_exp_f32_e32 v24, v24
	v_cmp_ngt_f32_e32 vcc, s24, v23
	v_ldexp_f32 v24, v24, v25
	s_nop 0
	v_cndmask_b32_e32 v24, 0, v24, vcc
	v_cmp_nlt_f32_e32 vcc, s25, v23
	s_nop 1
	v_cndmask_b32_e32 v23, v19, v24, vcc
	v_add_f32_e32 v23, 1.0, v23
	v_rcp_f32_e32 v23, v23
	s_nop 0
	v_fma_f32 v23, v23, -2.0, 1.0
.LBB569_9:                              ;   in Loop: Header=BB569_3 Depth=1
	s_andn2_saveexec_b64 s[20:21], s[20:21]
; %bb.10:                               ;   in Loop: Header=BB569_3 Depth=1
	v_mul_f32_e32 v23, v22, v22
	v_fmamk_f32 v24, v23, 0xbbbac73d, v18
	v_fmaak_f32 v24, v23, v24, 0xbd5c1c4e
	v_fmaak_f32 v24, v23, v24, 0x3e088382
	;; [unrolled: 1-line block ×3, first 2 shown]
	v_mul_f32_e64 v24, |v22|, v24
	v_fma_f32 v23, v23, v24, |v22|
; %bb.11:                               ;   in Loop: Header=BB569_3 Depth=1
	s_or_b64 exec, exec, s[20:21]
	v_bfi_b32 v20, s26, v21, v20
	v_mul_f32_e32 v12, 0.5, v12
	v_add_f32_e32 v20, 1.0, v20
	v_mul_f32_e32 v12, v12, v20
	v_bfi_b32 v20, s26, v23, v22
	v_mul_f32_e32 v13, 0.5, v13
	v_add_f32_e32 v20, 1.0, v20
	v_mul_f32_e32 v13, v13, v20
	s_waitcnt vmcnt(1)
	;;#ASMSTART
	v_pk_mul_f32 v[8:9], v[12:13], v[8:9]
	;;#ASMEND
	v_mul_f32_e32 v12, v14, v14
	v_mul_f32_e32 v12, v14, v12
	v_fmamk_f32 v12, v12, 0x3d372713, v14
	v_mul_f32_e32 v12, 0x3f4c422a, v12
	v_cmp_nlt_f32_e64 s[20:21], |v12|, s22
                                        ; implicit-def: $vgpr13
	s_and_saveexec_b64 s[28:29], s[20:21]
	s_xor_b64 s[20:21], exec, s[28:29]
	s_cbranch_execz .LBB569_13
; %bb.12:                               ;   in Loop: Header=BB569_3 Depth=1
	v_add_f32_e64 v13, |v12|, |v12|
	v_mul_f32_e32 v20, 0x3fb8aa3b, v13
	v_rndne_f32_e32 v21, v20
	v_sub_f32_e32 v22, v20, v21
	v_fma_f32 v20, v13, s23, -v20
	v_fmac_f32_e32 v20, 0x32a5705f, v13
	v_add_f32_e32 v20, v22, v20
	v_cvt_i32_f32_e32 v21, v21
	v_exp_f32_e32 v20, v20
	v_cmp_ngt_f32_e32 vcc, s24, v13
	v_ldexp_f32 v20, v20, v21
	s_nop 0
	v_cndmask_b32_e32 v20, 0, v20, vcc
	v_cmp_nlt_f32_e32 vcc, s25, v13
	s_nop 1
	v_cndmask_b32_e32 v13, v19, v20, vcc
	v_add_f32_e32 v13, 1.0, v13
	v_rcp_f32_e32 v13, v13
	s_nop 0
	v_fma_f32 v13, v13, -2.0, 1.0
.LBB569_13:                             ;   in Loop: Header=BB569_3 Depth=1
	s_andn2_saveexec_b64 s[20:21], s[20:21]
; %bb.14:                               ;   in Loop: Header=BB569_3 Depth=1
	v_mul_f32_e32 v13, v12, v12
	v_fmamk_f32 v20, v13, 0xbbbac73d, v18
	v_fmaak_f32 v20, v13, v20, 0xbd5c1c4e
	v_fmaak_f32 v20, v13, v20, 0x3e088382
	;; [unrolled: 1-line block ×3, first 2 shown]
	v_mul_f32_e64 v20, |v12|, v20
	v_fma_f32 v13, v13, v20, |v12|
; %bb.15:                               ;   in Loop: Header=BB569_3 Depth=1
	s_or_b64 exec, exec, s[20:21]
	v_mul_f32_e32 v20, v15, v15
	v_mul_f32_e32 v20, v15, v20
	v_fmamk_f32 v20, v20, 0x3d372713, v15
	v_mul_f32_e32 v20, 0x3f4c422a, v20
	v_cmp_nlt_f32_e64 s[20:21], |v20|, s22
                                        ; implicit-def: $vgpr21
	s_and_saveexec_b64 s[28:29], s[20:21]
	s_xor_b64 s[20:21], exec, s[28:29]
	s_cbranch_execz .LBB569_17
; %bb.16:                               ;   in Loop: Header=BB569_3 Depth=1
	v_add_f32_e64 v21, |v20|, |v20|
	v_mul_f32_e32 v22, 0x3fb8aa3b, v21
	v_rndne_f32_e32 v23, v22
	v_sub_f32_e32 v24, v22, v23
	v_fma_f32 v22, v21, s23, -v22
	v_fmac_f32_e32 v22, 0x32a5705f, v21
	v_add_f32_e32 v22, v24, v22
	v_cvt_i32_f32_e32 v23, v23
	v_exp_f32_e32 v22, v22
	v_cmp_ngt_f32_e32 vcc, s24, v21
	v_ldexp_f32 v22, v22, v23
	s_nop 0
	v_cndmask_b32_e32 v22, 0, v22, vcc
	v_cmp_nlt_f32_e32 vcc, s25, v21
	s_nop 1
	v_cndmask_b32_e32 v21, v19, v22, vcc
	v_add_f32_e32 v21, 1.0, v21
	v_rcp_f32_e32 v21, v21
	s_nop 0
	v_fma_f32 v21, v21, -2.0, 1.0
.LBB569_17:                             ;   in Loop: Header=BB569_3 Depth=1
	s_andn2_saveexec_b64 s[20:21], s[20:21]
; %bb.18:                               ;   in Loop: Header=BB569_3 Depth=1
	v_mul_f32_e32 v21, v20, v20
	v_fmamk_f32 v22, v21, 0xbbbac73d, v18
	v_fmaak_f32 v22, v21, v22, 0xbd5c1c4e
	v_fmaak_f32 v22, v21, v22, 0x3e088382
	;; [unrolled: 1-line block ×3, first 2 shown]
	v_mul_f32_e64 v22, |v20|, v22
	v_fma_f32 v21, v21, v22, |v20|
; %bb.19:                               ;   in Loop: Header=BB569_3 Depth=1
	s_or_b64 exec, exec, s[20:21]
	v_bfi_b32 v12, s26, v13, v12
	v_mul_f32_e32 v14, 0.5, v14
	v_add_f32_e32 v12, 1.0, v12
	v_mul_f32_e32 v12, v14, v12
	v_bfi_b32 v14, s26, v21, v20
	v_mul_f32_e32 v13, 0.5, v15
	v_add_f32_e32 v14, 1.0, v14
	v_mul_f32_e32 v13, v13, v14
	;;#ASMSTART
	v_pk_mul_f32 v[10:11], v[12:13], v[10:11]
	;;#ASMEND
	v_mul_f32_e32 v12, v4, v4
	v_mul_f32_e32 v12, v4, v12
	v_fmamk_f32 v12, v12, 0x3d372713, v4
	v_mul_f32_e32 v12, 0x3f4c422a, v12
	v_cmp_nlt_f32_e64 s[20:21], |v12|, s22
                                        ; implicit-def: $vgpr13
	s_and_saveexec_b64 s[28:29], s[20:21]
	s_xor_b64 s[20:21], exec, s[28:29]
	s_cbranch_execz .LBB569_21
; %bb.20:                               ;   in Loop: Header=BB569_3 Depth=1
	v_add_f32_e64 v13, |v12|, |v12|
	v_mul_f32_e32 v14, 0x3fb8aa3b, v13
	v_rndne_f32_e32 v15, v14
	v_sub_f32_e32 v20, v14, v15
	v_fma_f32 v14, v13, s23, -v14
	v_fmac_f32_e32 v14, 0x32a5705f, v13
	v_add_f32_e32 v14, v20, v14
	v_cvt_i32_f32_e32 v15, v15
	v_exp_f32_e32 v14, v14
	v_cmp_ngt_f32_e32 vcc, s24, v13
	v_ldexp_f32 v14, v14, v15
	s_nop 0
	v_cndmask_b32_e32 v14, 0, v14, vcc
	v_cmp_nlt_f32_e32 vcc, s25, v13
	s_nop 1
	v_cndmask_b32_e32 v13, v19, v14, vcc
	v_add_f32_e32 v13, 1.0, v13
	v_rcp_f32_e32 v13, v13
	s_nop 0
	v_fma_f32 v13, v13, -2.0, 1.0
.LBB569_21:                             ;   in Loop: Header=BB569_3 Depth=1
	s_andn2_saveexec_b64 s[20:21], s[20:21]
; %bb.22:                               ;   in Loop: Header=BB569_3 Depth=1
	v_mul_f32_e32 v13, v12, v12
	v_fmamk_f32 v14, v13, 0xbbbac73d, v18
	v_fmaak_f32 v14, v13, v14, 0xbd5c1c4e
	v_fmaak_f32 v14, v13, v14, 0x3e088382
	;; [unrolled: 1-line block ×3, first 2 shown]
	v_mul_f32_e64 v14, |v12|, v14
	v_fma_f32 v13, v13, v14, |v12|
; %bb.23:                               ;   in Loop: Header=BB569_3 Depth=1
	s_or_b64 exec, exec, s[20:21]
	v_mul_f32_e32 v14, v5, v5
	v_mul_f32_e32 v14, v5, v14
	v_fmamk_f32 v14, v14, 0x3d372713, v5
	v_mul_f32_e32 v14, 0x3f4c422a, v14
	v_cmp_nlt_f32_e64 s[20:21], |v14|, s22
                                        ; implicit-def: $vgpr15
	s_and_saveexec_b64 s[28:29], s[20:21]
	s_xor_b64 s[20:21], exec, s[28:29]
	s_cbranch_execz .LBB569_25
; %bb.24:                               ;   in Loop: Header=BB569_3 Depth=1
	v_add_f32_e64 v15, |v14|, |v14|
	v_mul_f32_e32 v20, 0x3fb8aa3b, v15
	v_rndne_f32_e32 v21, v20
	v_sub_f32_e32 v22, v20, v21
	v_fma_f32 v20, v15, s23, -v20
	v_fmac_f32_e32 v20, 0x32a5705f, v15
	v_add_f32_e32 v20, v22, v20
	v_cvt_i32_f32_e32 v21, v21
	v_exp_f32_e32 v20, v20
	v_cmp_ngt_f32_e32 vcc, s24, v15
	v_ldexp_f32 v20, v20, v21
	s_nop 0
	v_cndmask_b32_e32 v20, 0, v20, vcc
	v_cmp_nlt_f32_e32 vcc, s25, v15
	s_nop 1
	v_cndmask_b32_e32 v15, v19, v20, vcc
	v_add_f32_e32 v15, 1.0, v15
	v_rcp_f32_e32 v15, v15
	s_nop 0
	v_fma_f32 v15, v15, -2.0, 1.0
.LBB569_25:                             ;   in Loop: Header=BB569_3 Depth=1
	s_andn2_saveexec_b64 s[20:21], s[20:21]
; %bb.26:                               ;   in Loop: Header=BB569_3 Depth=1
	v_mul_f32_e32 v15, v14, v14
	v_fmamk_f32 v20, v15, 0xbbbac73d, v18
	v_fmaak_f32 v20, v15, v20, 0xbd5c1c4e
	v_fmaak_f32 v20, v15, v20, 0x3e088382
	;; [unrolled: 1-line block ×3, first 2 shown]
	v_mul_f32_e64 v20, |v14|, v20
	v_fma_f32 v15, v15, v20, |v14|
; %bb.27:                               ;   in Loop: Header=BB569_3 Depth=1
	s_or_b64 exec, exec, s[20:21]
	v_bfi_b32 v12, s26, v13, v12
	v_mul_f32_e32 v4, 0.5, v4
	v_add_f32_e32 v12, 1.0, v12
	v_mul_f32_e32 v4, v4, v12
	v_bfi_b32 v12, s26, v15, v14
	v_mul_f32_e32 v5, 0.5, v5
	v_add_f32_e32 v12, 1.0, v12
	v_mul_f32_e32 v5, v5, v12
	s_waitcnt vmcnt(0)
	;;#ASMSTART
	v_pk_mul_f32 v[0:1], v[4:5], v[0:1]
	;;#ASMEND
	v_mul_f32_e32 v4, v6, v6
	v_mul_f32_e32 v4, v6, v4
	v_fmamk_f32 v4, v4, 0x3d372713, v6
	v_mul_f32_e32 v4, 0x3f4c422a, v4
	v_cmp_nlt_f32_e64 s[20:21], |v4|, s22
                                        ; implicit-def: $vgpr5
	s_and_saveexec_b64 s[28:29], s[20:21]
	s_xor_b64 s[20:21], exec, s[28:29]
	s_cbranch_execz .LBB569_29
; %bb.28:                               ;   in Loop: Header=BB569_3 Depth=1
	v_add_f32_e64 v5, |v4|, |v4|
	v_mul_f32_e32 v12, 0x3fb8aa3b, v5
	v_rndne_f32_e32 v13, v12
	v_sub_f32_e32 v14, v12, v13
	v_fma_f32 v12, v5, s23, -v12
	v_fmac_f32_e32 v12, 0x32a5705f, v5
	v_add_f32_e32 v12, v14, v12
	v_cvt_i32_f32_e32 v13, v13
	v_exp_f32_e32 v12, v12
	v_cmp_ngt_f32_e32 vcc, s24, v5
	v_ldexp_f32 v12, v12, v13
	s_nop 0
	v_cndmask_b32_e32 v12, 0, v12, vcc
	v_cmp_nlt_f32_e32 vcc, s25, v5
	s_nop 1
	v_cndmask_b32_e32 v5, v19, v12, vcc
	v_add_f32_e32 v5, 1.0, v5
	v_rcp_f32_e32 v5, v5
	s_nop 0
	v_fma_f32 v5, v5, -2.0, 1.0
.LBB569_29:                             ;   in Loop: Header=BB569_3 Depth=1
	s_andn2_saveexec_b64 s[20:21], s[20:21]
; %bb.30:                               ;   in Loop: Header=BB569_3 Depth=1
	v_mul_f32_e32 v5, v4, v4
	v_fmamk_f32 v12, v5, 0xbbbac73d, v18
	v_fmaak_f32 v12, v5, v12, 0xbd5c1c4e
	v_fmaak_f32 v12, v5, v12, 0x3e088382
	;; [unrolled: 1-line block ×3, first 2 shown]
	v_mul_f32_e64 v12, |v4|, v12
	v_fma_f32 v5, v5, v12, |v4|
; %bb.31:                               ;   in Loop: Header=BB569_3 Depth=1
	s_or_b64 exec, exec, s[20:21]
	v_mul_f32_e32 v12, v7, v7
	v_mul_f32_e32 v12, v7, v12
	v_fmamk_f32 v12, v12, 0x3d372713, v7
	v_mul_f32_e32 v12, 0x3f4c422a, v12
	v_cmp_nlt_f32_e64 s[20:21], |v12|, s22
                                        ; implicit-def: $vgpr13
	s_and_saveexec_b64 s[28:29], s[20:21]
	s_xor_b64 s[20:21], exec, s[28:29]
	s_cbranch_execz .LBB569_33
; %bb.32:                               ;   in Loop: Header=BB569_3 Depth=1
	v_add_f32_e64 v13, |v12|, |v12|
	v_mul_f32_e32 v14, 0x3fb8aa3b, v13
	v_rndne_f32_e32 v15, v14
	v_sub_f32_e32 v20, v14, v15
	v_fma_f32 v14, v13, s23, -v14
	v_fmac_f32_e32 v14, 0x32a5705f, v13
	v_add_f32_e32 v14, v20, v14
	v_cvt_i32_f32_e32 v15, v15
	v_exp_f32_e32 v14, v14
	v_cmp_ngt_f32_e32 vcc, s24, v13
	v_ldexp_f32 v14, v14, v15
	s_nop 0
	v_cndmask_b32_e32 v14, 0, v14, vcc
	v_cmp_nlt_f32_e32 vcc, s25, v13
	s_nop 1
	v_cndmask_b32_e32 v13, v19, v14, vcc
	v_add_f32_e32 v13, 1.0, v13
	v_rcp_f32_e32 v13, v13
	s_nop 0
	v_fma_f32 v13, v13, -2.0, 1.0
.LBB569_33:                             ;   in Loop: Header=BB569_3 Depth=1
	s_andn2_saveexec_b64 s[20:21], s[20:21]
	s_cbranch_execz .LBB569_2
; %bb.34:                               ;   in Loop: Header=BB569_3 Depth=1
	v_mul_f32_e32 v13, v12, v12
	v_fmamk_f32 v14, v13, 0xbbbac73d, v18
	v_fmaak_f32 v14, v13, v14, 0xbd5c1c4e
	v_fmaak_f32 v14, v13, v14, 0x3e088382
	;; [unrolled: 1-line block ×3, first 2 shown]
	v_mul_f32_e64 v14, |v12|, v14
	v_fma_f32 v13, v13, v14, |v12|
	s_branch .LBB569_2
.LBB569_35:
	s_endpgm
	.section	.rodata,"a",@progbits
	.p2align	6, 0x0
	.amdhsa_kernel _ZN5aiter18act_and_mul_kernelIftTnPFfRKT_EXadL_ZNS_16gelu_tanh_kernelIfEEfS3_EELi8ELb0ELi0EEEvPT0_PS2_if
		.amdhsa_group_segment_fixed_size 0
		.amdhsa_private_segment_fixed_size 0
		.amdhsa_kernarg_size 280
		.amdhsa_user_sgpr_count 2
		.amdhsa_user_sgpr_dispatch_ptr 0
		.amdhsa_user_sgpr_queue_ptr 0
		.amdhsa_user_sgpr_kernarg_segment_ptr 1
		.amdhsa_user_sgpr_dispatch_id 0
		.amdhsa_user_sgpr_kernarg_preload_length 0
		.amdhsa_user_sgpr_kernarg_preload_offset 0
		.amdhsa_user_sgpr_private_segment_size 0
		.amdhsa_uses_dynamic_stack 0
		.amdhsa_enable_private_segment 0
		.amdhsa_system_sgpr_workgroup_id_x 1
		.amdhsa_system_sgpr_workgroup_id_y 0
		.amdhsa_system_sgpr_workgroup_id_z 0
		.amdhsa_system_sgpr_workgroup_info 0
		.amdhsa_system_vgpr_workitem_id 0
		.amdhsa_next_free_vgpr 27
		.amdhsa_next_free_sgpr 30
		.amdhsa_accum_offset 28
		.amdhsa_reserve_vcc 1
		.amdhsa_float_round_mode_32 0
		.amdhsa_float_round_mode_16_64 0
		.amdhsa_float_denorm_mode_32 3
		.amdhsa_float_denorm_mode_16_64 3
		.amdhsa_dx10_clamp 1
		.amdhsa_ieee_mode 1
		.amdhsa_fp16_overflow 0
		.amdhsa_tg_split 0
		.amdhsa_exception_fp_ieee_invalid_op 0
		.amdhsa_exception_fp_denorm_src 0
		.amdhsa_exception_fp_ieee_div_zero 0
		.amdhsa_exception_fp_ieee_overflow 0
		.amdhsa_exception_fp_ieee_underflow 0
		.amdhsa_exception_fp_ieee_inexact 0
		.amdhsa_exception_int_div_zero 0
	.end_amdhsa_kernel
	.section	.text._ZN5aiter18act_and_mul_kernelIftTnPFfRKT_EXadL_ZNS_16gelu_tanh_kernelIfEEfS3_EELi8ELb0ELi0EEEvPT0_PS2_if,"axG",@progbits,_ZN5aiter18act_and_mul_kernelIftTnPFfRKT_EXadL_ZNS_16gelu_tanh_kernelIfEEfS3_EELi8ELb0ELi0EEEvPT0_PS2_if,comdat
.Lfunc_end569:
	.size	_ZN5aiter18act_and_mul_kernelIftTnPFfRKT_EXadL_ZNS_16gelu_tanh_kernelIfEEfS3_EELi8ELb0ELi0EEEvPT0_PS2_if, .Lfunc_end569-_ZN5aiter18act_and_mul_kernelIftTnPFfRKT_EXadL_ZNS_16gelu_tanh_kernelIfEEfS3_EELi8ELb0ELi0EEEvPT0_PS2_if
                                        ; -- End function
	.section	.AMDGPU.csdata,"",@progbits
; Kernel info:
; codeLenInByte = 2256
; NumSgprs: 36
; NumVgprs: 27
; NumAgprs: 0
; TotalNumVgprs: 27
; ScratchSize: 0
; MemoryBound: 0
; FloatMode: 240
; IeeeMode: 1
; LDSByteSize: 0 bytes/workgroup (compile time only)
; SGPRBlocks: 4
; VGPRBlocks: 3
; NumSGPRsForWavesPerEU: 36
; NumVGPRsForWavesPerEU: 27
; AccumOffset: 28
; Occupancy: 8
; WaveLimiterHint : 0
; COMPUTE_PGM_RSRC2:SCRATCH_EN: 0
; COMPUTE_PGM_RSRC2:USER_SGPR: 2
; COMPUTE_PGM_RSRC2:TRAP_HANDLER: 0
; COMPUTE_PGM_RSRC2:TGID_X_EN: 1
; COMPUTE_PGM_RSRC2:TGID_Y_EN: 0
; COMPUTE_PGM_RSRC2:TGID_Z_EN: 0
; COMPUTE_PGM_RSRC2:TIDIG_COMP_CNT: 0
; COMPUTE_PGM_RSRC3_GFX90A:ACCUM_OFFSET: 6
; COMPUTE_PGM_RSRC3_GFX90A:TG_SPLIT: 0
	.section	.text._ZN5aiter18act_and_mul_kernelIftTnPFfRKT_EXadL_ZNS_16gelu_tanh_kernelIfEEfS3_EELi4ELb0ELi0EEEvPT0_PS2_if,"axG",@progbits,_ZN5aiter18act_and_mul_kernelIftTnPFfRKT_EXadL_ZNS_16gelu_tanh_kernelIfEEfS3_EELi4ELb0ELi0EEEvPT0_PS2_if,comdat
	.protected	_ZN5aiter18act_and_mul_kernelIftTnPFfRKT_EXadL_ZNS_16gelu_tanh_kernelIfEEfS3_EELi4ELb0ELi0EEEvPT0_PS2_if ; -- Begin function _ZN5aiter18act_and_mul_kernelIftTnPFfRKT_EXadL_ZNS_16gelu_tanh_kernelIfEEfS3_EELi4ELb0ELi0EEEvPT0_PS2_if
	.globl	_ZN5aiter18act_and_mul_kernelIftTnPFfRKT_EXadL_ZNS_16gelu_tanh_kernelIfEEfS3_EELi4ELb0ELi0EEEvPT0_PS2_if
	.p2align	8
	.type	_ZN5aiter18act_and_mul_kernelIftTnPFfRKT_EXadL_ZNS_16gelu_tanh_kernelIfEEfS3_EELi4ELb0ELi0EEEvPT0_PS2_if,@function
_ZN5aiter18act_and_mul_kernelIftTnPFfRKT_EXadL_ZNS_16gelu_tanh_kernelIfEEfS3_EELi4ELb0ELi0EEEvPT0_PS2_if: ; @_ZN5aiter18act_and_mul_kernelIftTnPFfRKT_EXadL_ZNS_16gelu_tanh_kernelIfEEfS3_EELi4ELb0ELi0EEEvPT0_PS2_if
; %bb.0:
	s_load_dword s16, s[0:1], 0x10
	v_lshlrev_b32_e32 v8, 2, v0
	s_waitcnt lgkmcnt(0)
	v_cmp_gt_i32_e32 vcc, s16, v8
	s_and_saveexec_b64 s[4:5], vcc
	s_cbranch_execz .LBB570_19
; %bb.1:
	s_load_dwordx4 s[12:15], s[0:1], 0x0
	s_ashr_i32 s17, s16, 31
	s_mul_hi_u32 s3, s16, s2
	s_mul_i32 s4, s17, s2
	s_add_i32 s3, s3, s4
	s_mul_i32 s2, s16, s2
	s_lshl_b64 s[10:11], s[2:3], 1
	s_lshl_b64 s[2:3], s[2:3], 3
	s_waitcnt lgkmcnt(0)
	s_add_u32 s4, s14, s2
	s_addc_u32 s5, s15, s3
	s_lshl_b64 s[2:3], s[16:17], 2
	s_add_u32 s8, s4, s2
	s_addc_u32 s2, s5, s3
	s_lshl_b32 s6, s16, 2
	s_and_b32 s5, s5, 0xffff
	s_and_b32 s9, s2, 0xffff
	s_add_u32 s12, s12, s10
	s_addc_u32 s2, s13, s11
	s_add_i32 s3, s16, 1
	s_lshr_b32 s10, s3, 31
	s_add_i32 s3, s3, s10
	s_lshl_b32 s3, s3, 1
	s_and_b32 s14, s3, -4
	s_and_b32 s13, s2, 0xffff
	s_mov_b32 s7, 0x20000
	s_add_u32 s0, s0, 24
	s_mov_b32 s15, s7
	v_mov_b32_e32 v9, 0
	s_addc_u32 s1, s1, 0
	s_mov_b64 s[2:3], 0
	s_mov_b32 s19, 0
	s_mov_b32 s10, s6
	;; [unrolled: 1-line block ×7, first 2 shown]
	v_mov_b32_e32 v10, 0x3ca908c9
	s_brev_b32 s26, -2
	s_mov_b32 s27, 0x7060302
	v_mov_b32_e32 v11, 0x7f800000
                                        ; implicit-def: $vgpr0
                                        ; implicit-def: $vgpr0
	;; [unrolled: 1-line block ×3, first 2 shown]
	s_branch .LBB570_3
.LBB570_2:                              ;   in Loop: Header=BB570_3 Depth=1
	s_or_b64 exec, exec, s[20:21]
	v_bfi_b32 v4, s26, v5, v4
	v_mul_f32_e32 v6, 0.5, v6
	v_add_f32_e32 v4, 1.0, v4
	v_mul_f32_e32 v4, v6, v4
	v_bfi_b32 v6, s26, v13, v12
	v_mul_f32_e32 v5, 0.5, v7
	v_add_f32_e32 v6, 1.0, v6
	v_mul_f32_e32 v5, v5, v6
	;;#ASMSTART
	v_pk_mul_f32 v[2:3], v[4:5], v[2:3]
	;;#ASMEND
	s_load_dword s18, s[0:1], 0xc
	v_perm_b32 v3, v3, v2, s27
	v_perm_b32 v2, v1, v0, s27
	v_lshlrev_b32_e32 v0, 1, v8
	buffer_store_dwordx2 v[2:3], v0, s[12:15], 0 offen
	s_waitcnt lgkmcnt(0)
	s_and_b32 s18, s18, 0xffff
	s_lshl_b32 s18, s18, 2
	v_lshl_add_u64 v[8:9], s[18:19], 0, v[8:9]
	v_cmp_le_i64_e32 vcc, s[16:17], v[8:9]
	s_or_b64 s[2:3], vcc, s[2:3]
	s_andn2_b64 exec, exec, s[2:3]
	s_cbranch_execz .LBB570_19
.LBB570_3:                              ; =>This Inner Loop Header: Depth=1
	v_lshlrev_b32_e32 v12, 2, v8
	buffer_load_dwordx4 v[4:7], v12, s[4:7], 0 offen
	buffer_load_dwordx4 v[0:3], v12, s[8:11], 0 offen
                                        ; implicit-def: $vgpr13
	s_waitcnt vmcnt(1)
	v_mul_f32_e32 v12, v4, v4
	v_mul_f32_e32 v12, v4, v12
	v_fmamk_f32 v12, v12, 0x3d372713, v4
	v_mul_f32_e32 v12, 0x3f4c422a, v12
	v_cmp_nlt_f32_e64 s[20:21], |v12|, s22
	s_and_saveexec_b64 s[28:29], s[20:21]
	s_xor_b64 s[20:21], exec, s[28:29]
	s_cbranch_execz .LBB570_5
; %bb.4:                                ;   in Loop: Header=BB570_3 Depth=1
	v_add_f32_e64 v13, |v12|, |v12|
	v_mul_f32_e32 v14, 0x3fb8aa3b, v13
	v_rndne_f32_e32 v15, v14
	v_sub_f32_e32 v16, v14, v15
	v_fma_f32 v14, v13, s23, -v14
	v_fmac_f32_e32 v14, 0x32a5705f, v13
	v_add_f32_e32 v14, v16, v14
	v_cvt_i32_f32_e32 v15, v15
	v_exp_f32_e32 v14, v14
	v_cmp_ngt_f32_e32 vcc, s24, v13
	v_ldexp_f32 v14, v14, v15
	s_nop 0
	v_cndmask_b32_e32 v14, 0, v14, vcc
	v_cmp_nlt_f32_e32 vcc, s25, v13
	s_nop 1
	v_cndmask_b32_e32 v13, v11, v14, vcc
	v_add_f32_e32 v13, 1.0, v13
	v_rcp_f32_e32 v13, v13
	s_nop 0
	v_fma_f32 v13, v13, -2.0, 1.0
.LBB570_5:                              ;   in Loop: Header=BB570_3 Depth=1
	s_andn2_saveexec_b64 s[20:21], s[20:21]
; %bb.6:                                ;   in Loop: Header=BB570_3 Depth=1
	v_mul_f32_e32 v13, v12, v12
	v_fmamk_f32 v14, v13, 0xbbbac73d, v10
	v_fmaak_f32 v14, v13, v14, 0xbd5c1c4e
	v_fmaak_f32 v14, v13, v14, 0x3e088382
	;; [unrolled: 1-line block ×3, first 2 shown]
	v_mul_f32_e64 v14, |v12|, v14
	v_fma_f32 v13, v13, v14, |v12|
; %bb.7:                                ;   in Loop: Header=BB570_3 Depth=1
	s_or_b64 exec, exec, s[20:21]
	v_mul_f32_e32 v14, v5, v5
	v_mul_f32_e32 v14, v5, v14
	v_fmamk_f32 v14, v14, 0x3d372713, v5
	v_mul_f32_e32 v14, 0x3f4c422a, v14
	v_cmp_nlt_f32_e64 s[20:21], |v14|, s22
                                        ; implicit-def: $vgpr15
	s_and_saveexec_b64 s[28:29], s[20:21]
	s_xor_b64 s[20:21], exec, s[28:29]
	s_cbranch_execz .LBB570_9
; %bb.8:                                ;   in Loop: Header=BB570_3 Depth=1
	v_add_f32_e64 v15, |v14|, |v14|
	v_mul_f32_e32 v16, 0x3fb8aa3b, v15
	v_rndne_f32_e32 v17, v16
	v_sub_f32_e32 v18, v16, v17
	v_fma_f32 v16, v15, s23, -v16
	v_fmac_f32_e32 v16, 0x32a5705f, v15
	v_add_f32_e32 v16, v18, v16
	v_cvt_i32_f32_e32 v17, v17
	v_exp_f32_e32 v16, v16
	v_cmp_ngt_f32_e32 vcc, s24, v15
	v_ldexp_f32 v16, v16, v17
	s_nop 0
	v_cndmask_b32_e32 v16, 0, v16, vcc
	v_cmp_nlt_f32_e32 vcc, s25, v15
	s_nop 1
	v_cndmask_b32_e32 v15, v11, v16, vcc
	v_add_f32_e32 v15, 1.0, v15
	v_rcp_f32_e32 v15, v15
	s_nop 0
	v_fma_f32 v15, v15, -2.0, 1.0
.LBB570_9:                              ;   in Loop: Header=BB570_3 Depth=1
	s_andn2_saveexec_b64 s[20:21], s[20:21]
; %bb.10:                               ;   in Loop: Header=BB570_3 Depth=1
	v_mul_f32_e32 v15, v14, v14
	v_fmamk_f32 v16, v15, 0xbbbac73d, v10
	v_fmaak_f32 v16, v15, v16, 0xbd5c1c4e
	v_fmaak_f32 v16, v15, v16, 0x3e088382
	;; [unrolled: 1-line block ×3, first 2 shown]
	v_mul_f32_e64 v16, |v14|, v16
	v_fma_f32 v15, v15, v16, |v14|
; %bb.11:                               ;   in Loop: Header=BB570_3 Depth=1
	s_or_b64 exec, exec, s[20:21]
	v_bfi_b32 v12, s26, v13, v12
	v_mul_f32_e32 v4, 0.5, v4
	v_add_f32_e32 v12, 1.0, v12
	v_mul_f32_e32 v4, v4, v12
	v_bfi_b32 v12, s26, v15, v14
	v_mul_f32_e32 v5, 0.5, v5
	v_add_f32_e32 v12, 1.0, v12
	v_mul_f32_e32 v5, v5, v12
	s_waitcnt vmcnt(0)
	;;#ASMSTART
	v_pk_mul_f32 v[0:1], v[4:5], v[0:1]
	;;#ASMEND
	v_mul_f32_e32 v4, v6, v6
	v_mul_f32_e32 v4, v6, v4
	v_fmamk_f32 v4, v4, 0x3d372713, v6
	v_mul_f32_e32 v4, 0x3f4c422a, v4
	v_cmp_nlt_f32_e64 s[20:21], |v4|, s22
                                        ; implicit-def: $vgpr5
	s_and_saveexec_b64 s[28:29], s[20:21]
	s_xor_b64 s[20:21], exec, s[28:29]
	s_cbranch_execz .LBB570_13
; %bb.12:                               ;   in Loop: Header=BB570_3 Depth=1
	v_add_f32_e64 v5, |v4|, |v4|
	v_mul_f32_e32 v12, 0x3fb8aa3b, v5
	v_rndne_f32_e32 v13, v12
	v_sub_f32_e32 v14, v12, v13
	v_fma_f32 v12, v5, s23, -v12
	v_fmac_f32_e32 v12, 0x32a5705f, v5
	v_add_f32_e32 v12, v14, v12
	v_cvt_i32_f32_e32 v13, v13
	v_exp_f32_e32 v12, v12
	v_cmp_ngt_f32_e32 vcc, s24, v5
	v_ldexp_f32 v12, v12, v13
	s_nop 0
	v_cndmask_b32_e32 v12, 0, v12, vcc
	v_cmp_nlt_f32_e32 vcc, s25, v5
	s_nop 1
	v_cndmask_b32_e32 v5, v11, v12, vcc
	v_add_f32_e32 v5, 1.0, v5
	v_rcp_f32_e32 v5, v5
	s_nop 0
	v_fma_f32 v5, v5, -2.0, 1.0
.LBB570_13:                             ;   in Loop: Header=BB570_3 Depth=1
	s_andn2_saveexec_b64 s[20:21], s[20:21]
; %bb.14:                               ;   in Loop: Header=BB570_3 Depth=1
	v_mul_f32_e32 v5, v4, v4
	v_fmamk_f32 v12, v5, 0xbbbac73d, v10
	v_fmaak_f32 v12, v5, v12, 0xbd5c1c4e
	v_fmaak_f32 v12, v5, v12, 0x3e088382
	;; [unrolled: 1-line block ×3, first 2 shown]
	v_mul_f32_e64 v12, |v4|, v12
	v_fma_f32 v5, v5, v12, |v4|
; %bb.15:                               ;   in Loop: Header=BB570_3 Depth=1
	s_or_b64 exec, exec, s[20:21]
	v_mul_f32_e32 v12, v7, v7
	v_mul_f32_e32 v12, v7, v12
	v_fmamk_f32 v12, v12, 0x3d372713, v7
	v_mul_f32_e32 v12, 0x3f4c422a, v12
	v_cmp_nlt_f32_e64 s[20:21], |v12|, s22
                                        ; implicit-def: $vgpr13
	s_and_saveexec_b64 s[28:29], s[20:21]
	s_xor_b64 s[20:21], exec, s[28:29]
	s_cbranch_execz .LBB570_17
; %bb.16:                               ;   in Loop: Header=BB570_3 Depth=1
	v_add_f32_e64 v13, |v12|, |v12|
	v_mul_f32_e32 v14, 0x3fb8aa3b, v13
	v_rndne_f32_e32 v15, v14
	v_sub_f32_e32 v16, v14, v15
	v_fma_f32 v14, v13, s23, -v14
	v_fmac_f32_e32 v14, 0x32a5705f, v13
	v_add_f32_e32 v14, v16, v14
	v_cvt_i32_f32_e32 v15, v15
	v_exp_f32_e32 v14, v14
	v_cmp_ngt_f32_e32 vcc, s24, v13
	v_ldexp_f32 v14, v14, v15
	s_nop 0
	v_cndmask_b32_e32 v14, 0, v14, vcc
	v_cmp_nlt_f32_e32 vcc, s25, v13
	s_nop 1
	v_cndmask_b32_e32 v13, v11, v14, vcc
	v_add_f32_e32 v13, 1.0, v13
	v_rcp_f32_e32 v13, v13
	s_nop 0
	v_fma_f32 v13, v13, -2.0, 1.0
.LBB570_17:                             ;   in Loop: Header=BB570_3 Depth=1
	s_andn2_saveexec_b64 s[20:21], s[20:21]
	s_cbranch_execz .LBB570_2
; %bb.18:                               ;   in Loop: Header=BB570_3 Depth=1
	v_mul_f32_e32 v13, v12, v12
	v_fmamk_f32 v14, v13, 0xbbbac73d, v10
	v_fmaak_f32 v14, v13, v14, 0xbd5c1c4e
	v_fmaak_f32 v14, v13, v14, 0x3e088382
	;; [unrolled: 1-line block ×3, first 2 shown]
	v_mul_f32_e64 v14, |v12|, v14
	v_fma_f32 v13, v13, v14, |v12|
	s_branch .LBB570_2
.LBB570_19:
	s_endpgm
	.section	.rodata,"a",@progbits
	.p2align	6, 0x0
	.amdhsa_kernel _ZN5aiter18act_and_mul_kernelIftTnPFfRKT_EXadL_ZNS_16gelu_tanh_kernelIfEEfS3_EELi4ELb0ELi0EEEvPT0_PS2_if
		.amdhsa_group_segment_fixed_size 0
		.amdhsa_private_segment_fixed_size 0
		.amdhsa_kernarg_size 280
		.amdhsa_user_sgpr_count 2
		.amdhsa_user_sgpr_dispatch_ptr 0
		.amdhsa_user_sgpr_queue_ptr 0
		.amdhsa_user_sgpr_kernarg_segment_ptr 1
		.amdhsa_user_sgpr_dispatch_id 0
		.amdhsa_user_sgpr_kernarg_preload_length 0
		.amdhsa_user_sgpr_kernarg_preload_offset 0
		.amdhsa_user_sgpr_private_segment_size 0
		.amdhsa_uses_dynamic_stack 0
		.amdhsa_enable_private_segment 0
		.amdhsa_system_sgpr_workgroup_id_x 1
		.amdhsa_system_sgpr_workgroup_id_y 0
		.amdhsa_system_sgpr_workgroup_id_z 0
		.amdhsa_system_sgpr_workgroup_info 0
		.amdhsa_system_vgpr_workitem_id 0
		.amdhsa_next_free_vgpr 19
		.amdhsa_next_free_sgpr 30
		.amdhsa_accum_offset 20
		.amdhsa_reserve_vcc 1
		.amdhsa_float_round_mode_32 0
		.amdhsa_float_round_mode_16_64 0
		.amdhsa_float_denorm_mode_32 3
		.amdhsa_float_denorm_mode_16_64 3
		.amdhsa_dx10_clamp 1
		.amdhsa_ieee_mode 1
		.amdhsa_fp16_overflow 0
		.amdhsa_tg_split 0
		.amdhsa_exception_fp_ieee_invalid_op 0
		.amdhsa_exception_fp_denorm_src 0
		.amdhsa_exception_fp_ieee_div_zero 0
		.amdhsa_exception_fp_ieee_overflow 0
		.amdhsa_exception_fp_ieee_underflow 0
		.amdhsa_exception_fp_ieee_inexact 0
		.amdhsa_exception_int_div_zero 0
	.end_amdhsa_kernel
	.section	.text._ZN5aiter18act_and_mul_kernelIftTnPFfRKT_EXadL_ZNS_16gelu_tanh_kernelIfEEfS3_EELi4ELb0ELi0EEEvPT0_PS2_if,"axG",@progbits,_ZN5aiter18act_and_mul_kernelIftTnPFfRKT_EXadL_ZNS_16gelu_tanh_kernelIfEEfS3_EELi4ELb0ELi0EEEvPT0_PS2_if,comdat
.Lfunc_end570:
	.size	_ZN5aiter18act_and_mul_kernelIftTnPFfRKT_EXadL_ZNS_16gelu_tanh_kernelIfEEfS3_EELi4ELb0ELi0EEEvPT0_PS2_if, .Lfunc_end570-_ZN5aiter18act_and_mul_kernelIftTnPFfRKT_EXadL_ZNS_16gelu_tanh_kernelIfEEfS3_EELi4ELb0ELi0EEEvPT0_PS2_if
                                        ; -- End function
	.section	.AMDGPU.csdata,"",@progbits
; Kernel info:
; codeLenInByte = 1292
; NumSgprs: 36
; NumVgprs: 19
; NumAgprs: 0
; TotalNumVgprs: 19
; ScratchSize: 0
; MemoryBound: 0
; FloatMode: 240
; IeeeMode: 1
; LDSByteSize: 0 bytes/workgroup (compile time only)
; SGPRBlocks: 4
; VGPRBlocks: 2
; NumSGPRsForWavesPerEU: 36
; NumVGPRsForWavesPerEU: 19
; AccumOffset: 20
; Occupancy: 8
; WaveLimiterHint : 0
; COMPUTE_PGM_RSRC2:SCRATCH_EN: 0
; COMPUTE_PGM_RSRC2:USER_SGPR: 2
; COMPUTE_PGM_RSRC2:TRAP_HANDLER: 0
; COMPUTE_PGM_RSRC2:TGID_X_EN: 1
; COMPUTE_PGM_RSRC2:TGID_Y_EN: 0
; COMPUTE_PGM_RSRC2:TGID_Z_EN: 0
; COMPUTE_PGM_RSRC2:TIDIG_COMP_CNT: 0
; COMPUTE_PGM_RSRC3_GFX90A:ACCUM_OFFSET: 4
; COMPUTE_PGM_RSRC3_GFX90A:TG_SPLIT: 0
	.section	.text._ZN5aiter18act_and_mul_kernelIftTnPFfRKT_EXadL_ZNS_16gelu_tanh_kernelIfEEfS3_EELi2ELb0ELi0EEEvPT0_PS2_if,"axG",@progbits,_ZN5aiter18act_and_mul_kernelIftTnPFfRKT_EXadL_ZNS_16gelu_tanh_kernelIfEEfS3_EELi2ELb0ELi0EEEvPT0_PS2_if,comdat
	.protected	_ZN5aiter18act_and_mul_kernelIftTnPFfRKT_EXadL_ZNS_16gelu_tanh_kernelIfEEfS3_EELi2ELb0ELi0EEEvPT0_PS2_if ; -- Begin function _ZN5aiter18act_and_mul_kernelIftTnPFfRKT_EXadL_ZNS_16gelu_tanh_kernelIfEEfS3_EELi2ELb0ELi0EEEvPT0_PS2_if
	.globl	_ZN5aiter18act_and_mul_kernelIftTnPFfRKT_EXadL_ZNS_16gelu_tanh_kernelIfEEfS3_EELi2ELb0ELi0EEEvPT0_PS2_if
	.p2align	8
	.type	_ZN5aiter18act_and_mul_kernelIftTnPFfRKT_EXadL_ZNS_16gelu_tanh_kernelIfEEfS3_EELi2ELb0ELi0EEEvPT0_PS2_if,@function
_ZN5aiter18act_and_mul_kernelIftTnPFfRKT_EXadL_ZNS_16gelu_tanh_kernelIfEEfS3_EELi2ELb0ELi0EEEvPT0_PS2_if: ; @_ZN5aiter18act_and_mul_kernelIftTnPFfRKT_EXadL_ZNS_16gelu_tanh_kernelIfEEfS3_EELi2ELb0ELi0EEEvPT0_PS2_if
; %bb.0:
	s_load_dword s16, s[0:1], 0x10
	v_lshlrev_b32_e32 v0, 1, v0
	s_waitcnt lgkmcnt(0)
	v_cmp_gt_i32_e32 vcc, s16, v0
	s_and_saveexec_b64 s[4:5], vcc
	s_cbranch_execz .LBB571_7
; %bb.1:
	s_load_dwordx4 s[12:15], s[0:1], 0x0
	s_ashr_i32 s17, s16, 31
	s_mul_hi_u32 s3, s16, s2
	s_mul_i32 s4, s17, s2
	s_add_i32 s3, s3, s4
	s_mul_i32 s2, s16, s2
	s_lshl_b64 s[10:11], s[2:3], 1
	s_lshl_b64 s[2:3], s[2:3], 3
	s_waitcnt lgkmcnt(0)
	s_add_u32 s4, s14, s2
	s_addc_u32 s5, s15, s3
	s_lshl_b64 s[2:3], s[16:17], 2
	s_add_u32 s8, s4, s2
	s_addc_u32 s2, s5, s3
	s_lshl_b32 s6, s16, 2
	s_and_b32 s5, s5, 0xffff
	s_and_b32 s9, s2, 0xffff
	s_add_u32 s12, s12, s10
	s_addc_u32 s2, s13, s11
	s_add_i32 s3, s16, 1
	s_lshr_b32 s10, s3, 31
	s_add_i32 s3, s3, s10
	s_lshl_b32 s3, s3, 1
	s_and_b32 s14, s3, -4
	s_and_b32 s13, s2, 0xffff
	s_mov_b32 s7, 0x20000
	s_add_u32 s0, s0, 24
	s_mov_b32 s15, s7
	v_mov_b32_e32 v1, 0
	s_addc_u32 s1, s1, 0
	s_mov_b64 s[2:3], 0
	s_mov_b32 s19, 0
	s_mov_b32 s10, s6
	;; [unrolled: 1-line block ×9, first 2 shown]
	v_mov_b32_e32 v10, 0x3ca908c9
	v_mov_b32_e32 v11, 0x7f800000
	s_brev_b32 s28, -2
	s_mov_b32 s29, 0x7060302
                                        ; implicit-def: $vgpr2
                                        ; implicit-def: $vgpr2
                                        ; implicit-def: $vgpr2
	s_branch .LBB571_3
.LBB571_2:                              ;   in Loop: Header=BB571_3 Depth=1
	s_or_b64 exec, exec, s[24:25]
	v_add_f32_e64 v8, |v7|, |v7|
	v_mul_f32_e32 v13, 0x3fb8aa3b, v8
	v_rndne_f32_e32 v14, v13
	v_sub_f32_e32 v15, v13, v14
	v_fma_f32 v13, v8, s23, -v13
	v_fmac_f32_e32 v13, 0x32a5705f, v8
	v_add_f32_e32 v13, v15, v13
	v_cvt_i32_f32_e32 v14, v14
	v_exp_f32_e32 v13, v13
	v_cmp_ngt_f32_e32 vcc, s26, v8
	v_bfi_b32 v6, s28, v12, v6
	v_mul_f32_e32 v5, 0.5, v5
	v_ldexp_f32 v13, v13, v14
	v_cndmask_b32_e32 v13, 0, v13, vcc
	v_cmp_nlt_f32_e32 vcc, s27, v8
	v_mul_f32_e32 v4, 0.5, v4
	s_nop 0
	v_cndmask_b32_e32 v8, v11, v13, vcc
	v_add_f32_e32 v8, 1.0, v8
	v_fmamk_f32 v13, v9, 0xbbbac73d, v10
	v_rcp_f32_e32 v8, v8
	v_fmaak_f32 v13, v9, v13, 0xbd5c1c4e
	v_fmaak_f32 v13, v9, v13, 0x3e088382
	v_fmaak_f32 v13, v9, v13, 0xbeaaaa99
	v_mul_f32_e64 v13, |v7|, v13
	v_fma_f32 v8, v8, -2.0, 1.0
	v_fma_f32 v9, v9, v13, |v7|
	v_cmp_lt_f32_e64 vcc, |v7|, s21
	s_nop 1
	v_cndmask_b32_e32 v8, v8, v9, vcc
	v_bfi_b32 v7, s28, v8, v7
	v_pk_add_f32 v[6:7], v[6:7], 1.0 op_sel_hi:[1,0]
	s_nop 0
	v_pk_mul_f32 v[4:5], v[4:5], v[6:7]
	s_waitcnt vmcnt(0)
	;;#ASMSTART
	v_pk_mul_f32 v[2:3], v[4:5], v[2:3]
	;;#ASMEND
	s_load_dword s18, s[0:1], 0xc
	v_perm_b32 v2, v3, v2, s29
	v_lshlrev_b32_e32 v3, 1, v0
	buffer_store_dword v2, v3, s[12:15], 0 offen
	s_waitcnt lgkmcnt(0)
	s_and_b32 s18, s18, 0xffff
	s_lshl_b32 s18, s18, 1
	v_lshl_add_u64 v[0:1], s[18:19], 0, v[0:1]
	v_cmp_le_i64_e32 vcc, s[16:17], v[0:1]
	s_or_b64 s[2:3], vcc, s[2:3]
	s_andn2_b64 exec, exec, s[2:3]
	s_cbranch_execz .LBB571_7
.LBB571_3:                              ; =>This Inner Loop Header: Depth=1
	v_lshlrev_b32_e32 v6, 2, v0
	buffer_load_dwordx2 v[4:5], v6, s[4:7], 0 offen
	buffer_load_dwordx2 v[2:3], v6, s[8:11], 0 offen
                                        ; implicit-def: $vgpr12
	s_waitcnt vmcnt(1)
	v_pk_mul_f32 v[6:7], v[4:5], v[4:5]
	s_nop 0
	v_pk_mul_f32 v[6:7], v[6:7], v[4:5]
	s_nop 0
	v_pk_fma_f32 v[6:7], v[6:7], s[20:21], v[4:5] op_sel_hi:[1,0,1]
	s_nop 0
	v_pk_mul_f32 v[6:7], v[6:7], s[22:23] op_sel_hi:[1,0]
	s_nop 0
	v_cmp_nlt_f32_e64 s[24:25], |v6|, s21
	s_and_saveexec_b64 s[30:31], s[24:25]
	s_xor_b64 s[24:25], exec, s[30:31]
	s_cbranch_execz .LBB571_5
; %bb.4:                                ;   in Loop: Header=BB571_3 Depth=1
	v_add_f32_e64 v8, |v6|, |v6|
	v_mul_f32_e32 v9, 0x3fb8aa3b, v8
	v_rndne_f32_e32 v12, v9
	v_sub_f32_e32 v13, v9, v12
	v_fma_f32 v9, v8, s23, -v9
	v_fmac_f32_e32 v9, 0x32a5705f, v8
	v_add_f32_e32 v9, v13, v9
	v_cvt_i32_f32_e32 v12, v12
	v_exp_f32_e32 v9, v9
	v_cmp_ngt_f32_e32 vcc, s26, v8
	v_ldexp_f32 v9, v9, v12
	s_nop 0
	v_cndmask_b32_e32 v9, 0, v9, vcc
	v_cmp_nlt_f32_e32 vcc, s27, v8
	s_nop 1
	v_cndmask_b32_e32 v8, v11, v9, vcc
	v_add_f32_e32 v8, 1.0, v8
	v_rcp_f32_e32 v8, v8
	s_nop 0
	v_fma_f32 v12, v8, -2.0, 1.0
.LBB571_5:                              ;   in Loop: Header=BB571_3 Depth=1
	s_or_saveexec_b64 s[24:25], s[24:25]
	v_pk_mul_f32 v[8:9], v[6:7], v[6:7]
	s_xor_b64 exec, exec, s[24:25]
	s_cbranch_execz .LBB571_2
; %bb.6:                                ;   in Loop: Header=BB571_3 Depth=1
	v_fmamk_f32 v12, v8, 0xbbbac73d, v10
	v_fmaak_f32 v12, v8, v12, 0xbd5c1c4e
	v_fmaak_f32 v12, v8, v12, 0x3e088382
	v_fmaak_f32 v12, v8, v12, 0xbeaaaa99
	v_mul_f32_e64 v12, |v6|, v12
	v_fma_f32 v12, v8, v12, |v6|
	s_branch .LBB571_2
.LBB571_7:
	s_endpgm
	.section	.rodata,"a",@progbits
	.p2align	6, 0x0
	.amdhsa_kernel _ZN5aiter18act_and_mul_kernelIftTnPFfRKT_EXadL_ZNS_16gelu_tanh_kernelIfEEfS3_EELi2ELb0ELi0EEEvPT0_PS2_if
		.amdhsa_group_segment_fixed_size 0
		.amdhsa_private_segment_fixed_size 0
		.amdhsa_kernarg_size 280
		.amdhsa_user_sgpr_count 2
		.amdhsa_user_sgpr_dispatch_ptr 0
		.amdhsa_user_sgpr_queue_ptr 0
		.amdhsa_user_sgpr_kernarg_segment_ptr 1
		.amdhsa_user_sgpr_dispatch_id 0
		.amdhsa_user_sgpr_kernarg_preload_length 0
		.amdhsa_user_sgpr_kernarg_preload_offset 0
		.amdhsa_user_sgpr_private_segment_size 0
		.amdhsa_uses_dynamic_stack 0
		.amdhsa_enable_private_segment 0
		.amdhsa_system_sgpr_workgroup_id_x 1
		.amdhsa_system_sgpr_workgroup_id_y 0
		.amdhsa_system_sgpr_workgroup_id_z 0
		.amdhsa_system_sgpr_workgroup_info 0
		.amdhsa_system_vgpr_workitem_id 0
		.amdhsa_next_free_vgpr 16
		.amdhsa_next_free_sgpr 32
		.amdhsa_accum_offset 16
		.amdhsa_reserve_vcc 1
		.amdhsa_float_round_mode_32 0
		.amdhsa_float_round_mode_16_64 0
		.amdhsa_float_denorm_mode_32 3
		.amdhsa_float_denorm_mode_16_64 3
		.amdhsa_dx10_clamp 1
		.amdhsa_ieee_mode 1
		.amdhsa_fp16_overflow 0
		.amdhsa_tg_split 0
		.amdhsa_exception_fp_ieee_invalid_op 0
		.amdhsa_exception_fp_denorm_src 0
		.amdhsa_exception_fp_ieee_div_zero 0
		.amdhsa_exception_fp_ieee_overflow 0
		.amdhsa_exception_fp_ieee_underflow 0
		.amdhsa_exception_fp_ieee_inexact 0
		.amdhsa_exception_int_div_zero 0
	.end_amdhsa_kernel
	.section	.text._ZN5aiter18act_and_mul_kernelIftTnPFfRKT_EXadL_ZNS_16gelu_tanh_kernelIfEEfS3_EELi2ELb0ELi0EEEvPT0_PS2_if,"axG",@progbits,_ZN5aiter18act_and_mul_kernelIftTnPFfRKT_EXadL_ZNS_16gelu_tanh_kernelIfEEfS3_EELi2ELb0ELi0EEEvPT0_PS2_if,comdat
.Lfunc_end571:
	.size	_ZN5aiter18act_and_mul_kernelIftTnPFfRKT_EXadL_ZNS_16gelu_tanh_kernelIfEEfS3_EELi2ELb0ELi0EEEvPT0_PS2_if, .Lfunc_end571-_ZN5aiter18act_and_mul_kernelIftTnPFfRKT_EXadL_ZNS_16gelu_tanh_kernelIfEEfS3_EELi2ELb0ELi0EEEvPT0_PS2_if
                                        ; -- End function
	.section	.AMDGPU.csdata,"",@progbits
; Kernel info:
; codeLenInByte = 824
; NumSgprs: 38
; NumVgprs: 16
; NumAgprs: 0
; TotalNumVgprs: 16
; ScratchSize: 0
; MemoryBound: 0
; FloatMode: 240
; IeeeMode: 1
; LDSByteSize: 0 bytes/workgroup (compile time only)
; SGPRBlocks: 4
; VGPRBlocks: 1
; NumSGPRsForWavesPerEU: 38
; NumVGPRsForWavesPerEU: 16
; AccumOffset: 16
; Occupancy: 8
; WaveLimiterHint : 0
; COMPUTE_PGM_RSRC2:SCRATCH_EN: 0
; COMPUTE_PGM_RSRC2:USER_SGPR: 2
; COMPUTE_PGM_RSRC2:TRAP_HANDLER: 0
; COMPUTE_PGM_RSRC2:TGID_X_EN: 1
; COMPUTE_PGM_RSRC2:TGID_Y_EN: 0
; COMPUTE_PGM_RSRC2:TGID_Z_EN: 0
; COMPUTE_PGM_RSRC2:TIDIG_COMP_CNT: 0
; COMPUTE_PGM_RSRC3_GFX90A:ACCUM_OFFSET: 3
; COMPUTE_PGM_RSRC3_GFX90A:TG_SPLIT: 0
	.section	.text._ZN5aiter18act_and_mul_kernelIftTnPFfRKT_EXadL_ZNS_16gelu_tanh_kernelIfEEfS3_EELi1ELb0ELi0EEEvPT0_PS2_if,"axG",@progbits,_ZN5aiter18act_and_mul_kernelIftTnPFfRKT_EXadL_ZNS_16gelu_tanh_kernelIfEEfS3_EELi1ELb0ELi0EEEvPT0_PS2_if,comdat
	.protected	_ZN5aiter18act_and_mul_kernelIftTnPFfRKT_EXadL_ZNS_16gelu_tanh_kernelIfEEfS3_EELi1ELb0ELi0EEEvPT0_PS2_if ; -- Begin function _ZN5aiter18act_and_mul_kernelIftTnPFfRKT_EXadL_ZNS_16gelu_tanh_kernelIfEEfS3_EELi1ELb0ELi0EEEvPT0_PS2_if
	.globl	_ZN5aiter18act_and_mul_kernelIftTnPFfRKT_EXadL_ZNS_16gelu_tanh_kernelIfEEfS3_EELi1ELb0ELi0EEEvPT0_PS2_if
	.p2align	8
	.type	_ZN5aiter18act_and_mul_kernelIftTnPFfRKT_EXadL_ZNS_16gelu_tanh_kernelIfEEfS3_EELi1ELb0ELi0EEEvPT0_PS2_if,@function
_ZN5aiter18act_and_mul_kernelIftTnPFfRKT_EXadL_ZNS_16gelu_tanh_kernelIfEEfS3_EELi1ELb0ELi0EEEvPT0_PS2_if: ; @_ZN5aiter18act_and_mul_kernelIftTnPFfRKT_EXadL_ZNS_16gelu_tanh_kernelIfEEfS3_EELi1ELb0ELi0EEEvPT0_PS2_if
; %bb.0:
	s_load_dword s12, s[0:1], 0x10
	s_waitcnt lgkmcnt(0)
	v_cmp_gt_i32_e32 vcc, s12, v0
	s_and_saveexec_b64 s[4:5], vcc
	s_cbranch_execz .LBB572_7
; %bb.1:
	s_load_dwordx4 s[8:11], s[0:1], 0x0
	s_load_dword s14, s[0:1], 0x24
	s_ashr_i32 s13, s12, 31
	s_mul_hi_u32 s3, s12, s2
	s_mul_i32 s4, s13, s2
	s_add_i32 s3, s3, s4
	s_mul_i32 s2, s12, s2
	s_lshl_b64 s[6:7], s[2:3], 1
	s_lshl_b64 s[2:3], s[2:3], 3
	s_waitcnt lgkmcnt(0)
	s_add_u32 s0, s10, s2
	s_addc_u32 s1, s11, s3
	s_lshl_b64 s[2:3], s[12:13], 2
	s_add_u32 s4, s0, s2
	s_addc_u32 s5, s1, s3
	s_lshl_b32 s2, s12, 2
	s_and_b32 s1, s1, 0xffff
	s_and_b32 s5, s5, 0xffff
	s_add_u32 s8, s8, s6
	s_addc_u32 s6, s9, s7
	s_add_i32 s7, s12, 1
	s_lshr_b32 s9, s7, 31
	s_add_i32 s7, s7, s9
	s_mov_b32 s3, 0x20000
	s_lshl_b32 s7, s7, 1
	s_and_b32 s14, s14, 0xffff
                                        ; implicit-def: $vgpr5
                                        ; implicit-def: $vgpr5
	;; [unrolled: 1-line block ×3, first 2 shown]
	s_and_b32 s10, s7, -4
	s_and_b32 s9, s6, 0xffff
	s_mov_b32 s11, s3
	s_mov_b32 s15, 0
	v_mov_b32_e32 v1, 0
	v_lshlrev_b32_e32 v2, 1, v0
	s_lshl_b32 s20, s14, 1
	v_lshlrev_b32_e32 v3, 2, v0
	s_lshl_b32 s21, s14, 2
	s_mov_b64 s[16:17], 0
	s_mov_b32 s6, s2
	s_mov_b32 s7, s3
	;; [unrolled: 1-line block ×6, first 2 shown]
	v_mov_b32_e32 v4, 0x3ca908c9
	s_brev_b32 s26, -2
	v_mov_b32_e32 v5, 0x7f800000
	s_branch .LBB572_3
.LBB572_2:                              ;   in Loop: Header=BB572_3 Depth=1
	s_or_b64 exec, exec, s[18:19]
	v_bfi_b32 v8, s26, v9, v8
	v_mul_f32_e32 v7, 0.5, v7
	v_add_f32_e32 v8, 1.0, v8
	v_mul_f32_e32 v7, v7, v8
	s_waitcnt vmcnt(0)
	v_mul_f32_e32 v6, v7, v6
	v_lshl_add_u64 v[0:1], v[0:1], 0, s[14:15]
	v_lshrrev_b32_e32 v6, 16, v6
	v_cmp_le_i64_e32 vcc, s[12:13], v[0:1]
	buffer_store_short v6, v2, s[8:11], 0 offen
	v_add_u32_e32 v2, s20, v2
	s_or_b64 s[16:17], vcc, s[16:17]
	v_add_u32_e32 v3, s21, v3
	s_andn2_b64 exec, exec, s[16:17]
	s_cbranch_execz .LBB572_7
.LBB572_3:                              ; =>This Inner Loop Header: Depth=1
	buffer_load_dword v7, v3, s[0:3], 0 offen
	buffer_load_dword v6, v3, s[4:7], 0 offen
                                        ; implicit-def: $vgpr9
	s_waitcnt vmcnt(1)
	v_mul_f32_e32 v8, v7, v7
	v_mul_f32_e32 v8, v8, v7
	v_fmamk_f32 v8, v8, 0x3d372713, v7
	v_mul_f32_e32 v8, 0x3f4c422a, v8
	v_cmp_nlt_f32_e64 s[18:19], |v8|, s22
	s_and_saveexec_b64 s[28:29], s[18:19]
	s_xor_b64 s[18:19], exec, s[28:29]
	s_cbranch_execz .LBB572_5
; %bb.4:                                ;   in Loop: Header=BB572_3 Depth=1
	v_add_f32_e64 v9, |v8|, |v8|
	v_mul_f32_e32 v10, 0x3fb8aa3b, v9
	v_rndne_f32_e32 v11, v10
	v_sub_f32_e32 v12, v10, v11
	v_fma_f32 v10, v9, s23, -v10
	v_fmac_f32_e32 v10, 0x32a5705f, v9
	v_add_f32_e32 v10, v12, v10
	v_cvt_i32_f32_e32 v11, v11
	v_exp_f32_e32 v10, v10
	v_cmp_ngt_f32_e32 vcc, s24, v9
	v_ldexp_f32 v10, v10, v11
	s_nop 0
	v_cndmask_b32_e32 v10, 0, v10, vcc
	v_cmp_nlt_f32_e32 vcc, s25, v9
	s_nop 1
	v_cndmask_b32_e32 v9, v5, v10, vcc
	v_add_f32_e32 v9, 1.0, v9
	v_rcp_f32_e32 v9, v9
	s_nop 0
	v_fma_f32 v9, v9, -2.0, 1.0
.LBB572_5:                              ;   in Loop: Header=BB572_3 Depth=1
	s_andn2_saveexec_b64 s[18:19], s[18:19]
	s_cbranch_execz .LBB572_2
; %bb.6:                                ;   in Loop: Header=BB572_3 Depth=1
	v_mul_f32_e32 v9, v8, v8
	v_fmamk_f32 v10, v9, 0xbbbac73d, v4
	v_fmaak_f32 v10, v9, v10, 0xbd5c1c4e
	v_fmaak_f32 v10, v9, v10, 0x3e088382
	;; [unrolled: 1-line block ×3, first 2 shown]
	v_mul_f32_e64 v10, |v8|, v10
	v_fma_f32 v9, v9, v10, |v8|
	s_branch .LBB572_2
.LBB572_7:
	s_endpgm
	.section	.rodata,"a",@progbits
	.p2align	6, 0x0
	.amdhsa_kernel _ZN5aiter18act_and_mul_kernelIftTnPFfRKT_EXadL_ZNS_16gelu_tanh_kernelIfEEfS3_EELi1ELb0ELi0EEEvPT0_PS2_if
		.amdhsa_group_segment_fixed_size 0
		.amdhsa_private_segment_fixed_size 0
		.amdhsa_kernarg_size 280
		.amdhsa_user_sgpr_count 2
		.amdhsa_user_sgpr_dispatch_ptr 0
		.amdhsa_user_sgpr_queue_ptr 0
		.amdhsa_user_sgpr_kernarg_segment_ptr 1
		.amdhsa_user_sgpr_dispatch_id 0
		.amdhsa_user_sgpr_kernarg_preload_length 0
		.amdhsa_user_sgpr_kernarg_preload_offset 0
		.amdhsa_user_sgpr_private_segment_size 0
		.amdhsa_uses_dynamic_stack 0
		.amdhsa_enable_private_segment 0
		.amdhsa_system_sgpr_workgroup_id_x 1
		.amdhsa_system_sgpr_workgroup_id_y 0
		.amdhsa_system_sgpr_workgroup_id_z 0
		.amdhsa_system_sgpr_workgroup_info 0
		.amdhsa_system_vgpr_workitem_id 0
		.amdhsa_next_free_vgpr 13
		.amdhsa_next_free_sgpr 30
		.amdhsa_accum_offset 16
		.amdhsa_reserve_vcc 1
		.amdhsa_float_round_mode_32 0
		.amdhsa_float_round_mode_16_64 0
		.amdhsa_float_denorm_mode_32 3
		.amdhsa_float_denorm_mode_16_64 3
		.amdhsa_dx10_clamp 1
		.amdhsa_ieee_mode 1
		.amdhsa_fp16_overflow 0
		.amdhsa_tg_split 0
		.amdhsa_exception_fp_ieee_invalid_op 0
		.amdhsa_exception_fp_denorm_src 0
		.amdhsa_exception_fp_ieee_div_zero 0
		.amdhsa_exception_fp_ieee_overflow 0
		.amdhsa_exception_fp_ieee_underflow 0
		.amdhsa_exception_fp_ieee_inexact 0
		.amdhsa_exception_int_div_zero 0
	.end_amdhsa_kernel
	.section	.text._ZN5aiter18act_and_mul_kernelIftTnPFfRKT_EXadL_ZNS_16gelu_tanh_kernelIfEEfS3_EELi1ELb0ELi0EEEvPT0_PS2_if,"axG",@progbits,_ZN5aiter18act_and_mul_kernelIftTnPFfRKT_EXadL_ZNS_16gelu_tanh_kernelIfEEfS3_EELi1ELb0ELi0EEEvPT0_PS2_if,comdat
.Lfunc_end572:
	.size	_ZN5aiter18act_and_mul_kernelIftTnPFfRKT_EXadL_ZNS_16gelu_tanh_kernelIfEEfS3_EELi1ELb0ELi0EEEvPT0_PS2_if, .Lfunc_end572-_ZN5aiter18act_and_mul_kernelIftTnPFfRKT_EXadL_ZNS_16gelu_tanh_kernelIfEEfS3_EELi1ELb0ELi0EEEvPT0_PS2_if
                                        ; -- End function
	.section	.AMDGPU.csdata,"",@progbits
; Kernel info:
; codeLenInByte = 572
; NumSgprs: 36
; NumVgprs: 13
; NumAgprs: 0
; TotalNumVgprs: 13
; ScratchSize: 0
; MemoryBound: 0
; FloatMode: 240
; IeeeMode: 1
; LDSByteSize: 0 bytes/workgroup (compile time only)
; SGPRBlocks: 4
; VGPRBlocks: 1
; NumSGPRsForWavesPerEU: 36
; NumVGPRsForWavesPerEU: 13
; AccumOffset: 16
; Occupancy: 8
; WaveLimiterHint : 0
; COMPUTE_PGM_RSRC2:SCRATCH_EN: 0
; COMPUTE_PGM_RSRC2:USER_SGPR: 2
; COMPUTE_PGM_RSRC2:TRAP_HANDLER: 0
; COMPUTE_PGM_RSRC2:TGID_X_EN: 1
; COMPUTE_PGM_RSRC2:TGID_Y_EN: 0
; COMPUTE_PGM_RSRC2:TGID_Z_EN: 0
; COMPUTE_PGM_RSRC2:TIDIG_COMP_CNT: 0
; COMPUTE_PGM_RSRC3_GFX90A:ACCUM_OFFSET: 3
; COMPUTE_PGM_RSRC3_GFX90A:TG_SPLIT: 0
	.section	.text._ZN5aiter18act_and_mul_kernelIfDF16_TnPFfRKT_EXadL_ZNS_16gelu_tanh_kernelIfEEfS3_EELi16ELb0ELi0EEEvPT0_PS2_if,"axG",@progbits,_ZN5aiter18act_and_mul_kernelIfDF16_TnPFfRKT_EXadL_ZNS_16gelu_tanh_kernelIfEEfS3_EELi16ELb0ELi0EEEvPT0_PS2_if,comdat
	.protected	_ZN5aiter18act_and_mul_kernelIfDF16_TnPFfRKT_EXadL_ZNS_16gelu_tanh_kernelIfEEfS3_EELi16ELb0ELi0EEEvPT0_PS2_if ; -- Begin function _ZN5aiter18act_and_mul_kernelIfDF16_TnPFfRKT_EXadL_ZNS_16gelu_tanh_kernelIfEEfS3_EELi16ELb0ELi0EEEvPT0_PS2_if
	.globl	_ZN5aiter18act_and_mul_kernelIfDF16_TnPFfRKT_EXadL_ZNS_16gelu_tanh_kernelIfEEfS3_EELi16ELb0ELi0EEEvPT0_PS2_if
	.p2align	8
	.type	_ZN5aiter18act_and_mul_kernelIfDF16_TnPFfRKT_EXadL_ZNS_16gelu_tanh_kernelIfEEfS3_EELi16ELb0ELi0EEEvPT0_PS2_if,@function
_ZN5aiter18act_and_mul_kernelIfDF16_TnPFfRKT_EXadL_ZNS_16gelu_tanh_kernelIfEEfS3_EELi16ELb0ELi0EEEvPT0_PS2_if: ; @_ZN5aiter18act_and_mul_kernelIfDF16_TnPFfRKT_EXadL_ZNS_16gelu_tanh_kernelIfEEfS3_EELi16ELb0ELi0EEEvPT0_PS2_if
; %bb.0:
	s_load_dword s16, s[0:1], 0x10
	v_lshlrev_b32_e32 v32, 4, v0
	s_waitcnt lgkmcnt(0)
	v_cmp_gt_i32_e32 vcc, s16, v32
	s_and_saveexec_b64 s[4:5], vcc
	s_cbranch_execz .LBB573_67
; %bb.1:
	s_load_dwordx4 s[12:15], s[0:1], 0x0
	s_ashr_i32 s17, s16, 31
	s_mul_hi_u32 s3, s16, s2
	s_mul_i32 s4, s17, s2
	s_add_i32 s3, s3, s4
	s_mul_i32 s2, s16, s2
	s_lshl_b64 s[10:11], s[2:3], 1
	s_lshl_b64 s[2:3], s[2:3], 3
	s_waitcnt lgkmcnt(0)
	s_add_u32 s4, s14, s2
	s_addc_u32 s5, s15, s3
	s_lshl_b64 s[2:3], s[16:17], 2
	s_add_u32 s8, s4, s2
	s_addc_u32 s2, s5, s3
	s_lshl_b32 s6, s16, 2
	s_and_b32 s5, s5, 0xffff
	s_and_b32 s9, s2, 0xffff
	s_add_u32 s12, s12, s10
	s_addc_u32 s2, s13, s11
	s_add_i32 s3, s16, 1
	s_lshr_b32 s10, s3, 31
	s_add_i32 s3, s3, s10
	s_lshl_b32 s3, s3, 1
	s_and_b32 s14, s3, -4
	s_and_b32 s13, s2, 0xffff
	s_mov_b32 s7, 0x20000
	s_add_u32 s0, s0, 24
	s_mov_b32 s15, s7
	v_mov_b32_e32 v33, 0
	s_addc_u32 s1, s1, 0
	s_mov_b64 s[2:3], 0
	s_mov_b32 s19, 0
	s_mov_b32 s22, 0x3f200000
	s_mov_b32 s23, 0x3fb8aa3b
	s_mov_b32 s24, 0xc2ce8ed0
	s_mov_b32 s25, 0x42b17218
	v_mov_b32_e32 v34, 0x3ca908c9
	s_brev_b32 s26, -2
	s_mov_b32 s10, s6
	s_mov_b32 s11, s7
	v_mov_b32_e32 v35, 0x7f800000
                                        ; implicit-def: $vgpr0
                                        ; implicit-def: $vgpr0
	;; [unrolled: 1-line block ×3, first 2 shown]
	s_branch .LBB573_3
.LBB573_2:                              ;   in Loop: Header=BB573_3 Depth=1
	s_or_b64 exec, exec, s[20:21]
	v_bfi_b32 v4, s26, v5, v4
	v_mul_f32_e32 v6, 0.5, v6
	v_add_f32_e32 v4, 1.0, v4
	v_cvt_f16_f32_e32 v14, v1
	v_bfi_b32 v1, s26, v13, v12
	v_mul_f32_e32 v4, v6, v4
	v_cvt_f16_f32_e32 v6, v8
	v_cvt_f16_f32_e32 v8, v9
	;; [unrolled: 1-line block ×5, first 2 shown]
	v_mul_f32_e32 v0, 0.5, v7
	v_add_f32_e32 v1, 1.0, v1
	v_mul_f32_e32 v5, v0, v1
	;;#ASMSTART
	v_pk_mul_f32 v[0:1], v[4:5], v[2:3]
	;;#ASMEND
	s_load_dword s18, s[0:1], 0xc
	v_cvt_f16_f32_e32 v15, v24
	v_cvt_f16_f32_e32 v20, v25
	;; [unrolled: 1-line block ×10, first 2 shown]
	s_waitcnt lgkmcnt(0)
	s_and_b32 s18, s18, 0xffff
	s_lshl_b32 s18, s18, 4
	v_lshlrev_b32_e32 v7, 1, v32
	v_lshl_add_u64 v[32:33], s[18:19], 0, v[32:33]
	v_pack_b32_f16 v3, v18, v19
	v_pack_b32_f16 v2, v16, v17
	;; [unrolled: 1-line block ×4, first 2 shown]
	v_cmp_le_i64_e32 vcc, s[16:17], v[32:33]
	buffer_store_dwordx4 v[0:3], v7, s[12:15], 0 offen
	s_or_b64 s[2:3], vcc, s[2:3]
	s_nop 0
	v_pack_b32_f16 v3, v4, v5
	v_pack_b32_f16 v2, v11, v14
	;; [unrolled: 1-line block ×4, first 2 shown]
	buffer_store_dwordx4 v[0:3], v7, s[12:15], 16 offen
	s_andn2_b64 exec, exec, s[2:3]
	s_cbranch_execz .LBB573_67
.LBB573_3:                              ; =>This Inner Loop Header: Depth=1
	v_lshlrev_b32_e32 v36, 2, v32
	buffer_load_dwordx4 v[28:31], v36, s[4:7], 0 offen
	buffer_load_dwordx4 v[20:23], v36, s[4:7], 16 offen
	;; [unrolled: 1-line block ×8, first 2 shown]
                                        ; implicit-def: $vgpr37
	s_waitcnt vmcnt(7)
	v_mul_f32_e32 v36, v28, v28
	v_mul_f32_e32 v36, v28, v36
	v_fmamk_f32 v36, v36, 0x3d372713, v28
	v_mul_f32_e32 v36, 0x3f4c422a, v36
	v_cmp_nlt_f32_e64 s[20:21], |v36|, s22
	s_and_saveexec_b64 s[28:29], s[20:21]
	s_xor_b64 s[20:21], exec, s[28:29]
	s_cbranch_execz .LBB573_5
; %bb.4:                                ;   in Loop: Header=BB573_3 Depth=1
	v_add_f32_e64 v37, |v36|, |v36|
	v_mul_f32_e32 v38, 0x3fb8aa3b, v37
	v_rndne_f32_e32 v39, v38
	v_sub_f32_e32 v40, v38, v39
	v_fma_f32 v38, v37, s23, -v38
	v_fmac_f32_e32 v38, 0x32a5705f, v37
	v_add_f32_e32 v38, v40, v38
	v_cvt_i32_f32_e32 v39, v39
	v_exp_f32_e32 v38, v38
	v_cmp_ngt_f32_e32 vcc, s24, v37
	v_ldexp_f32 v38, v38, v39
	s_nop 0
	v_cndmask_b32_e32 v38, 0, v38, vcc
	v_cmp_nlt_f32_e32 vcc, s25, v37
	s_nop 1
	v_cndmask_b32_e32 v37, v35, v38, vcc
	v_add_f32_e32 v37, 1.0, v37
	v_rcp_f32_e32 v37, v37
	s_nop 0
	v_fma_f32 v37, v37, -2.0, 1.0
.LBB573_5:                              ;   in Loop: Header=BB573_3 Depth=1
	s_andn2_saveexec_b64 s[20:21], s[20:21]
; %bb.6:                                ;   in Loop: Header=BB573_3 Depth=1
	v_mul_f32_e32 v37, v36, v36
	v_fmamk_f32 v38, v37, 0xbbbac73d, v34
	v_fmaak_f32 v38, v37, v38, 0xbd5c1c4e
	v_fmaak_f32 v38, v37, v38, 0x3e088382
	;; [unrolled: 1-line block ×3, first 2 shown]
	v_mul_f32_e64 v38, |v36|, v38
	v_fma_f32 v37, v37, v38, |v36|
; %bb.7:                                ;   in Loop: Header=BB573_3 Depth=1
	s_or_b64 exec, exec, s[20:21]
	v_mul_f32_e32 v38, v29, v29
	v_mul_f32_e32 v38, v29, v38
	v_fmamk_f32 v38, v38, 0x3d372713, v29
	v_mul_f32_e32 v38, 0x3f4c422a, v38
	v_cmp_nlt_f32_e64 s[20:21], |v38|, s22
                                        ; implicit-def: $vgpr39
	s_and_saveexec_b64 s[28:29], s[20:21]
	s_xor_b64 s[20:21], exec, s[28:29]
	s_cbranch_execz .LBB573_9
; %bb.8:                                ;   in Loop: Header=BB573_3 Depth=1
	v_add_f32_e64 v39, |v38|, |v38|
	v_mul_f32_e32 v40, 0x3fb8aa3b, v39
	v_rndne_f32_e32 v41, v40
	v_sub_f32_e32 v42, v40, v41
	v_fma_f32 v40, v39, s23, -v40
	v_fmac_f32_e32 v40, 0x32a5705f, v39
	v_add_f32_e32 v40, v42, v40
	v_cvt_i32_f32_e32 v41, v41
	v_exp_f32_e32 v40, v40
	v_cmp_ngt_f32_e32 vcc, s24, v39
	v_ldexp_f32 v40, v40, v41
	s_nop 0
	v_cndmask_b32_e32 v40, 0, v40, vcc
	v_cmp_nlt_f32_e32 vcc, s25, v39
	s_nop 1
	v_cndmask_b32_e32 v39, v35, v40, vcc
	v_add_f32_e32 v39, 1.0, v39
	v_rcp_f32_e32 v39, v39
	s_nop 0
	v_fma_f32 v39, v39, -2.0, 1.0
.LBB573_9:                              ;   in Loop: Header=BB573_3 Depth=1
	s_andn2_saveexec_b64 s[20:21], s[20:21]
; %bb.10:                               ;   in Loop: Header=BB573_3 Depth=1
	v_mul_f32_e32 v39, v38, v38
	v_fmamk_f32 v40, v39, 0xbbbac73d, v34
	v_fmaak_f32 v40, v39, v40, 0xbd5c1c4e
	v_fmaak_f32 v40, v39, v40, 0x3e088382
	;; [unrolled: 1-line block ×3, first 2 shown]
	v_mul_f32_e64 v40, |v38|, v40
	v_fma_f32 v39, v39, v40, |v38|
; %bb.11:                               ;   in Loop: Header=BB573_3 Depth=1
	s_or_b64 exec, exec, s[20:21]
	v_bfi_b32 v36, s26, v37, v36
	v_mul_f32_e32 v28, 0.5, v28
	v_add_f32_e32 v36, 1.0, v36
	v_mul_f32_e32 v28, v28, v36
	v_bfi_b32 v36, s26, v39, v38
	v_mul_f32_e32 v29, 0.5, v29
	v_add_f32_e32 v36, 1.0, v36
	v_mul_f32_e32 v29, v29, v36
	s_waitcnt vmcnt(3)
	;;#ASMSTART
	v_pk_mul_f32 v[24:25], v[28:29], v[24:25]
	;;#ASMEND
	v_mul_f32_e32 v28, v30, v30
	v_mul_f32_e32 v28, v30, v28
	v_fmamk_f32 v28, v28, 0x3d372713, v30
	v_mul_f32_e32 v28, 0x3f4c422a, v28
	v_cmp_nlt_f32_e64 s[20:21], |v28|, s22
                                        ; implicit-def: $vgpr29
	s_and_saveexec_b64 s[28:29], s[20:21]
	s_xor_b64 s[20:21], exec, s[28:29]
	s_cbranch_execz .LBB573_13
; %bb.12:                               ;   in Loop: Header=BB573_3 Depth=1
	v_add_f32_e64 v29, |v28|, |v28|
	v_mul_f32_e32 v36, 0x3fb8aa3b, v29
	v_rndne_f32_e32 v37, v36
	v_sub_f32_e32 v38, v36, v37
	v_fma_f32 v36, v29, s23, -v36
	v_fmac_f32_e32 v36, 0x32a5705f, v29
	v_add_f32_e32 v36, v38, v36
	v_cvt_i32_f32_e32 v37, v37
	v_exp_f32_e32 v36, v36
	v_cmp_ngt_f32_e32 vcc, s24, v29
	v_ldexp_f32 v36, v36, v37
	s_nop 0
	v_cndmask_b32_e32 v36, 0, v36, vcc
	v_cmp_nlt_f32_e32 vcc, s25, v29
	s_nop 1
	v_cndmask_b32_e32 v29, v35, v36, vcc
	v_add_f32_e32 v29, 1.0, v29
	v_rcp_f32_e32 v29, v29
	s_nop 0
	v_fma_f32 v29, v29, -2.0, 1.0
.LBB573_13:                             ;   in Loop: Header=BB573_3 Depth=1
	s_andn2_saveexec_b64 s[20:21], s[20:21]
; %bb.14:                               ;   in Loop: Header=BB573_3 Depth=1
	v_mul_f32_e32 v29, v28, v28
	v_fmamk_f32 v36, v29, 0xbbbac73d, v34
	v_fmaak_f32 v36, v29, v36, 0xbd5c1c4e
	v_fmaak_f32 v36, v29, v36, 0x3e088382
	;; [unrolled: 1-line block ×3, first 2 shown]
	v_mul_f32_e64 v36, |v28|, v36
	v_fma_f32 v29, v29, v36, |v28|
; %bb.15:                               ;   in Loop: Header=BB573_3 Depth=1
	s_or_b64 exec, exec, s[20:21]
	v_mul_f32_e32 v36, v31, v31
	v_mul_f32_e32 v36, v31, v36
	v_fmamk_f32 v36, v36, 0x3d372713, v31
	v_mul_f32_e32 v36, 0x3f4c422a, v36
	v_cmp_nlt_f32_e64 s[20:21], |v36|, s22
                                        ; implicit-def: $vgpr37
	s_and_saveexec_b64 s[28:29], s[20:21]
	s_xor_b64 s[20:21], exec, s[28:29]
	s_cbranch_execz .LBB573_17
; %bb.16:                               ;   in Loop: Header=BB573_3 Depth=1
	v_add_f32_e64 v37, |v36|, |v36|
	v_mul_f32_e32 v38, 0x3fb8aa3b, v37
	v_rndne_f32_e32 v39, v38
	v_sub_f32_e32 v40, v38, v39
	v_fma_f32 v38, v37, s23, -v38
	v_fmac_f32_e32 v38, 0x32a5705f, v37
	v_add_f32_e32 v38, v40, v38
	v_cvt_i32_f32_e32 v39, v39
	v_exp_f32_e32 v38, v38
	v_cmp_ngt_f32_e32 vcc, s24, v37
	v_ldexp_f32 v38, v38, v39
	s_nop 0
	v_cndmask_b32_e32 v38, 0, v38, vcc
	v_cmp_nlt_f32_e32 vcc, s25, v37
	s_nop 1
	v_cndmask_b32_e32 v37, v35, v38, vcc
	v_add_f32_e32 v37, 1.0, v37
	v_rcp_f32_e32 v37, v37
	s_nop 0
	v_fma_f32 v37, v37, -2.0, 1.0
.LBB573_17:                             ;   in Loop: Header=BB573_3 Depth=1
	s_andn2_saveexec_b64 s[20:21], s[20:21]
; %bb.18:                               ;   in Loop: Header=BB573_3 Depth=1
	v_mul_f32_e32 v37, v36, v36
	v_fmamk_f32 v38, v37, 0xbbbac73d, v34
	v_fmaak_f32 v38, v37, v38, 0xbd5c1c4e
	v_fmaak_f32 v38, v37, v38, 0x3e088382
	v_fmaak_f32 v38, v37, v38, 0xbeaaaa99
	v_mul_f32_e64 v38, |v36|, v38
	v_fma_f32 v37, v37, v38, |v36|
; %bb.19:                               ;   in Loop: Header=BB573_3 Depth=1
	s_or_b64 exec, exec, s[20:21]
	v_bfi_b32 v28, s26, v29, v28
	v_mul_f32_e32 v30, 0.5, v30
	v_add_f32_e32 v28, 1.0, v28
	v_mul_f32_e32 v28, v30, v28
	v_bfi_b32 v30, s26, v37, v36
	v_mul_f32_e32 v29, 0.5, v31
	v_add_f32_e32 v30, 1.0, v30
	v_mul_f32_e32 v29, v29, v30
	;;#ASMSTART
	v_pk_mul_f32 v[26:27], v[28:29], v[26:27]
	;;#ASMEND
	v_mul_f32_e32 v28, v20, v20
	v_mul_f32_e32 v28, v20, v28
	v_fmamk_f32 v28, v28, 0x3d372713, v20
	v_mul_f32_e32 v28, 0x3f4c422a, v28
	v_cmp_nlt_f32_e64 s[20:21], |v28|, s22
                                        ; implicit-def: $vgpr29
	s_and_saveexec_b64 s[28:29], s[20:21]
	s_xor_b64 s[20:21], exec, s[28:29]
	s_cbranch_execz .LBB573_21
; %bb.20:                               ;   in Loop: Header=BB573_3 Depth=1
	v_add_f32_e64 v29, |v28|, |v28|
	v_mul_f32_e32 v30, 0x3fb8aa3b, v29
	v_rndne_f32_e32 v31, v30
	v_sub_f32_e32 v36, v30, v31
	v_fma_f32 v30, v29, s23, -v30
	v_fmac_f32_e32 v30, 0x32a5705f, v29
	v_add_f32_e32 v30, v36, v30
	v_cvt_i32_f32_e32 v31, v31
	v_exp_f32_e32 v30, v30
	v_cmp_ngt_f32_e32 vcc, s24, v29
	v_ldexp_f32 v30, v30, v31
	s_nop 0
	v_cndmask_b32_e32 v30, 0, v30, vcc
	v_cmp_nlt_f32_e32 vcc, s25, v29
	s_nop 1
	v_cndmask_b32_e32 v29, v35, v30, vcc
	v_add_f32_e32 v29, 1.0, v29
	v_rcp_f32_e32 v29, v29
	s_nop 0
	v_fma_f32 v29, v29, -2.0, 1.0
.LBB573_21:                             ;   in Loop: Header=BB573_3 Depth=1
	s_andn2_saveexec_b64 s[20:21], s[20:21]
; %bb.22:                               ;   in Loop: Header=BB573_3 Depth=1
	v_mul_f32_e32 v29, v28, v28
	v_fmamk_f32 v30, v29, 0xbbbac73d, v34
	v_fmaak_f32 v30, v29, v30, 0xbd5c1c4e
	v_fmaak_f32 v30, v29, v30, 0x3e088382
	;; [unrolled: 1-line block ×3, first 2 shown]
	v_mul_f32_e64 v30, |v28|, v30
	v_fma_f32 v29, v29, v30, |v28|
; %bb.23:                               ;   in Loop: Header=BB573_3 Depth=1
	s_or_b64 exec, exec, s[20:21]
	v_mul_f32_e32 v30, v21, v21
	v_mul_f32_e32 v30, v21, v30
	v_fmamk_f32 v30, v30, 0x3d372713, v21
	v_mul_f32_e32 v30, 0x3f4c422a, v30
	v_cmp_nlt_f32_e64 s[20:21], |v30|, s22
                                        ; implicit-def: $vgpr31
	s_and_saveexec_b64 s[28:29], s[20:21]
	s_xor_b64 s[20:21], exec, s[28:29]
	s_cbranch_execz .LBB573_25
; %bb.24:                               ;   in Loop: Header=BB573_3 Depth=1
	v_add_f32_e64 v31, |v30|, |v30|
	v_mul_f32_e32 v36, 0x3fb8aa3b, v31
	v_rndne_f32_e32 v37, v36
	v_sub_f32_e32 v38, v36, v37
	v_fma_f32 v36, v31, s23, -v36
	v_fmac_f32_e32 v36, 0x32a5705f, v31
	v_add_f32_e32 v36, v38, v36
	v_cvt_i32_f32_e32 v37, v37
	v_exp_f32_e32 v36, v36
	v_cmp_ngt_f32_e32 vcc, s24, v31
	v_ldexp_f32 v36, v36, v37
	s_nop 0
	v_cndmask_b32_e32 v36, 0, v36, vcc
	v_cmp_nlt_f32_e32 vcc, s25, v31
	s_nop 1
	v_cndmask_b32_e32 v31, v35, v36, vcc
	v_add_f32_e32 v31, 1.0, v31
	v_rcp_f32_e32 v31, v31
	s_nop 0
	v_fma_f32 v31, v31, -2.0, 1.0
.LBB573_25:                             ;   in Loop: Header=BB573_3 Depth=1
	s_andn2_saveexec_b64 s[20:21], s[20:21]
; %bb.26:                               ;   in Loop: Header=BB573_3 Depth=1
	v_mul_f32_e32 v31, v30, v30
	v_fmamk_f32 v36, v31, 0xbbbac73d, v34
	v_fmaak_f32 v36, v31, v36, 0xbd5c1c4e
	v_fmaak_f32 v36, v31, v36, 0x3e088382
	;; [unrolled: 1-line block ×3, first 2 shown]
	v_mul_f32_e64 v36, |v30|, v36
	v_fma_f32 v31, v31, v36, |v30|
; %bb.27:                               ;   in Loop: Header=BB573_3 Depth=1
	s_or_b64 exec, exec, s[20:21]
	v_bfi_b32 v28, s26, v29, v28
	v_mul_f32_e32 v20, 0.5, v20
	v_add_f32_e32 v28, 1.0, v28
	v_mul_f32_e32 v20, v20, v28
	v_bfi_b32 v28, s26, v31, v30
	v_mul_f32_e32 v21, 0.5, v21
	v_add_f32_e32 v28, 1.0, v28
	v_mul_f32_e32 v21, v21, v28
	s_waitcnt vmcnt(2)
	;;#ASMSTART
	v_pk_mul_f32 v[16:17], v[20:21], v[16:17]
	;;#ASMEND
	v_mul_f32_e32 v20, v22, v22
	v_mul_f32_e32 v20, v22, v20
	v_fmamk_f32 v20, v20, 0x3d372713, v22
	v_mul_f32_e32 v20, 0x3f4c422a, v20
	v_cmp_nlt_f32_e64 s[20:21], |v20|, s22
                                        ; implicit-def: $vgpr21
	s_and_saveexec_b64 s[28:29], s[20:21]
	s_xor_b64 s[20:21], exec, s[28:29]
	s_cbranch_execz .LBB573_29
; %bb.28:                               ;   in Loop: Header=BB573_3 Depth=1
	v_add_f32_e64 v21, |v20|, |v20|
	v_mul_f32_e32 v28, 0x3fb8aa3b, v21
	v_rndne_f32_e32 v29, v28
	v_sub_f32_e32 v30, v28, v29
	v_fma_f32 v28, v21, s23, -v28
	v_fmac_f32_e32 v28, 0x32a5705f, v21
	v_add_f32_e32 v28, v30, v28
	v_cvt_i32_f32_e32 v29, v29
	v_exp_f32_e32 v28, v28
	v_cmp_ngt_f32_e32 vcc, s24, v21
	v_ldexp_f32 v28, v28, v29
	s_nop 0
	v_cndmask_b32_e32 v28, 0, v28, vcc
	v_cmp_nlt_f32_e32 vcc, s25, v21
	s_nop 1
	v_cndmask_b32_e32 v21, v35, v28, vcc
	v_add_f32_e32 v21, 1.0, v21
	v_rcp_f32_e32 v21, v21
	s_nop 0
	v_fma_f32 v21, v21, -2.0, 1.0
.LBB573_29:                             ;   in Loop: Header=BB573_3 Depth=1
	s_andn2_saveexec_b64 s[20:21], s[20:21]
; %bb.30:                               ;   in Loop: Header=BB573_3 Depth=1
	v_mul_f32_e32 v21, v20, v20
	v_fmamk_f32 v28, v21, 0xbbbac73d, v34
	v_fmaak_f32 v28, v21, v28, 0xbd5c1c4e
	v_fmaak_f32 v28, v21, v28, 0x3e088382
	;; [unrolled: 1-line block ×3, first 2 shown]
	v_mul_f32_e64 v28, |v20|, v28
	v_fma_f32 v21, v21, v28, |v20|
; %bb.31:                               ;   in Loop: Header=BB573_3 Depth=1
	s_or_b64 exec, exec, s[20:21]
	v_mul_f32_e32 v28, v23, v23
	v_mul_f32_e32 v28, v23, v28
	v_fmamk_f32 v28, v28, 0x3d372713, v23
	v_mul_f32_e32 v28, 0x3f4c422a, v28
	v_cmp_nlt_f32_e64 s[20:21], |v28|, s22
                                        ; implicit-def: $vgpr29
	s_and_saveexec_b64 s[28:29], s[20:21]
	s_xor_b64 s[20:21], exec, s[28:29]
	s_cbranch_execz .LBB573_33
; %bb.32:                               ;   in Loop: Header=BB573_3 Depth=1
	v_add_f32_e64 v29, |v28|, |v28|
	v_mul_f32_e32 v30, 0x3fb8aa3b, v29
	v_rndne_f32_e32 v31, v30
	v_sub_f32_e32 v36, v30, v31
	v_fma_f32 v30, v29, s23, -v30
	v_fmac_f32_e32 v30, 0x32a5705f, v29
	v_add_f32_e32 v30, v36, v30
	v_cvt_i32_f32_e32 v31, v31
	v_exp_f32_e32 v30, v30
	v_cmp_ngt_f32_e32 vcc, s24, v29
	v_ldexp_f32 v30, v30, v31
	s_nop 0
	v_cndmask_b32_e32 v30, 0, v30, vcc
	v_cmp_nlt_f32_e32 vcc, s25, v29
	s_nop 1
	v_cndmask_b32_e32 v29, v35, v30, vcc
	v_add_f32_e32 v29, 1.0, v29
	v_rcp_f32_e32 v29, v29
	s_nop 0
	v_fma_f32 v29, v29, -2.0, 1.0
.LBB573_33:                             ;   in Loop: Header=BB573_3 Depth=1
	s_andn2_saveexec_b64 s[20:21], s[20:21]
; %bb.34:                               ;   in Loop: Header=BB573_3 Depth=1
	v_mul_f32_e32 v29, v28, v28
	v_fmamk_f32 v30, v29, 0xbbbac73d, v34
	v_fmaak_f32 v30, v29, v30, 0xbd5c1c4e
	v_fmaak_f32 v30, v29, v30, 0x3e088382
	;; [unrolled: 1-line block ×3, first 2 shown]
	v_mul_f32_e64 v30, |v28|, v30
	v_fma_f32 v29, v29, v30, |v28|
; %bb.35:                               ;   in Loop: Header=BB573_3 Depth=1
	s_or_b64 exec, exec, s[20:21]
	v_bfi_b32 v20, s26, v21, v20
	v_mul_f32_e32 v22, 0.5, v22
	v_add_f32_e32 v20, 1.0, v20
	v_mul_f32_e32 v20, v22, v20
	v_bfi_b32 v22, s26, v29, v28
	v_mul_f32_e32 v21, 0.5, v23
	v_add_f32_e32 v22, 1.0, v22
	v_mul_f32_e32 v21, v21, v22
	;;#ASMSTART
	v_pk_mul_f32 v[18:19], v[20:21], v[18:19]
	;;#ASMEND
	v_mul_f32_e32 v20, v12, v12
	v_mul_f32_e32 v20, v12, v20
	v_fmamk_f32 v20, v20, 0x3d372713, v12
	v_mul_f32_e32 v20, 0x3f4c422a, v20
	v_cmp_nlt_f32_e64 s[20:21], |v20|, s22
                                        ; implicit-def: $vgpr21
	s_and_saveexec_b64 s[28:29], s[20:21]
	s_xor_b64 s[20:21], exec, s[28:29]
	s_cbranch_execz .LBB573_37
; %bb.36:                               ;   in Loop: Header=BB573_3 Depth=1
	v_add_f32_e64 v21, |v20|, |v20|
	v_mul_f32_e32 v22, 0x3fb8aa3b, v21
	v_rndne_f32_e32 v23, v22
	v_sub_f32_e32 v28, v22, v23
	v_fma_f32 v22, v21, s23, -v22
	v_fmac_f32_e32 v22, 0x32a5705f, v21
	v_add_f32_e32 v22, v28, v22
	v_cvt_i32_f32_e32 v23, v23
	v_exp_f32_e32 v22, v22
	v_cmp_ngt_f32_e32 vcc, s24, v21
	v_ldexp_f32 v22, v22, v23
	s_nop 0
	v_cndmask_b32_e32 v22, 0, v22, vcc
	v_cmp_nlt_f32_e32 vcc, s25, v21
	s_nop 1
	v_cndmask_b32_e32 v21, v35, v22, vcc
	v_add_f32_e32 v21, 1.0, v21
	v_rcp_f32_e32 v21, v21
	s_nop 0
	v_fma_f32 v21, v21, -2.0, 1.0
.LBB573_37:                             ;   in Loop: Header=BB573_3 Depth=1
	s_andn2_saveexec_b64 s[20:21], s[20:21]
; %bb.38:                               ;   in Loop: Header=BB573_3 Depth=1
	v_mul_f32_e32 v21, v20, v20
	v_fmamk_f32 v22, v21, 0xbbbac73d, v34
	v_fmaak_f32 v22, v21, v22, 0xbd5c1c4e
	v_fmaak_f32 v22, v21, v22, 0x3e088382
	;; [unrolled: 1-line block ×3, first 2 shown]
	v_mul_f32_e64 v22, |v20|, v22
	v_fma_f32 v21, v21, v22, |v20|
; %bb.39:                               ;   in Loop: Header=BB573_3 Depth=1
	s_or_b64 exec, exec, s[20:21]
	v_mul_f32_e32 v22, v13, v13
	v_mul_f32_e32 v22, v13, v22
	v_fmamk_f32 v22, v22, 0x3d372713, v13
	v_mul_f32_e32 v22, 0x3f4c422a, v22
	v_cmp_nlt_f32_e64 s[20:21], |v22|, s22
                                        ; implicit-def: $vgpr23
	s_and_saveexec_b64 s[28:29], s[20:21]
	s_xor_b64 s[20:21], exec, s[28:29]
	s_cbranch_execz .LBB573_41
; %bb.40:                               ;   in Loop: Header=BB573_3 Depth=1
	v_add_f32_e64 v23, |v22|, |v22|
	v_mul_f32_e32 v28, 0x3fb8aa3b, v23
	v_rndne_f32_e32 v29, v28
	v_sub_f32_e32 v30, v28, v29
	v_fma_f32 v28, v23, s23, -v28
	v_fmac_f32_e32 v28, 0x32a5705f, v23
	v_add_f32_e32 v28, v30, v28
	v_cvt_i32_f32_e32 v29, v29
	v_exp_f32_e32 v28, v28
	v_cmp_ngt_f32_e32 vcc, s24, v23
	v_ldexp_f32 v28, v28, v29
	s_nop 0
	v_cndmask_b32_e32 v28, 0, v28, vcc
	v_cmp_nlt_f32_e32 vcc, s25, v23
	s_nop 1
	v_cndmask_b32_e32 v23, v35, v28, vcc
	v_add_f32_e32 v23, 1.0, v23
	v_rcp_f32_e32 v23, v23
	s_nop 0
	v_fma_f32 v23, v23, -2.0, 1.0
.LBB573_41:                             ;   in Loop: Header=BB573_3 Depth=1
	s_andn2_saveexec_b64 s[20:21], s[20:21]
; %bb.42:                               ;   in Loop: Header=BB573_3 Depth=1
	v_mul_f32_e32 v23, v22, v22
	v_fmamk_f32 v28, v23, 0xbbbac73d, v34
	v_fmaak_f32 v28, v23, v28, 0xbd5c1c4e
	v_fmaak_f32 v28, v23, v28, 0x3e088382
	;; [unrolled: 1-line block ×3, first 2 shown]
	v_mul_f32_e64 v28, |v22|, v28
	v_fma_f32 v23, v23, v28, |v22|
; %bb.43:                               ;   in Loop: Header=BB573_3 Depth=1
	s_or_b64 exec, exec, s[20:21]
	v_bfi_b32 v20, s26, v21, v20
	v_mul_f32_e32 v12, 0.5, v12
	v_add_f32_e32 v20, 1.0, v20
	v_mul_f32_e32 v12, v12, v20
	v_bfi_b32 v20, s26, v23, v22
	v_mul_f32_e32 v13, 0.5, v13
	v_add_f32_e32 v20, 1.0, v20
	v_mul_f32_e32 v13, v13, v20
	s_waitcnt vmcnt(1)
	;;#ASMSTART
	v_pk_mul_f32 v[8:9], v[12:13], v[8:9]
	;;#ASMEND
	v_mul_f32_e32 v12, v14, v14
	v_mul_f32_e32 v12, v14, v12
	v_fmamk_f32 v12, v12, 0x3d372713, v14
	v_mul_f32_e32 v12, 0x3f4c422a, v12
	v_cmp_nlt_f32_e64 s[20:21], |v12|, s22
                                        ; implicit-def: $vgpr13
	s_and_saveexec_b64 s[28:29], s[20:21]
	s_xor_b64 s[20:21], exec, s[28:29]
	s_cbranch_execz .LBB573_45
; %bb.44:                               ;   in Loop: Header=BB573_3 Depth=1
	v_add_f32_e64 v13, |v12|, |v12|
	v_mul_f32_e32 v20, 0x3fb8aa3b, v13
	v_rndne_f32_e32 v21, v20
	v_sub_f32_e32 v22, v20, v21
	v_fma_f32 v20, v13, s23, -v20
	v_fmac_f32_e32 v20, 0x32a5705f, v13
	v_add_f32_e32 v20, v22, v20
	v_cvt_i32_f32_e32 v21, v21
	v_exp_f32_e32 v20, v20
	v_cmp_ngt_f32_e32 vcc, s24, v13
	v_ldexp_f32 v20, v20, v21
	s_nop 0
	v_cndmask_b32_e32 v20, 0, v20, vcc
	v_cmp_nlt_f32_e32 vcc, s25, v13
	s_nop 1
	v_cndmask_b32_e32 v13, v35, v20, vcc
	v_add_f32_e32 v13, 1.0, v13
	v_rcp_f32_e32 v13, v13
	s_nop 0
	v_fma_f32 v13, v13, -2.0, 1.0
.LBB573_45:                             ;   in Loop: Header=BB573_3 Depth=1
	s_andn2_saveexec_b64 s[20:21], s[20:21]
; %bb.46:                               ;   in Loop: Header=BB573_3 Depth=1
	v_mul_f32_e32 v13, v12, v12
	v_fmamk_f32 v20, v13, 0xbbbac73d, v34
	v_fmaak_f32 v20, v13, v20, 0xbd5c1c4e
	v_fmaak_f32 v20, v13, v20, 0x3e088382
	;; [unrolled: 1-line block ×3, first 2 shown]
	v_mul_f32_e64 v20, |v12|, v20
	v_fma_f32 v13, v13, v20, |v12|
; %bb.47:                               ;   in Loop: Header=BB573_3 Depth=1
	s_or_b64 exec, exec, s[20:21]
	v_mul_f32_e32 v20, v15, v15
	v_mul_f32_e32 v20, v15, v20
	v_fmamk_f32 v20, v20, 0x3d372713, v15
	v_mul_f32_e32 v20, 0x3f4c422a, v20
	v_cmp_nlt_f32_e64 s[20:21], |v20|, s22
                                        ; implicit-def: $vgpr21
	s_and_saveexec_b64 s[28:29], s[20:21]
	s_xor_b64 s[20:21], exec, s[28:29]
	s_cbranch_execz .LBB573_49
; %bb.48:                               ;   in Loop: Header=BB573_3 Depth=1
	v_add_f32_e64 v21, |v20|, |v20|
	v_mul_f32_e32 v22, 0x3fb8aa3b, v21
	v_rndne_f32_e32 v23, v22
	v_sub_f32_e32 v28, v22, v23
	v_fma_f32 v22, v21, s23, -v22
	v_fmac_f32_e32 v22, 0x32a5705f, v21
	v_add_f32_e32 v22, v28, v22
	v_cvt_i32_f32_e32 v23, v23
	v_exp_f32_e32 v22, v22
	v_cmp_ngt_f32_e32 vcc, s24, v21
	v_ldexp_f32 v22, v22, v23
	s_nop 0
	v_cndmask_b32_e32 v22, 0, v22, vcc
	v_cmp_nlt_f32_e32 vcc, s25, v21
	s_nop 1
	v_cndmask_b32_e32 v21, v35, v22, vcc
	v_add_f32_e32 v21, 1.0, v21
	v_rcp_f32_e32 v21, v21
	s_nop 0
	v_fma_f32 v21, v21, -2.0, 1.0
.LBB573_49:                             ;   in Loop: Header=BB573_3 Depth=1
	s_andn2_saveexec_b64 s[20:21], s[20:21]
; %bb.50:                               ;   in Loop: Header=BB573_3 Depth=1
	v_mul_f32_e32 v21, v20, v20
	v_fmamk_f32 v22, v21, 0xbbbac73d, v34
	v_fmaak_f32 v22, v21, v22, 0xbd5c1c4e
	v_fmaak_f32 v22, v21, v22, 0x3e088382
	;; [unrolled: 1-line block ×3, first 2 shown]
	v_mul_f32_e64 v22, |v20|, v22
	v_fma_f32 v21, v21, v22, |v20|
; %bb.51:                               ;   in Loop: Header=BB573_3 Depth=1
	s_or_b64 exec, exec, s[20:21]
	v_bfi_b32 v12, s26, v13, v12
	v_mul_f32_e32 v14, 0.5, v14
	v_add_f32_e32 v12, 1.0, v12
	v_mul_f32_e32 v12, v14, v12
	v_bfi_b32 v14, s26, v21, v20
	v_mul_f32_e32 v13, 0.5, v15
	v_add_f32_e32 v14, 1.0, v14
	v_mul_f32_e32 v13, v13, v14
	;;#ASMSTART
	v_pk_mul_f32 v[10:11], v[12:13], v[10:11]
	;;#ASMEND
	v_mul_f32_e32 v12, v4, v4
	v_mul_f32_e32 v12, v4, v12
	v_fmamk_f32 v12, v12, 0x3d372713, v4
	v_mul_f32_e32 v12, 0x3f4c422a, v12
	v_cmp_nlt_f32_e64 s[20:21], |v12|, s22
                                        ; implicit-def: $vgpr13
	s_and_saveexec_b64 s[28:29], s[20:21]
	s_xor_b64 s[20:21], exec, s[28:29]
	s_cbranch_execz .LBB573_53
; %bb.52:                               ;   in Loop: Header=BB573_3 Depth=1
	v_add_f32_e64 v13, |v12|, |v12|
	v_mul_f32_e32 v14, 0x3fb8aa3b, v13
	v_rndne_f32_e32 v15, v14
	v_sub_f32_e32 v20, v14, v15
	v_fma_f32 v14, v13, s23, -v14
	v_fmac_f32_e32 v14, 0x32a5705f, v13
	v_add_f32_e32 v14, v20, v14
	v_cvt_i32_f32_e32 v15, v15
	v_exp_f32_e32 v14, v14
	v_cmp_ngt_f32_e32 vcc, s24, v13
	v_ldexp_f32 v14, v14, v15
	s_nop 0
	v_cndmask_b32_e32 v14, 0, v14, vcc
	v_cmp_nlt_f32_e32 vcc, s25, v13
	s_nop 1
	v_cndmask_b32_e32 v13, v35, v14, vcc
	v_add_f32_e32 v13, 1.0, v13
	v_rcp_f32_e32 v13, v13
	s_nop 0
	v_fma_f32 v13, v13, -2.0, 1.0
.LBB573_53:                             ;   in Loop: Header=BB573_3 Depth=1
	s_andn2_saveexec_b64 s[20:21], s[20:21]
; %bb.54:                               ;   in Loop: Header=BB573_3 Depth=1
	v_mul_f32_e32 v13, v12, v12
	v_fmamk_f32 v14, v13, 0xbbbac73d, v34
	v_fmaak_f32 v14, v13, v14, 0xbd5c1c4e
	v_fmaak_f32 v14, v13, v14, 0x3e088382
	;; [unrolled: 1-line block ×3, first 2 shown]
	v_mul_f32_e64 v14, |v12|, v14
	v_fma_f32 v13, v13, v14, |v12|
; %bb.55:                               ;   in Loop: Header=BB573_3 Depth=1
	s_or_b64 exec, exec, s[20:21]
	v_mul_f32_e32 v14, v5, v5
	v_mul_f32_e32 v14, v5, v14
	v_fmamk_f32 v14, v14, 0x3d372713, v5
	v_mul_f32_e32 v14, 0x3f4c422a, v14
	v_cmp_nlt_f32_e64 s[20:21], |v14|, s22
                                        ; implicit-def: $vgpr15
	s_and_saveexec_b64 s[28:29], s[20:21]
	s_xor_b64 s[20:21], exec, s[28:29]
	s_cbranch_execz .LBB573_57
; %bb.56:                               ;   in Loop: Header=BB573_3 Depth=1
	v_add_f32_e64 v15, |v14|, |v14|
	v_mul_f32_e32 v20, 0x3fb8aa3b, v15
	v_rndne_f32_e32 v21, v20
	v_sub_f32_e32 v22, v20, v21
	v_fma_f32 v20, v15, s23, -v20
	v_fmac_f32_e32 v20, 0x32a5705f, v15
	v_add_f32_e32 v20, v22, v20
	v_cvt_i32_f32_e32 v21, v21
	v_exp_f32_e32 v20, v20
	v_cmp_ngt_f32_e32 vcc, s24, v15
	v_ldexp_f32 v20, v20, v21
	s_nop 0
	v_cndmask_b32_e32 v20, 0, v20, vcc
	v_cmp_nlt_f32_e32 vcc, s25, v15
	s_nop 1
	v_cndmask_b32_e32 v15, v35, v20, vcc
	v_add_f32_e32 v15, 1.0, v15
	v_rcp_f32_e32 v15, v15
	s_nop 0
	v_fma_f32 v15, v15, -2.0, 1.0
.LBB573_57:                             ;   in Loop: Header=BB573_3 Depth=1
	s_andn2_saveexec_b64 s[20:21], s[20:21]
; %bb.58:                               ;   in Loop: Header=BB573_3 Depth=1
	v_mul_f32_e32 v15, v14, v14
	v_fmamk_f32 v20, v15, 0xbbbac73d, v34
	v_fmaak_f32 v20, v15, v20, 0xbd5c1c4e
	v_fmaak_f32 v20, v15, v20, 0x3e088382
	;; [unrolled: 1-line block ×3, first 2 shown]
	v_mul_f32_e64 v20, |v14|, v20
	v_fma_f32 v15, v15, v20, |v14|
; %bb.59:                               ;   in Loop: Header=BB573_3 Depth=1
	s_or_b64 exec, exec, s[20:21]
	v_bfi_b32 v12, s26, v13, v12
	v_mul_f32_e32 v4, 0.5, v4
	v_add_f32_e32 v12, 1.0, v12
	v_mul_f32_e32 v4, v4, v12
	v_bfi_b32 v12, s26, v15, v14
	v_mul_f32_e32 v5, 0.5, v5
	v_add_f32_e32 v12, 1.0, v12
	v_mul_f32_e32 v5, v5, v12
	s_waitcnt vmcnt(0)
	;;#ASMSTART
	v_pk_mul_f32 v[0:1], v[4:5], v[0:1]
	;;#ASMEND
	v_mul_f32_e32 v4, v6, v6
	v_mul_f32_e32 v4, v6, v4
	v_fmamk_f32 v4, v4, 0x3d372713, v6
	v_mul_f32_e32 v4, 0x3f4c422a, v4
	v_cmp_nlt_f32_e64 s[20:21], |v4|, s22
                                        ; implicit-def: $vgpr5
	s_and_saveexec_b64 s[28:29], s[20:21]
	s_xor_b64 s[20:21], exec, s[28:29]
	s_cbranch_execz .LBB573_61
; %bb.60:                               ;   in Loop: Header=BB573_3 Depth=1
	v_add_f32_e64 v5, |v4|, |v4|
	v_mul_f32_e32 v12, 0x3fb8aa3b, v5
	v_rndne_f32_e32 v13, v12
	v_sub_f32_e32 v14, v12, v13
	v_fma_f32 v12, v5, s23, -v12
	v_fmac_f32_e32 v12, 0x32a5705f, v5
	v_add_f32_e32 v12, v14, v12
	v_cvt_i32_f32_e32 v13, v13
	v_exp_f32_e32 v12, v12
	v_cmp_ngt_f32_e32 vcc, s24, v5
	v_ldexp_f32 v12, v12, v13
	s_nop 0
	v_cndmask_b32_e32 v12, 0, v12, vcc
	v_cmp_nlt_f32_e32 vcc, s25, v5
	s_nop 1
	v_cndmask_b32_e32 v5, v35, v12, vcc
	v_add_f32_e32 v5, 1.0, v5
	v_rcp_f32_e32 v5, v5
	s_nop 0
	v_fma_f32 v5, v5, -2.0, 1.0
.LBB573_61:                             ;   in Loop: Header=BB573_3 Depth=1
	s_andn2_saveexec_b64 s[20:21], s[20:21]
; %bb.62:                               ;   in Loop: Header=BB573_3 Depth=1
	v_mul_f32_e32 v5, v4, v4
	v_fmamk_f32 v12, v5, 0xbbbac73d, v34
	v_fmaak_f32 v12, v5, v12, 0xbd5c1c4e
	v_fmaak_f32 v12, v5, v12, 0x3e088382
	;; [unrolled: 1-line block ×3, first 2 shown]
	v_mul_f32_e64 v12, |v4|, v12
	v_fma_f32 v5, v5, v12, |v4|
; %bb.63:                               ;   in Loop: Header=BB573_3 Depth=1
	s_or_b64 exec, exec, s[20:21]
	v_mul_f32_e32 v12, v7, v7
	v_mul_f32_e32 v12, v7, v12
	v_fmamk_f32 v12, v12, 0x3d372713, v7
	v_mul_f32_e32 v12, 0x3f4c422a, v12
	v_cmp_nlt_f32_e64 s[20:21], |v12|, s22
                                        ; implicit-def: $vgpr13
	s_and_saveexec_b64 s[28:29], s[20:21]
	s_xor_b64 s[20:21], exec, s[28:29]
	s_cbranch_execz .LBB573_65
; %bb.64:                               ;   in Loop: Header=BB573_3 Depth=1
	v_add_f32_e64 v13, |v12|, |v12|
	v_mul_f32_e32 v14, 0x3fb8aa3b, v13
	v_rndne_f32_e32 v15, v14
	v_sub_f32_e32 v20, v14, v15
	v_fma_f32 v14, v13, s23, -v14
	v_fmac_f32_e32 v14, 0x32a5705f, v13
	v_add_f32_e32 v14, v20, v14
	v_cvt_i32_f32_e32 v15, v15
	v_exp_f32_e32 v14, v14
	v_cmp_ngt_f32_e32 vcc, s24, v13
	v_ldexp_f32 v14, v14, v15
	s_nop 0
	v_cndmask_b32_e32 v14, 0, v14, vcc
	v_cmp_nlt_f32_e32 vcc, s25, v13
	s_nop 1
	v_cndmask_b32_e32 v13, v35, v14, vcc
	v_add_f32_e32 v13, 1.0, v13
	v_rcp_f32_e32 v13, v13
	s_nop 0
	v_fma_f32 v13, v13, -2.0, 1.0
.LBB573_65:                             ;   in Loop: Header=BB573_3 Depth=1
	s_andn2_saveexec_b64 s[20:21], s[20:21]
	s_cbranch_execz .LBB573_2
; %bb.66:                               ;   in Loop: Header=BB573_3 Depth=1
	v_mul_f32_e32 v13, v12, v12
	v_fmamk_f32 v14, v13, 0xbbbac73d, v34
	v_fmaak_f32 v14, v13, v14, 0xbd5c1c4e
	v_fmaak_f32 v14, v13, v14, 0x3e088382
	;; [unrolled: 1-line block ×3, first 2 shown]
	v_mul_f32_e64 v14, |v12|, v14
	v_fma_f32 v13, v13, v14, |v12|
	s_branch .LBB573_2
.LBB573_67:
	s_endpgm
	.section	.rodata,"a",@progbits
	.p2align	6, 0x0
	.amdhsa_kernel _ZN5aiter18act_and_mul_kernelIfDF16_TnPFfRKT_EXadL_ZNS_16gelu_tanh_kernelIfEEfS3_EELi16ELb0ELi0EEEvPT0_PS2_if
		.amdhsa_group_segment_fixed_size 0
		.amdhsa_private_segment_fixed_size 0
		.amdhsa_kernarg_size 280
		.amdhsa_user_sgpr_count 2
		.amdhsa_user_sgpr_dispatch_ptr 0
		.amdhsa_user_sgpr_queue_ptr 0
		.amdhsa_user_sgpr_kernarg_segment_ptr 1
		.amdhsa_user_sgpr_dispatch_id 0
		.amdhsa_user_sgpr_kernarg_preload_length 0
		.amdhsa_user_sgpr_kernarg_preload_offset 0
		.amdhsa_user_sgpr_private_segment_size 0
		.amdhsa_uses_dynamic_stack 0
		.amdhsa_enable_private_segment 0
		.amdhsa_system_sgpr_workgroup_id_x 1
		.amdhsa_system_sgpr_workgroup_id_y 0
		.amdhsa_system_sgpr_workgroup_id_z 0
		.amdhsa_system_sgpr_workgroup_info 0
		.amdhsa_system_vgpr_workitem_id 0
		.amdhsa_next_free_vgpr 43
		.amdhsa_next_free_sgpr 30
		.amdhsa_accum_offset 44
		.amdhsa_reserve_vcc 1
		.amdhsa_float_round_mode_32 0
		.amdhsa_float_round_mode_16_64 0
		.amdhsa_float_denorm_mode_32 3
		.amdhsa_float_denorm_mode_16_64 3
		.amdhsa_dx10_clamp 1
		.amdhsa_ieee_mode 1
		.amdhsa_fp16_overflow 0
		.amdhsa_tg_split 0
		.amdhsa_exception_fp_ieee_invalid_op 0
		.amdhsa_exception_fp_denorm_src 0
		.amdhsa_exception_fp_ieee_div_zero 0
		.amdhsa_exception_fp_ieee_overflow 0
		.amdhsa_exception_fp_ieee_underflow 0
		.amdhsa_exception_fp_ieee_inexact 0
		.amdhsa_exception_int_div_zero 0
	.end_amdhsa_kernel
	.section	.text._ZN5aiter18act_and_mul_kernelIfDF16_TnPFfRKT_EXadL_ZNS_16gelu_tanh_kernelIfEEfS3_EELi16ELb0ELi0EEEvPT0_PS2_if,"axG",@progbits,_ZN5aiter18act_and_mul_kernelIfDF16_TnPFfRKT_EXadL_ZNS_16gelu_tanh_kernelIfEEfS3_EELi16ELb0ELi0EEEvPT0_PS2_if,comdat
.Lfunc_end573:
	.size	_ZN5aiter18act_and_mul_kernelIfDF16_TnPFfRKT_EXadL_ZNS_16gelu_tanh_kernelIfEEfS3_EELi16ELb0ELi0EEEvPT0_PS2_if, .Lfunc_end573-_ZN5aiter18act_and_mul_kernelIfDF16_TnPFfRKT_EXadL_ZNS_16gelu_tanh_kernelIfEEfS3_EELi16ELb0ELi0EEEvPT0_PS2_if
                                        ; -- End function
	.section	.AMDGPU.csdata,"",@progbits
; Kernel info:
; codeLenInByte = 4252
; NumSgprs: 36
; NumVgprs: 43
; NumAgprs: 0
; TotalNumVgprs: 43
; ScratchSize: 0
; MemoryBound: 0
; FloatMode: 240
; IeeeMode: 1
; LDSByteSize: 0 bytes/workgroup (compile time only)
; SGPRBlocks: 4
; VGPRBlocks: 5
; NumSGPRsForWavesPerEU: 36
; NumVGPRsForWavesPerEU: 43
; AccumOffset: 44
; Occupancy: 8
; WaveLimiterHint : 0
; COMPUTE_PGM_RSRC2:SCRATCH_EN: 0
; COMPUTE_PGM_RSRC2:USER_SGPR: 2
; COMPUTE_PGM_RSRC2:TRAP_HANDLER: 0
; COMPUTE_PGM_RSRC2:TGID_X_EN: 1
; COMPUTE_PGM_RSRC2:TGID_Y_EN: 0
; COMPUTE_PGM_RSRC2:TGID_Z_EN: 0
; COMPUTE_PGM_RSRC2:TIDIG_COMP_CNT: 0
; COMPUTE_PGM_RSRC3_GFX90A:ACCUM_OFFSET: 10
; COMPUTE_PGM_RSRC3_GFX90A:TG_SPLIT: 0
	.section	.text._ZN5aiter18act_and_mul_kernelIfDF16_TnPFfRKT_EXadL_ZNS_16gelu_tanh_kernelIfEEfS3_EELi8ELb0ELi0EEEvPT0_PS2_if,"axG",@progbits,_ZN5aiter18act_and_mul_kernelIfDF16_TnPFfRKT_EXadL_ZNS_16gelu_tanh_kernelIfEEfS3_EELi8ELb0ELi0EEEvPT0_PS2_if,comdat
	.protected	_ZN5aiter18act_and_mul_kernelIfDF16_TnPFfRKT_EXadL_ZNS_16gelu_tanh_kernelIfEEfS3_EELi8ELb0ELi0EEEvPT0_PS2_if ; -- Begin function _ZN5aiter18act_and_mul_kernelIfDF16_TnPFfRKT_EXadL_ZNS_16gelu_tanh_kernelIfEEfS3_EELi8ELb0ELi0EEEvPT0_PS2_if
	.globl	_ZN5aiter18act_and_mul_kernelIfDF16_TnPFfRKT_EXadL_ZNS_16gelu_tanh_kernelIfEEfS3_EELi8ELb0ELi0EEEvPT0_PS2_if
	.p2align	8
	.type	_ZN5aiter18act_and_mul_kernelIfDF16_TnPFfRKT_EXadL_ZNS_16gelu_tanh_kernelIfEEfS3_EELi8ELb0ELi0EEEvPT0_PS2_if,@function
_ZN5aiter18act_and_mul_kernelIfDF16_TnPFfRKT_EXadL_ZNS_16gelu_tanh_kernelIfEEfS3_EELi8ELb0ELi0EEEvPT0_PS2_if: ; @_ZN5aiter18act_and_mul_kernelIfDF16_TnPFfRKT_EXadL_ZNS_16gelu_tanh_kernelIfEEfS3_EELi8ELb0ELi0EEEvPT0_PS2_if
; %bb.0:
	s_load_dword s16, s[0:1], 0x10
	v_lshlrev_b32_e32 v16, 3, v0
	s_waitcnt lgkmcnt(0)
	v_cmp_gt_i32_e32 vcc, s16, v16
	s_and_saveexec_b64 s[4:5], vcc
	s_cbranch_execz .LBB574_35
; %bb.1:
	s_load_dwordx4 s[12:15], s[0:1], 0x0
	s_ashr_i32 s17, s16, 31
	s_mul_hi_u32 s3, s16, s2
	s_mul_i32 s4, s17, s2
	s_add_i32 s3, s3, s4
	s_mul_i32 s2, s16, s2
	s_lshl_b64 s[10:11], s[2:3], 1
	s_lshl_b64 s[2:3], s[2:3], 3
	s_waitcnt lgkmcnt(0)
	s_add_u32 s4, s14, s2
	s_addc_u32 s5, s15, s3
	s_lshl_b64 s[2:3], s[16:17], 2
	s_add_u32 s8, s4, s2
	s_addc_u32 s2, s5, s3
	s_lshl_b32 s6, s16, 2
	s_and_b32 s5, s5, 0xffff
	s_and_b32 s9, s2, 0xffff
	s_add_u32 s12, s12, s10
	s_addc_u32 s2, s13, s11
	s_add_i32 s3, s16, 1
	s_lshr_b32 s10, s3, 31
	s_add_i32 s3, s3, s10
	s_lshl_b32 s3, s3, 1
	s_and_b32 s14, s3, -4
	s_and_b32 s13, s2, 0xffff
	s_mov_b32 s7, 0x20000
	s_add_u32 s0, s0, 24
	s_mov_b32 s15, s7
	v_mov_b32_e32 v17, 0
	s_addc_u32 s1, s1, 0
	s_mov_b64 s[2:3], 0
	s_mov_b32 s19, 0
	s_mov_b32 s10, s6
	;; [unrolled: 1-line block ×7, first 2 shown]
	v_mov_b32_e32 v18, 0x3ca908c9
	s_brev_b32 s26, -2
	v_mov_b32_e32 v19, 0x7f800000
                                        ; implicit-def: $vgpr0
                                        ; implicit-def: $vgpr0
	;; [unrolled: 1-line block ×3, first 2 shown]
	s_branch .LBB574_3
.LBB574_2:                              ;   in Loop: Header=BB574_3 Depth=1
	s_or_b64 exec, exec, s[20:21]
	v_bfi_b32 v4, s26, v5, v4
	v_mul_f32_e32 v5, 0.5, v7
	v_bfi_b32 v7, s26, v13, v12
	v_mul_f32_e32 v6, 0.5, v6
	v_add_f32_e32 v4, 1.0, v4
	v_add_f32_e32 v7, 1.0, v7
	v_mul_f32_e32 v4, v6, v4
	v_mul_f32_e32 v5, v5, v7
	;;#ASMSTART
	v_pk_mul_f32 v[2:3], v[4:5], v[2:3]
	;;#ASMEND
	s_load_dword s18, s[0:1], 0xc
	v_cvt_f16_f32_e32 v6, v8
	v_cvt_f16_f32_e32 v8, v9
	;; [unrolled: 1-line block ×8, first 2 shown]
	s_waitcnt lgkmcnt(0)
	s_and_b32 s18, s18, 0xffff
	s_lshl_b32 s18, s18, 3
	v_pack_b32_f16 v3, v2, v3
	v_pack_b32_f16 v2, v0, v1
	;; [unrolled: 1-line block ×3, first 2 shown]
	v_lshlrev_b32_e32 v4, 1, v16
	v_lshl_add_u64 v[16:17], s[18:19], 0, v[16:17]
	v_cmp_le_i64_e32 vcc, s[16:17], v[16:17]
	v_pack_b32_f16 v0, v6, v8
	s_or_b64 s[2:3], vcc, s[2:3]
	buffer_store_dwordx4 v[0:3], v4, s[12:15], 0 offen
	s_andn2_b64 exec, exec, s[2:3]
	s_cbranch_execz .LBB574_35
.LBB574_3:                              ; =>This Inner Loop Header: Depth=1
	v_lshlrev_b32_e32 v20, 2, v16
	buffer_load_dwordx4 v[12:15], v20, s[4:7], 0 offen
	buffer_load_dwordx4 v[4:7], v20, s[4:7], 16 offen
	buffer_load_dwordx4 v[8:11], v20, s[8:11], 0 offen
	buffer_load_dwordx4 v[0:3], v20, s[8:11], 16 offen
                                        ; implicit-def: $vgpr21
	s_waitcnt vmcnt(3)
	v_mul_f32_e32 v20, v12, v12
	v_mul_f32_e32 v20, v12, v20
	v_fmamk_f32 v20, v20, 0x3d372713, v12
	v_mul_f32_e32 v20, 0x3f4c422a, v20
	v_cmp_nlt_f32_e64 s[20:21], |v20|, s22
	s_and_saveexec_b64 s[28:29], s[20:21]
	s_xor_b64 s[20:21], exec, s[28:29]
	s_cbranch_execz .LBB574_5
; %bb.4:                                ;   in Loop: Header=BB574_3 Depth=1
	v_add_f32_e64 v21, |v20|, |v20|
	v_mul_f32_e32 v22, 0x3fb8aa3b, v21
	v_rndne_f32_e32 v23, v22
	v_sub_f32_e32 v24, v22, v23
	v_fma_f32 v22, v21, s23, -v22
	v_fmac_f32_e32 v22, 0x32a5705f, v21
	v_add_f32_e32 v22, v24, v22
	v_cvt_i32_f32_e32 v23, v23
	v_exp_f32_e32 v22, v22
	v_cmp_ngt_f32_e32 vcc, s24, v21
	v_ldexp_f32 v22, v22, v23
	s_nop 0
	v_cndmask_b32_e32 v22, 0, v22, vcc
	v_cmp_nlt_f32_e32 vcc, s25, v21
	s_nop 1
	v_cndmask_b32_e32 v21, v19, v22, vcc
	v_add_f32_e32 v21, 1.0, v21
	v_rcp_f32_e32 v21, v21
	s_nop 0
	v_fma_f32 v21, v21, -2.0, 1.0
.LBB574_5:                              ;   in Loop: Header=BB574_3 Depth=1
	s_andn2_saveexec_b64 s[20:21], s[20:21]
; %bb.6:                                ;   in Loop: Header=BB574_3 Depth=1
	v_mul_f32_e32 v21, v20, v20
	v_fmamk_f32 v22, v21, 0xbbbac73d, v18
	v_fmaak_f32 v22, v21, v22, 0xbd5c1c4e
	v_fmaak_f32 v22, v21, v22, 0x3e088382
	;; [unrolled: 1-line block ×3, first 2 shown]
	v_mul_f32_e64 v22, |v20|, v22
	v_fma_f32 v21, v21, v22, |v20|
; %bb.7:                                ;   in Loop: Header=BB574_3 Depth=1
	s_or_b64 exec, exec, s[20:21]
	v_mul_f32_e32 v22, v13, v13
	v_mul_f32_e32 v22, v13, v22
	v_fmamk_f32 v22, v22, 0x3d372713, v13
	v_mul_f32_e32 v22, 0x3f4c422a, v22
	v_cmp_nlt_f32_e64 s[20:21], |v22|, s22
                                        ; implicit-def: $vgpr23
	s_and_saveexec_b64 s[28:29], s[20:21]
	s_xor_b64 s[20:21], exec, s[28:29]
	s_cbranch_execz .LBB574_9
; %bb.8:                                ;   in Loop: Header=BB574_3 Depth=1
	v_add_f32_e64 v23, |v22|, |v22|
	v_mul_f32_e32 v24, 0x3fb8aa3b, v23
	v_rndne_f32_e32 v25, v24
	v_sub_f32_e32 v26, v24, v25
	v_fma_f32 v24, v23, s23, -v24
	v_fmac_f32_e32 v24, 0x32a5705f, v23
	v_add_f32_e32 v24, v26, v24
	v_cvt_i32_f32_e32 v25, v25
	v_exp_f32_e32 v24, v24
	v_cmp_ngt_f32_e32 vcc, s24, v23
	v_ldexp_f32 v24, v24, v25
	s_nop 0
	v_cndmask_b32_e32 v24, 0, v24, vcc
	v_cmp_nlt_f32_e32 vcc, s25, v23
	s_nop 1
	v_cndmask_b32_e32 v23, v19, v24, vcc
	v_add_f32_e32 v23, 1.0, v23
	v_rcp_f32_e32 v23, v23
	s_nop 0
	v_fma_f32 v23, v23, -2.0, 1.0
.LBB574_9:                              ;   in Loop: Header=BB574_3 Depth=1
	s_andn2_saveexec_b64 s[20:21], s[20:21]
; %bb.10:                               ;   in Loop: Header=BB574_3 Depth=1
	v_mul_f32_e32 v23, v22, v22
	v_fmamk_f32 v24, v23, 0xbbbac73d, v18
	v_fmaak_f32 v24, v23, v24, 0xbd5c1c4e
	v_fmaak_f32 v24, v23, v24, 0x3e088382
	;; [unrolled: 1-line block ×3, first 2 shown]
	v_mul_f32_e64 v24, |v22|, v24
	v_fma_f32 v23, v23, v24, |v22|
; %bb.11:                               ;   in Loop: Header=BB574_3 Depth=1
	s_or_b64 exec, exec, s[20:21]
	v_bfi_b32 v20, s26, v21, v20
	v_mul_f32_e32 v12, 0.5, v12
	v_add_f32_e32 v20, 1.0, v20
	v_mul_f32_e32 v12, v12, v20
	v_bfi_b32 v20, s26, v23, v22
	v_mul_f32_e32 v13, 0.5, v13
	v_add_f32_e32 v20, 1.0, v20
	v_mul_f32_e32 v13, v13, v20
	s_waitcnt vmcnt(1)
	;;#ASMSTART
	v_pk_mul_f32 v[8:9], v[12:13], v[8:9]
	;;#ASMEND
	v_mul_f32_e32 v12, v14, v14
	v_mul_f32_e32 v12, v14, v12
	v_fmamk_f32 v12, v12, 0x3d372713, v14
	v_mul_f32_e32 v12, 0x3f4c422a, v12
	v_cmp_nlt_f32_e64 s[20:21], |v12|, s22
                                        ; implicit-def: $vgpr13
	s_and_saveexec_b64 s[28:29], s[20:21]
	s_xor_b64 s[20:21], exec, s[28:29]
	s_cbranch_execz .LBB574_13
; %bb.12:                               ;   in Loop: Header=BB574_3 Depth=1
	v_add_f32_e64 v13, |v12|, |v12|
	v_mul_f32_e32 v20, 0x3fb8aa3b, v13
	v_rndne_f32_e32 v21, v20
	v_sub_f32_e32 v22, v20, v21
	v_fma_f32 v20, v13, s23, -v20
	v_fmac_f32_e32 v20, 0x32a5705f, v13
	v_add_f32_e32 v20, v22, v20
	v_cvt_i32_f32_e32 v21, v21
	v_exp_f32_e32 v20, v20
	v_cmp_ngt_f32_e32 vcc, s24, v13
	v_ldexp_f32 v20, v20, v21
	s_nop 0
	v_cndmask_b32_e32 v20, 0, v20, vcc
	v_cmp_nlt_f32_e32 vcc, s25, v13
	s_nop 1
	v_cndmask_b32_e32 v13, v19, v20, vcc
	v_add_f32_e32 v13, 1.0, v13
	v_rcp_f32_e32 v13, v13
	s_nop 0
	v_fma_f32 v13, v13, -2.0, 1.0
.LBB574_13:                             ;   in Loop: Header=BB574_3 Depth=1
	s_andn2_saveexec_b64 s[20:21], s[20:21]
; %bb.14:                               ;   in Loop: Header=BB574_3 Depth=1
	v_mul_f32_e32 v13, v12, v12
	v_fmamk_f32 v20, v13, 0xbbbac73d, v18
	v_fmaak_f32 v20, v13, v20, 0xbd5c1c4e
	v_fmaak_f32 v20, v13, v20, 0x3e088382
	v_fmaak_f32 v20, v13, v20, 0xbeaaaa99
	v_mul_f32_e64 v20, |v12|, v20
	v_fma_f32 v13, v13, v20, |v12|
; %bb.15:                               ;   in Loop: Header=BB574_3 Depth=1
	s_or_b64 exec, exec, s[20:21]
	v_mul_f32_e32 v20, v15, v15
	v_mul_f32_e32 v20, v15, v20
	v_fmamk_f32 v20, v20, 0x3d372713, v15
	v_mul_f32_e32 v20, 0x3f4c422a, v20
	v_cmp_nlt_f32_e64 s[20:21], |v20|, s22
                                        ; implicit-def: $vgpr21
	s_and_saveexec_b64 s[28:29], s[20:21]
	s_xor_b64 s[20:21], exec, s[28:29]
	s_cbranch_execz .LBB574_17
; %bb.16:                               ;   in Loop: Header=BB574_3 Depth=1
	v_add_f32_e64 v21, |v20|, |v20|
	v_mul_f32_e32 v22, 0x3fb8aa3b, v21
	v_rndne_f32_e32 v23, v22
	v_sub_f32_e32 v24, v22, v23
	v_fma_f32 v22, v21, s23, -v22
	v_fmac_f32_e32 v22, 0x32a5705f, v21
	v_add_f32_e32 v22, v24, v22
	v_cvt_i32_f32_e32 v23, v23
	v_exp_f32_e32 v22, v22
	v_cmp_ngt_f32_e32 vcc, s24, v21
	v_ldexp_f32 v22, v22, v23
	s_nop 0
	v_cndmask_b32_e32 v22, 0, v22, vcc
	v_cmp_nlt_f32_e32 vcc, s25, v21
	s_nop 1
	v_cndmask_b32_e32 v21, v19, v22, vcc
	v_add_f32_e32 v21, 1.0, v21
	v_rcp_f32_e32 v21, v21
	s_nop 0
	v_fma_f32 v21, v21, -2.0, 1.0
.LBB574_17:                             ;   in Loop: Header=BB574_3 Depth=1
	s_andn2_saveexec_b64 s[20:21], s[20:21]
; %bb.18:                               ;   in Loop: Header=BB574_3 Depth=1
	v_mul_f32_e32 v21, v20, v20
	v_fmamk_f32 v22, v21, 0xbbbac73d, v18
	v_fmaak_f32 v22, v21, v22, 0xbd5c1c4e
	v_fmaak_f32 v22, v21, v22, 0x3e088382
	;; [unrolled: 1-line block ×3, first 2 shown]
	v_mul_f32_e64 v22, |v20|, v22
	v_fma_f32 v21, v21, v22, |v20|
; %bb.19:                               ;   in Loop: Header=BB574_3 Depth=1
	s_or_b64 exec, exec, s[20:21]
	v_bfi_b32 v12, s26, v13, v12
	v_mul_f32_e32 v14, 0.5, v14
	v_add_f32_e32 v12, 1.0, v12
	v_mul_f32_e32 v12, v14, v12
	v_bfi_b32 v14, s26, v21, v20
	v_mul_f32_e32 v13, 0.5, v15
	v_add_f32_e32 v14, 1.0, v14
	v_mul_f32_e32 v13, v13, v14
	;;#ASMSTART
	v_pk_mul_f32 v[10:11], v[12:13], v[10:11]
	;;#ASMEND
	v_mul_f32_e32 v12, v4, v4
	v_mul_f32_e32 v12, v4, v12
	v_fmamk_f32 v12, v12, 0x3d372713, v4
	v_mul_f32_e32 v12, 0x3f4c422a, v12
	v_cmp_nlt_f32_e64 s[20:21], |v12|, s22
                                        ; implicit-def: $vgpr13
	s_and_saveexec_b64 s[28:29], s[20:21]
	s_xor_b64 s[20:21], exec, s[28:29]
	s_cbranch_execz .LBB574_21
; %bb.20:                               ;   in Loop: Header=BB574_3 Depth=1
	v_add_f32_e64 v13, |v12|, |v12|
	v_mul_f32_e32 v14, 0x3fb8aa3b, v13
	v_rndne_f32_e32 v15, v14
	v_sub_f32_e32 v20, v14, v15
	v_fma_f32 v14, v13, s23, -v14
	v_fmac_f32_e32 v14, 0x32a5705f, v13
	v_add_f32_e32 v14, v20, v14
	v_cvt_i32_f32_e32 v15, v15
	v_exp_f32_e32 v14, v14
	v_cmp_ngt_f32_e32 vcc, s24, v13
	v_ldexp_f32 v14, v14, v15
	s_nop 0
	v_cndmask_b32_e32 v14, 0, v14, vcc
	v_cmp_nlt_f32_e32 vcc, s25, v13
	s_nop 1
	v_cndmask_b32_e32 v13, v19, v14, vcc
	v_add_f32_e32 v13, 1.0, v13
	v_rcp_f32_e32 v13, v13
	s_nop 0
	v_fma_f32 v13, v13, -2.0, 1.0
.LBB574_21:                             ;   in Loop: Header=BB574_3 Depth=1
	s_andn2_saveexec_b64 s[20:21], s[20:21]
; %bb.22:                               ;   in Loop: Header=BB574_3 Depth=1
	v_mul_f32_e32 v13, v12, v12
	v_fmamk_f32 v14, v13, 0xbbbac73d, v18
	v_fmaak_f32 v14, v13, v14, 0xbd5c1c4e
	v_fmaak_f32 v14, v13, v14, 0x3e088382
	;; [unrolled: 1-line block ×3, first 2 shown]
	v_mul_f32_e64 v14, |v12|, v14
	v_fma_f32 v13, v13, v14, |v12|
; %bb.23:                               ;   in Loop: Header=BB574_3 Depth=1
	s_or_b64 exec, exec, s[20:21]
	v_mul_f32_e32 v14, v5, v5
	v_mul_f32_e32 v14, v5, v14
	v_fmamk_f32 v14, v14, 0x3d372713, v5
	v_mul_f32_e32 v14, 0x3f4c422a, v14
	v_cmp_nlt_f32_e64 s[20:21], |v14|, s22
                                        ; implicit-def: $vgpr15
	s_and_saveexec_b64 s[28:29], s[20:21]
	s_xor_b64 s[20:21], exec, s[28:29]
	s_cbranch_execz .LBB574_25
; %bb.24:                               ;   in Loop: Header=BB574_3 Depth=1
	v_add_f32_e64 v15, |v14|, |v14|
	v_mul_f32_e32 v20, 0x3fb8aa3b, v15
	v_rndne_f32_e32 v21, v20
	v_sub_f32_e32 v22, v20, v21
	v_fma_f32 v20, v15, s23, -v20
	v_fmac_f32_e32 v20, 0x32a5705f, v15
	v_add_f32_e32 v20, v22, v20
	v_cvt_i32_f32_e32 v21, v21
	v_exp_f32_e32 v20, v20
	v_cmp_ngt_f32_e32 vcc, s24, v15
	v_ldexp_f32 v20, v20, v21
	s_nop 0
	v_cndmask_b32_e32 v20, 0, v20, vcc
	v_cmp_nlt_f32_e32 vcc, s25, v15
	s_nop 1
	v_cndmask_b32_e32 v15, v19, v20, vcc
	v_add_f32_e32 v15, 1.0, v15
	v_rcp_f32_e32 v15, v15
	s_nop 0
	v_fma_f32 v15, v15, -2.0, 1.0
.LBB574_25:                             ;   in Loop: Header=BB574_3 Depth=1
	s_andn2_saveexec_b64 s[20:21], s[20:21]
; %bb.26:                               ;   in Loop: Header=BB574_3 Depth=1
	v_mul_f32_e32 v15, v14, v14
	v_fmamk_f32 v20, v15, 0xbbbac73d, v18
	v_fmaak_f32 v20, v15, v20, 0xbd5c1c4e
	v_fmaak_f32 v20, v15, v20, 0x3e088382
	;; [unrolled: 1-line block ×3, first 2 shown]
	v_mul_f32_e64 v20, |v14|, v20
	v_fma_f32 v15, v15, v20, |v14|
; %bb.27:                               ;   in Loop: Header=BB574_3 Depth=1
	s_or_b64 exec, exec, s[20:21]
	v_bfi_b32 v12, s26, v13, v12
	v_mul_f32_e32 v4, 0.5, v4
	v_add_f32_e32 v12, 1.0, v12
	v_mul_f32_e32 v4, v4, v12
	v_bfi_b32 v12, s26, v15, v14
	v_mul_f32_e32 v5, 0.5, v5
	v_add_f32_e32 v12, 1.0, v12
	v_mul_f32_e32 v5, v5, v12
	s_waitcnt vmcnt(0)
	;;#ASMSTART
	v_pk_mul_f32 v[0:1], v[4:5], v[0:1]
	;;#ASMEND
	v_mul_f32_e32 v4, v6, v6
	v_mul_f32_e32 v4, v6, v4
	v_fmamk_f32 v4, v4, 0x3d372713, v6
	v_mul_f32_e32 v4, 0x3f4c422a, v4
	v_cmp_nlt_f32_e64 s[20:21], |v4|, s22
                                        ; implicit-def: $vgpr5
	s_and_saveexec_b64 s[28:29], s[20:21]
	s_xor_b64 s[20:21], exec, s[28:29]
	s_cbranch_execz .LBB574_29
; %bb.28:                               ;   in Loop: Header=BB574_3 Depth=1
	v_add_f32_e64 v5, |v4|, |v4|
	v_mul_f32_e32 v12, 0x3fb8aa3b, v5
	v_rndne_f32_e32 v13, v12
	v_sub_f32_e32 v14, v12, v13
	v_fma_f32 v12, v5, s23, -v12
	v_fmac_f32_e32 v12, 0x32a5705f, v5
	v_add_f32_e32 v12, v14, v12
	v_cvt_i32_f32_e32 v13, v13
	v_exp_f32_e32 v12, v12
	v_cmp_ngt_f32_e32 vcc, s24, v5
	v_ldexp_f32 v12, v12, v13
	s_nop 0
	v_cndmask_b32_e32 v12, 0, v12, vcc
	v_cmp_nlt_f32_e32 vcc, s25, v5
	s_nop 1
	v_cndmask_b32_e32 v5, v19, v12, vcc
	v_add_f32_e32 v5, 1.0, v5
	v_rcp_f32_e32 v5, v5
	s_nop 0
	v_fma_f32 v5, v5, -2.0, 1.0
.LBB574_29:                             ;   in Loop: Header=BB574_3 Depth=1
	s_andn2_saveexec_b64 s[20:21], s[20:21]
; %bb.30:                               ;   in Loop: Header=BB574_3 Depth=1
	v_mul_f32_e32 v5, v4, v4
	v_fmamk_f32 v12, v5, 0xbbbac73d, v18
	v_fmaak_f32 v12, v5, v12, 0xbd5c1c4e
	v_fmaak_f32 v12, v5, v12, 0x3e088382
	;; [unrolled: 1-line block ×3, first 2 shown]
	v_mul_f32_e64 v12, |v4|, v12
	v_fma_f32 v5, v5, v12, |v4|
; %bb.31:                               ;   in Loop: Header=BB574_3 Depth=1
	s_or_b64 exec, exec, s[20:21]
	v_mul_f32_e32 v12, v7, v7
	v_mul_f32_e32 v12, v7, v12
	v_fmamk_f32 v12, v12, 0x3d372713, v7
	v_mul_f32_e32 v12, 0x3f4c422a, v12
	v_cmp_nlt_f32_e64 s[20:21], |v12|, s22
                                        ; implicit-def: $vgpr13
	s_and_saveexec_b64 s[28:29], s[20:21]
	s_xor_b64 s[20:21], exec, s[28:29]
	s_cbranch_execz .LBB574_33
; %bb.32:                               ;   in Loop: Header=BB574_3 Depth=1
	v_add_f32_e64 v13, |v12|, |v12|
	v_mul_f32_e32 v14, 0x3fb8aa3b, v13
	v_rndne_f32_e32 v15, v14
	v_sub_f32_e32 v20, v14, v15
	v_fma_f32 v14, v13, s23, -v14
	v_fmac_f32_e32 v14, 0x32a5705f, v13
	v_add_f32_e32 v14, v20, v14
	v_cvt_i32_f32_e32 v15, v15
	v_exp_f32_e32 v14, v14
	v_cmp_ngt_f32_e32 vcc, s24, v13
	v_ldexp_f32 v14, v14, v15
	s_nop 0
	v_cndmask_b32_e32 v14, 0, v14, vcc
	v_cmp_nlt_f32_e32 vcc, s25, v13
	s_nop 1
	v_cndmask_b32_e32 v13, v19, v14, vcc
	v_add_f32_e32 v13, 1.0, v13
	v_rcp_f32_e32 v13, v13
	s_nop 0
	v_fma_f32 v13, v13, -2.0, 1.0
.LBB574_33:                             ;   in Loop: Header=BB574_3 Depth=1
	s_andn2_saveexec_b64 s[20:21], s[20:21]
	s_cbranch_execz .LBB574_2
; %bb.34:                               ;   in Loop: Header=BB574_3 Depth=1
	v_mul_f32_e32 v13, v12, v12
	v_fmamk_f32 v14, v13, 0xbbbac73d, v18
	v_fmaak_f32 v14, v13, v14, 0xbd5c1c4e
	v_fmaak_f32 v14, v13, v14, 0x3e088382
	;; [unrolled: 1-line block ×3, first 2 shown]
	v_mul_f32_e64 v14, |v12|, v14
	v_fma_f32 v13, v13, v14, |v12|
	s_branch .LBB574_2
.LBB574_35:
	s_endpgm
	.section	.rodata,"a",@progbits
	.p2align	6, 0x0
	.amdhsa_kernel _ZN5aiter18act_and_mul_kernelIfDF16_TnPFfRKT_EXadL_ZNS_16gelu_tanh_kernelIfEEfS3_EELi8ELb0ELi0EEEvPT0_PS2_if
		.amdhsa_group_segment_fixed_size 0
		.amdhsa_private_segment_fixed_size 0
		.amdhsa_kernarg_size 280
		.amdhsa_user_sgpr_count 2
		.amdhsa_user_sgpr_dispatch_ptr 0
		.amdhsa_user_sgpr_queue_ptr 0
		.amdhsa_user_sgpr_kernarg_segment_ptr 1
		.amdhsa_user_sgpr_dispatch_id 0
		.amdhsa_user_sgpr_kernarg_preload_length 0
		.amdhsa_user_sgpr_kernarg_preload_offset 0
		.amdhsa_user_sgpr_private_segment_size 0
		.amdhsa_uses_dynamic_stack 0
		.amdhsa_enable_private_segment 0
		.amdhsa_system_sgpr_workgroup_id_x 1
		.amdhsa_system_sgpr_workgroup_id_y 0
		.amdhsa_system_sgpr_workgroup_id_z 0
		.amdhsa_system_sgpr_workgroup_info 0
		.amdhsa_system_vgpr_workitem_id 0
		.amdhsa_next_free_vgpr 27
		.amdhsa_next_free_sgpr 30
		.amdhsa_accum_offset 28
		.amdhsa_reserve_vcc 1
		.amdhsa_float_round_mode_32 0
		.amdhsa_float_round_mode_16_64 0
		.amdhsa_float_denorm_mode_32 3
		.amdhsa_float_denorm_mode_16_64 3
		.amdhsa_dx10_clamp 1
		.amdhsa_ieee_mode 1
		.amdhsa_fp16_overflow 0
		.amdhsa_tg_split 0
		.amdhsa_exception_fp_ieee_invalid_op 0
		.amdhsa_exception_fp_denorm_src 0
		.amdhsa_exception_fp_ieee_div_zero 0
		.amdhsa_exception_fp_ieee_overflow 0
		.amdhsa_exception_fp_ieee_underflow 0
		.amdhsa_exception_fp_ieee_inexact 0
		.amdhsa_exception_int_div_zero 0
	.end_amdhsa_kernel
	.section	.text._ZN5aiter18act_and_mul_kernelIfDF16_TnPFfRKT_EXadL_ZNS_16gelu_tanh_kernelIfEEfS3_EELi8ELb0ELi0EEEvPT0_PS2_if,"axG",@progbits,_ZN5aiter18act_and_mul_kernelIfDF16_TnPFfRKT_EXadL_ZNS_16gelu_tanh_kernelIfEEfS3_EELi8ELb0ELi0EEEvPT0_PS2_if,comdat
.Lfunc_end574:
	.size	_ZN5aiter18act_and_mul_kernelIfDF16_TnPFfRKT_EXadL_ZNS_16gelu_tanh_kernelIfEEfS3_EELi8ELb0ELi0EEEvPT0_PS2_if, .Lfunc_end574-_ZN5aiter18act_and_mul_kernelIfDF16_TnPFfRKT_EXadL_ZNS_16gelu_tanh_kernelIfEEfS3_EELi8ELb0ELi0EEEvPT0_PS2_if
                                        ; -- End function
	.section	.AMDGPU.csdata,"",@progbits
; Kernel info:
; codeLenInByte = 2280
; NumSgprs: 36
; NumVgprs: 27
; NumAgprs: 0
; TotalNumVgprs: 27
; ScratchSize: 0
; MemoryBound: 0
; FloatMode: 240
; IeeeMode: 1
; LDSByteSize: 0 bytes/workgroup (compile time only)
; SGPRBlocks: 4
; VGPRBlocks: 3
; NumSGPRsForWavesPerEU: 36
; NumVGPRsForWavesPerEU: 27
; AccumOffset: 28
; Occupancy: 8
; WaveLimiterHint : 0
; COMPUTE_PGM_RSRC2:SCRATCH_EN: 0
; COMPUTE_PGM_RSRC2:USER_SGPR: 2
; COMPUTE_PGM_RSRC2:TRAP_HANDLER: 0
; COMPUTE_PGM_RSRC2:TGID_X_EN: 1
; COMPUTE_PGM_RSRC2:TGID_Y_EN: 0
; COMPUTE_PGM_RSRC2:TGID_Z_EN: 0
; COMPUTE_PGM_RSRC2:TIDIG_COMP_CNT: 0
; COMPUTE_PGM_RSRC3_GFX90A:ACCUM_OFFSET: 6
; COMPUTE_PGM_RSRC3_GFX90A:TG_SPLIT: 0
	.section	.text._ZN5aiter18act_and_mul_kernelIfDF16_TnPFfRKT_EXadL_ZNS_16gelu_tanh_kernelIfEEfS3_EELi4ELb0ELi0EEEvPT0_PS2_if,"axG",@progbits,_ZN5aiter18act_and_mul_kernelIfDF16_TnPFfRKT_EXadL_ZNS_16gelu_tanh_kernelIfEEfS3_EELi4ELb0ELi0EEEvPT0_PS2_if,comdat
	.protected	_ZN5aiter18act_and_mul_kernelIfDF16_TnPFfRKT_EXadL_ZNS_16gelu_tanh_kernelIfEEfS3_EELi4ELb0ELi0EEEvPT0_PS2_if ; -- Begin function _ZN5aiter18act_and_mul_kernelIfDF16_TnPFfRKT_EXadL_ZNS_16gelu_tanh_kernelIfEEfS3_EELi4ELb0ELi0EEEvPT0_PS2_if
	.globl	_ZN5aiter18act_and_mul_kernelIfDF16_TnPFfRKT_EXadL_ZNS_16gelu_tanh_kernelIfEEfS3_EELi4ELb0ELi0EEEvPT0_PS2_if
	.p2align	8
	.type	_ZN5aiter18act_and_mul_kernelIfDF16_TnPFfRKT_EXadL_ZNS_16gelu_tanh_kernelIfEEfS3_EELi4ELb0ELi0EEEvPT0_PS2_if,@function
_ZN5aiter18act_and_mul_kernelIfDF16_TnPFfRKT_EXadL_ZNS_16gelu_tanh_kernelIfEEfS3_EELi4ELb0ELi0EEEvPT0_PS2_if: ; @_ZN5aiter18act_and_mul_kernelIfDF16_TnPFfRKT_EXadL_ZNS_16gelu_tanh_kernelIfEEfS3_EELi4ELb0ELi0EEEvPT0_PS2_if
; %bb.0:
	s_load_dword s16, s[0:1], 0x10
	v_lshlrev_b32_e32 v8, 2, v0
	s_waitcnt lgkmcnt(0)
	v_cmp_gt_i32_e32 vcc, s16, v8
	s_and_saveexec_b64 s[4:5], vcc
	s_cbranch_execz .LBB575_19
; %bb.1:
	s_load_dwordx4 s[12:15], s[0:1], 0x0
	s_ashr_i32 s17, s16, 31
	s_mul_hi_u32 s3, s16, s2
	s_mul_i32 s4, s17, s2
	s_add_i32 s3, s3, s4
	s_mul_i32 s2, s16, s2
	s_lshl_b64 s[10:11], s[2:3], 1
	s_lshl_b64 s[2:3], s[2:3], 3
	s_waitcnt lgkmcnt(0)
	s_add_u32 s4, s14, s2
	s_addc_u32 s5, s15, s3
	s_lshl_b64 s[2:3], s[16:17], 2
	s_add_u32 s8, s4, s2
	s_addc_u32 s2, s5, s3
	s_lshl_b32 s6, s16, 2
	s_and_b32 s5, s5, 0xffff
	s_and_b32 s9, s2, 0xffff
	s_add_u32 s12, s12, s10
	s_addc_u32 s2, s13, s11
	s_add_i32 s3, s16, 1
	s_lshr_b32 s10, s3, 31
	s_add_i32 s3, s3, s10
	s_lshl_b32 s3, s3, 1
	s_and_b32 s14, s3, -4
	s_and_b32 s13, s2, 0xffff
	s_mov_b32 s7, 0x20000
	s_add_u32 s0, s0, 24
	s_mov_b32 s15, s7
	v_mov_b32_e32 v9, 0
	s_addc_u32 s1, s1, 0
	s_mov_b64 s[2:3], 0
	s_mov_b32 s19, 0
	s_mov_b32 s10, s6
	;; [unrolled: 1-line block ×7, first 2 shown]
	v_mov_b32_e32 v10, 0x3ca908c9
	s_brev_b32 s26, -2
	v_mov_b32_e32 v11, 0x7f800000
                                        ; implicit-def: $vgpr0
                                        ; implicit-def: $vgpr0
	;; [unrolled: 1-line block ×3, first 2 shown]
	s_branch .LBB575_3
.LBB575_2:                              ;   in Loop: Header=BB575_3 Depth=1
	s_or_b64 exec, exec, s[20:21]
	v_bfi_b32 v4, s26, v5, v4
	v_mul_f32_e32 v6, 0.5, v6
	v_add_f32_e32 v4, 1.0, v4
	v_mul_f32_e32 v4, v6, v4
	v_bfi_b32 v6, s26, v13, v12
	v_mul_f32_e32 v5, 0.5, v7
	v_add_f32_e32 v6, 1.0, v6
	v_mul_f32_e32 v5, v5, v6
	;;#ASMSTART
	v_pk_mul_f32 v[2:3], v[4:5], v[2:3]
	;;#ASMEND
	s_load_dword s18, s[0:1], 0xc
	v_cvt_f16_f32_e32 v2, v2
	v_cvt_f16_f32_e32 v3, v3
	;; [unrolled: 1-line block ×4, first 2 shown]
	s_waitcnt lgkmcnt(0)
	s_and_b32 s18, s18, 0xffff
	s_lshl_b32 s18, s18, 2
	v_pack_b32_f16 v1, v2, v3
	v_lshlrev_b32_e32 v2, 1, v8
	v_lshl_add_u64 v[8:9], s[18:19], 0, v[8:9]
	v_cmp_le_i64_e32 vcc, s[16:17], v[8:9]
	v_pack_b32_f16 v0, v0, v4
	s_or_b64 s[2:3], vcc, s[2:3]
	buffer_store_dwordx2 v[0:1], v2, s[12:15], 0 offen
	s_andn2_b64 exec, exec, s[2:3]
	s_cbranch_execz .LBB575_19
.LBB575_3:                              ; =>This Inner Loop Header: Depth=1
	v_lshlrev_b32_e32 v12, 2, v8
	buffer_load_dwordx4 v[4:7], v12, s[4:7], 0 offen
	buffer_load_dwordx4 v[0:3], v12, s[8:11], 0 offen
                                        ; implicit-def: $vgpr13
	s_waitcnt vmcnt(1)
	v_mul_f32_e32 v12, v4, v4
	v_mul_f32_e32 v12, v4, v12
	v_fmamk_f32 v12, v12, 0x3d372713, v4
	v_mul_f32_e32 v12, 0x3f4c422a, v12
	v_cmp_nlt_f32_e64 s[20:21], |v12|, s22
	s_and_saveexec_b64 s[28:29], s[20:21]
	s_xor_b64 s[20:21], exec, s[28:29]
	s_cbranch_execz .LBB575_5
; %bb.4:                                ;   in Loop: Header=BB575_3 Depth=1
	v_add_f32_e64 v13, |v12|, |v12|
	v_mul_f32_e32 v14, 0x3fb8aa3b, v13
	v_rndne_f32_e32 v15, v14
	v_sub_f32_e32 v16, v14, v15
	v_fma_f32 v14, v13, s23, -v14
	v_fmac_f32_e32 v14, 0x32a5705f, v13
	v_add_f32_e32 v14, v16, v14
	v_cvt_i32_f32_e32 v15, v15
	v_exp_f32_e32 v14, v14
	v_cmp_ngt_f32_e32 vcc, s24, v13
	v_ldexp_f32 v14, v14, v15
	s_nop 0
	v_cndmask_b32_e32 v14, 0, v14, vcc
	v_cmp_nlt_f32_e32 vcc, s25, v13
	s_nop 1
	v_cndmask_b32_e32 v13, v11, v14, vcc
	v_add_f32_e32 v13, 1.0, v13
	v_rcp_f32_e32 v13, v13
	s_nop 0
	v_fma_f32 v13, v13, -2.0, 1.0
.LBB575_5:                              ;   in Loop: Header=BB575_3 Depth=1
	s_andn2_saveexec_b64 s[20:21], s[20:21]
; %bb.6:                                ;   in Loop: Header=BB575_3 Depth=1
	v_mul_f32_e32 v13, v12, v12
	v_fmamk_f32 v14, v13, 0xbbbac73d, v10
	v_fmaak_f32 v14, v13, v14, 0xbd5c1c4e
	v_fmaak_f32 v14, v13, v14, 0x3e088382
	;; [unrolled: 1-line block ×3, first 2 shown]
	v_mul_f32_e64 v14, |v12|, v14
	v_fma_f32 v13, v13, v14, |v12|
; %bb.7:                                ;   in Loop: Header=BB575_3 Depth=1
	s_or_b64 exec, exec, s[20:21]
	v_mul_f32_e32 v14, v5, v5
	v_mul_f32_e32 v14, v5, v14
	v_fmamk_f32 v14, v14, 0x3d372713, v5
	v_mul_f32_e32 v14, 0x3f4c422a, v14
	v_cmp_nlt_f32_e64 s[20:21], |v14|, s22
                                        ; implicit-def: $vgpr15
	s_and_saveexec_b64 s[28:29], s[20:21]
	s_xor_b64 s[20:21], exec, s[28:29]
	s_cbranch_execz .LBB575_9
; %bb.8:                                ;   in Loop: Header=BB575_3 Depth=1
	v_add_f32_e64 v15, |v14|, |v14|
	v_mul_f32_e32 v16, 0x3fb8aa3b, v15
	v_rndne_f32_e32 v17, v16
	v_sub_f32_e32 v18, v16, v17
	v_fma_f32 v16, v15, s23, -v16
	v_fmac_f32_e32 v16, 0x32a5705f, v15
	v_add_f32_e32 v16, v18, v16
	v_cvt_i32_f32_e32 v17, v17
	v_exp_f32_e32 v16, v16
	v_cmp_ngt_f32_e32 vcc, s24, v15
	v_ldexp_f32 v16, v16, v17
	s_nop 0
	v_cndmask_b32_e32 v16, 0, v16, vcc
	v_cmp_nlt_f32_e32 vcc, s25, v15
	s_nop 1
	v_cndmask_b32_e32 v15, v11, v16, vcc
	v_add_f32_e32 v15, 1.0, v15
	v_rcp_f32_e32 v15, v15
	s_nop 0
	v_fma_f32 v15, v15, -2.0, 1.0
.LBB575_9:                              ;   in Loop: Header=BB575_3 Depth=1
	s_andn2_saveexec_b64 s[20:21], s[20:21]
; %bb.10:                               ;   in Loop: Header=BB575_3 Depth=1
	v_mul_f32_e32 v15, v14, v14
	v_fmamk_f32 v16, v15, 0xbbbac73d, v10
	v_fmaak_f32 v16, v15, v16, 0xbd5c1c4e
	v_fmaak_f32 v16, v15, v16, 0x3e088382
	;; [unrolled: 1-line block ×3, first 2 shown]
	v_mul_f32_e64 v16, |v14|, v16
	v_fma_f32 v15, v15, v16, |v14|
; %bb.11:                               ;   in Loop: Header=BB575_3 Depth=1
	s_or_b64 exec, exec, s[20:21]
	v_bfi_b32 v12, s26, v13, v12
	v_mul_f32_e32 v4, 0.5, v4
	v_add_f32_e32 v12, 1.0, v12
	v_mul_f32_e32 v4, v4, v12
	v_bfi_b32 v12, s26, v15, v14
	v_mul_f32_e32 v5, 0.5, v5
	v_add_f32_e32 v12, 1.0, v12
	v_mul_f32_e32 v5, v5, v12
	s_waitcnt vmcnt(0)
	;;#ASMSTART
	v_pk_mul_f32 v[0:1], v[4:5], v[0:1]
	;;#ASMEND
	v_mul_f32_e32 v4, v6, v6
	v_mul_f32_e32 v4, v6, v4
	v_fmamk_f32 v4, v4, 0x3d372713, v6
	v_mul_f32_e32 v4, 0x3f4c422a, v4
	v_cmp_nlt_f32_e64 s[20:21], |v4|, s22
                                        ; implicit-def: $vgpr5
	s_and_saveexec_b64 s[28:29], s[20:21]
	s_xor_b64 s[20:21], exec, s[28:29]
	s_cbranch_execz .LBB575_13
; %bb.12:                               ;   in Loop: Header=BB575_3 Depth=1
	v_add_f32_e64 v5, |v4|, |v4|
	v_mul_f32_e32 v12, 0x3fb8aa3b, v5
	v_rndne_f32_e32 v13, v12
	v_sub_f32_e32 v14, v12, v13
	v_fma_f32 v12, v5, s23, -v12
	v_fmac_f32_e32 v12, 0x32a5705f, v5
	v_add_f32_e32 v12, v14, v12
	v_cvt_i32_f32_e32 v13, v13
	v_exp_f32_e32 v12, v12
	v_cmp_ngt_f32_e32 vcc, s24, v5
	v_ldexp_f32 v12, v12, v13
	s_nop 0
	v_cndmask_b32_e32 v12, 0, v12, vcc
	v_cmp_nlt_f32_e32 vcc, s25, v5
	s_nop 1
	v_cndmask_b32_e32 v5, v11, v12, vcc
	v_add_f32_e32 v5, 1.0, v5
	v_rcp_f32_e32 v5, v5
	s_nop 0
	v_fma_f32 v5, v5, -2.0, 1.0
.LBB575_13:                             ;   in Loop: Header=BB575_3 Depth=1
	s_andn2_saveexec_b64 s[20:21], s[20:21]
; %bb.14:                               ;   in Loop: Header=BB575_3 Depth=1
	v_mul_f32_e32 v5, v4, v4
	v_fmamk_f32 v12, v5, 0xbbbac73d, v10
	v_fmaak_f32 v12, v5, v12, 0xbd5c1c4e
	v_fmaak_f32 v12, v5, v12, 0x3e088382
	;; [unrolled: 1-line block ×3, first 2 shown]
	v_mul_f32_e64 v12, |v4|, v12
	v_fma_f32 v5, v5, v12, |v4|
; %bb.15:                               ;   in Loop: Header=BB575_3 Depth=1
	s_or_b64 exec, exec, s[20:21]
	v_mul_f32_e32 v12, v7, v7
	v_mul_f32_e32 v12, v7, v12
	v_fmamk_f32 v12, v12, 0x3d372713, v7
	v_mul_f32_e32 v12, 0x3f4c422a, v12
	v_cmp_nlt_f32_e64 s[20:21], |v12|, s22
                                        ; implicit-def: $vgpr13
	s_and_saveexec_b64 s[28:29], s[20:21]
	s_xor_b64 s[20:21], exec, s[28:29]
	s_cbranch_execz .LBB575_17
; %bb.16:                               ;   in Loop: Header=BB575_3 Depth=1
	v_add_f32_e64 v13, |v12|, |v12|
	v_mul_f32_e32 v14, 0x3fb8aa3b, v13
	v_rndne_f32_e32 v15, v14
	v_sub_f32_e32 v16, v14, v15
	v_fma_f32 v14, v13, s23, -v14
	v_fmac_f32_e32 v14, 0x32a5705f, v13
	v_add_f32_e32 v14, v16, v14
	v_cvt_i32_f32_e32 v15, v15
	v_exp_f32_e32 v14, v14
	v_cmp_ngt_f32_e32 vcc, s24, v13
	v_ldexp_f32 v14, v14, v15
	s_nop 0
	v_cndmask_b32_e32 v14, 0, v14, vcc
	v_cmp_nlt_f32_e32 vcc, s25, v13
	s_nop 1
	v_cndmask_b32_e32 v13, v11, v14, vcc
	v_add_f32_e32 v13, 1.0, v13
	v_rcp_f32_e32 v13, v13
	s_nop 0
	v_fma_f32 v13, v13, -2.0, 1.0
.LBB575_17:                             ;   in Loop: Header=BB575_3 Depth=1
	s_andn2_saveexec_b64 s[20:21], s[20:21]
	s_cbranch_execz .LBB575_2
; %bb.18:                               ;   in Loop: Header=BB575_3 Depth=1
	v_mul_f32_e32 v13, v12, v12
	v_fmamk_f32 v14, v13, 0xbbbac73d, v10
	v_fmaak_f32 v14, v13, v14, 0xbd5c1c4e
	v_fmaak_f32 v14, v13, v14, 0x3e088382
	;; [unrolled: 1-line block ×3, first 2 shown]
	v_mul_f32_e64 v14, |v12|, v14
	v_fma_f32 v13, v13, v14, |v12|
	s_branch .LBB575_2
.LBB575_19:
	s_endpgm
	.section	.rodata,"a",@progbits
	.p2align	6, 0x0
	.amdhsa_kernel _ZN5aiter18act_and_mul_kernelIfDF16_TnPFfRKT_EXadL_ZNS_16gelu_tanh_kernelIfEEfS3_EELi4ELb0ELi0EEEvPT0_PS2_if
		.amdhsa_group_segment_fixed_size 0
		.amdhsa_private_segment_fixed_size 0
		.amdhsa_kernarg_size 280
		.amdhsa_user_sgpr_count 2
		.amdhsa_user_sgpr_dispatch_ptr 0
		.amdhsa_user_sgpr_queue_ptr 0
		.amdhsa_user_sgpr_kernarg_segment_ptr 1
		.amdhsa_user_sgpr_dispatch_id 0
		.amdhsa_user_sgpr_kernarg_preload_length 0
		.amdhsa_user_sgpr_kernarg_preload_offset 0
		.amdhsa_user_sgpr_private_segment_size 0
		.amdhsa_uses_dynamic_stack 0
		.amdhsa_enable_private_segment 0
		.amdhsa_system_sgpr_workgroup_id_x 1
		.amdhsa_system_sgpr_workgroup_id_y 0
		.amdhsa_system_sgpr_workgroup_id_z 0
		.amdhsa_system_sgpr_workgroup_info 0
		.amdhsa_system_vgpr_workitem_id 0
		.amdhsa_next_free_vgpr 19
		.amdhsa_next_free_sgpr 30
		.amdhsa_accum_offset 20
		.amdhsa_reserve_vcc 1
		.amdhsa_float_round_mode_32 0
		.amdhsa_float_round_mode_16_64 0
		.amdhsa_float_denorm_mode_32 3
		.amdhsa_float_denorm_mode_16_64 3
		.amdhsa_dx10_clamp 1
		.amdhsa_ieee_mode 1
		.amdhsa_fp16_overflow 0
		.amdhsa_tg_split 0
		.amdhsa_exception_fp_ieee_invalid_op 0
		.amdhsa_exception_fp_denorm_src 0
		.amdhsa_exception_fp_ieee_div_zero 0
		.amdhsa_exception_fp_ieee_overflow 0
		.amdhsa_exception_fp_ieee_underflow 0
		.amdhsa_exception_fp_ieee_inexact 0
		.amdhsa_exception_int_div_zero 0
	.end_amdhsa_kernel
	.section	.text._ZN5aiter18act_and_mul_kernelIfDF16_TnPFfRKT_EXadL_ZNS_16gelu_tanh_kernelIfEEfS3_EELi4ELb0ELi0EEEvPT0_PS2_if,"axG",@progbits,_ZN5aiter18act_and_mul_kernelIfDF16_TnPFfRKT_EXadL_ZNS_16gelu_tanh_kernelIfEEfS3_EELi4ELb0ELi0EEEvPT0_PS2_if,comdat
.Lfunc_end575:
	.size	_ZN5aiter18act_and_mul_kernelIfDF16_TnPFfRKT_EXadL_ZNS_16gelu_tanh_kernelIfEEfS3_EELi4ELb0ELi0EEEvPT0_PS2_if, .Lfunc_end575-_ZN5aiter18act_and_mul_kernelIfDF16_TnPFfRKT_EXadL_ZNS_16gelu_tanh_kernelIfEEfS3_EELi4ELb0ELi0EEEvPT0_PS2_if
                                        ; -- End function
	.section	.AMDGPU.csdata,"",@progbits
; Kernel info:
; codeLenInByte = 1300
; NumSgprs: 36
; NumVgprs: 19
; NumAgprs: 0
; TotalNumVgprs: 19
; ScratchSize: 0
; MemoryBound: 0
; FloatMode: 240
; IeeeMode: 1
; LDSByteSize: 0 bytes/workgroup (compile time only)
; SGPRBlocks: 4
; VGPRBlocks: 2
; NumSGPRsForWavesPerEU: 36
; NumVGPRsForWavesPerEU: 19
; AccumOffset: 20
; Occupancy: 8
; WaveLimiterHint : 0
; COMPUTE_PGM_RSRC2:SCRATCH_EN: 0
; COMPUTE_PGM_RSRC2:USER_SGPR: 2
; COMPUTE_PGM_RSRC2:TRAP_HANDLER: 0
; COMPUTE_PGM_RSRC2:TGID_X_EN: 1
; COMPUTE_PGM_RSRC2:TGID_Y_EN: 0
; COMPUTE_PGM_RSRC2:TGID_Z_EN: 0
; COMPUTE_PGM_RSRC2:TIDIG_COMP_CNT: 0
; COMPUTE_PGM_RSRC3_GFX90A:ACCUM_OFFSET: 4
; COMPUTE_PGM_RSRC3_GFX90A:TG_SPLIT: 0
	.section	.text._ZN5aiter18act_and_mul_kernelIfDF16_TnPFfRKT_EXadL_ZNS_16gelu_tanh_kernelIfEEfS3_EELi2ELb0ELi0EEEvPT0_PS2_if,"axG",@progbits,_ZN5aiter18act_and_mul_kernelIfDF16_TnPFfRKT_EXadL_ZNS_16gelu_tanh_kernelIfEEfS3_EELi2ELb0ELi0EEEvPT0_PS2_if,comdat
	.protected	_ZN5aiter18act_and_mul_kernelIfDF16_TnPFfRKT_EXadL_ZNS_16gelu_tanh_kernelIfEEfS3_EELi2ELb0ELi0EEEvPT0_PS2_if ; -- Begin function _ZN5aiter18act_and_mul_kernelIfDF16_TnPFfRKT_EXadL_ZNS_16gelu_tanh_kernelIfEEfS3_EELi2ELb0ELi0EEEvPT0_PS2_if
	.globl	_ZN5aiter18act_and_mul_kernelIfDF16_TnPFfRKT_EXadL_ZNS_16gelu_tanh_kernelIfEEfS3_EELi2ELb0ELi0EEEvPT0_PS2_if
	.p2align	8
	.type	_ZN5aiter18act_and_mul_kernelIfDF16_TnPFfRKT_EXadL_ZNS_16gelu_tanh_kernelIfEEfS3_EELi2ELb0ELi0EEEvPT0_PS2_if,@function
_ZN5aiter18act_and_mul_kernelIfDF16_TnPFfRKT_EXadL_ZNS_16gelu_tanh_kernelIfEEfS3_EELi2ELb0ELi0EEEvPT0_PS2_if: ; @_ZN5aiter18act_and_mul_kernelIfDF16_TnPFfRKT_EXadL_ZNS_16gelu_tanh_kernelIfEEfS3_EELi2ELb0ELi0EEEvPT0_PS2_if
; %bb.0:
	s_load_dword s16, s[0:1], 0x10
	v_lshlrev_b32_e32 v0, 1, v0
	s_waitcnt lgkmcnt(0)
	v_cmp_gt_i32_e32 vcc, s16, v0
	s_and_saveexec_b64 s[4:5], vcc
	s_cbranch_execz .LBB576_7
; %bb.1:
	s_load_dwordx4 s[12:15], s[0:1], 0x0
	s_ashr_i32 s17, s16, 31
	s_mul_hi_u32 s3, s16, s2
	s_mul_i32 s4, s17, s2
	s_add_i32 s3, s3, s4
	s_mul_i32 s2, s16, s2
	s_lshl_b64 s[10:11], s[2:3], 1
	s_lshl_b64 s[2:3], s[2:3], 3
	s_waitcnt lgkmcnt(0)
	s_add_u32 s4, s14, s2
	s_addc_u32 s5, s15, s3
	s_lshl_b64 s[2:3], s[16:17], 2
	s_add_u32 s8, s4, s2
	s_addc_u32 s2, s5, s3
	s_lshl_b32 s6, s16, 2
	s_and_b32 s5, s5, 0xffff
	s_and_b32 s9, s2, 0xffff
	s_add_u32 s12, s12, s10
	s_addc_u32 s2, s13, s11
	s_add_i32 s3, s16, 1
	s_lshr_b32 s10, s3, 31
	s_add_i32 s3, s3, s10
	s_lshl_b32 s3, s3, 1
	s_and_b32 s14, s3, -4
	s_and_b32 s13, s2, 0xffff
	s_mov_b32 s7, 0x20000
	s_add_u32 s0, s0, 24
	s_mov_b32 s15, s7
	v_mov_b32_e32 v1, 0
	s_addc_u32 s1, s1, 0
	s_mov_b64 s[2:3], 0
	s_mov_b32 s19, 0
	s_mov_b32 s10, s6
	;; [unrolled: 1-line block ×9, first 2 shown]
	v_mov_b32_e32 v10, 0x3ca908c9
	v_mov_b32_e32 v11, 0x7f800000
	s_brev_b32 s28, -2
                                        ; implicit-def: $vgpr2
                                        ; implicit-def: $vgpr2
	;; [unrolled: 1-line block ×3, first 2 shown]
	s_branch .LBB576_3
.LBB576_2:                              ;   in Loop: Header=BB576_3 Depth=1
	s_or_b64 exec, exec, s[24:25]
	v_add_f32_e64 v8, |v7|, |v7|
	v_mul_f32_e32 v13, 0x3fb8aa3b, v8
	v_rndne_f32_e32 v14, v13
	v_sub_f32_e32 v15, v13, v14
	v_fma_f32 v13, v8, s23, -v13
	v_fmac_f32_e32 v13, 0x32a5705f, v8
	v_add_f32_e32 v13, v15, v13
	v_cvt_i32_f32_e32 v14, v14
	v_exp_f32_e32 v13, v13
	v_cmp_ngt_f32_e32 vcc, s26, v8
	v_bfi_b32 v6, s28, v12, v6
	v_mul_f32_e32 v5, 0.5, v5
	v_ldexp_f32 v13, v13, v14
	v_cndmask_b32_e32 v13, 0, v13, vcc
	v_cmp_nlt_f32_e32 vcc, s27, v8
	v_mul_f32_e32 v4, 0.5, v4
	s_nop 0
	v_cndmask_b32_e32 v8, v11, v13, vcc
	v_add_f32_e32 v8, 1.0, v8
	v_fmamk_f32 v13, v9, 0xbbbac73d, v10
	v_rcp_f32_e32 v8, v8
	v_fmaak_f32 v13, v9, v13, 0xbd5c1c4e
	v_fmaak_f32 v13, v9, v13, 0x3e088382
	;; [unrolled: 1-line block ×3, first 2 shown]
	v_mul_f32_e64 v13, |v7|, v13
	v_fma_f32 v8, v8, -2.0, 1.0
	v_fma_f32 v9, v9, v13, |v7|
	v_cmp_lt_f32_e64 vcc, |v7|, s21
	s_nop 1
	v_cndmask_b32_e32 v8, v8, v9, vcc
	v_bfi_b32 v7, s28, v8, v7
	v_pk_add_f32 v[6:7], v[6:7], 1.0 op_sel_hi:[1,0]
	s_nop 0
	v_pk_mul_f32 v[4:5], v[4:5], v[6:7]
	s_waitcnt vmcnt(0)
	;;#ASMSTART
	v_pk_mul_f32 v[2:3], v[4:5], v[2:3]
	;;#ASMEND
	s_load_dword s18, s[0:1], 0xc
	v_cvt_f16_f32_e32 v2, v2
	v_cvt_f16_f32_e32 v3, v3
	s_waitcnt lgkmcnt(0)
	s_and_b32 s18, s18, 0xffff
	s_lshl_b32 s18, s18, 1
	v_pack_b32_f16 v2, v2, v3
	v_lshlrev_b32_e32 v3, 1, v0
	v_lshl_add_u64 v[0:1], s[18:19], 0, v[0:1]
	v_cmp_le_i64_e32 vcc, s[16:17], v[0:1]
	s_or_b64 s[2:3], vcc, s[2:3]
	buffer_store_dword v2, v3, s[12:15], 0 offen
	s_andn2_b64 exec, exec, s[2:3]
	s_cbranch_execz .LBB576_7
.LBB576_3:                              ; =>This Inner Loop Header: Depth=1
	v_lshlrev_b32_e32 v6, 2, v0
	buffer_load_dwordx2 v[4:5], v6, s[4:7], 0 offen
	buffer_load_dwordx2 v[2:3], v6, s[8:11], 0 offen
                                        ; implicit-def: $vgpr12
	s_waitcnt vmcnt(1)
	v_pk_mul_f32 v[6:7], v[4:5], v[4:5]
	s_nop 0
	v_pk_mul_f32 v[6:7], v[6:7], v[4:5]
	s_nop 0
	v_pk_fma_f32 v[6:7], v[6:7], s[20:21], v[4:5] op_sel_hi:[1,0,1]
	s_nop 0
	v_pk_mul_f32 v[6:7], v[6:7], s[22:23] op_sel_hi:[1,0]
	s_nop 0
	v_cmp_nlt_f32_e64 s[24:25], |v6|, s21
	s_and_saveexec_b64 s[30:31], s[24:25]
	s_xor_b64 s[24:25], exec, s[30:31]
	s_cbranch_execz .LBB576_5
; %bb.4:                                ;   in Loop: Header=BB576_3 Depth=1
	v_add_f32_e64 v8, |v6|, |v6|
	v_mul_f32_e32 v9, 0x3fb8aa3b, v8
	v_rndne_f32_e32 v12, v9
	v_sub_f32_e32 v13, v9, v12
	v_fma_f32 v9, v8, s23, -v9
	v_fmac_f32_e32 v9, 0x32a5705f, v8
	v_add_f32_e32 v9, v13, v9
	v_cvt_i32_f32_e32 v12, v12
	v_exp_f32_e32 v9, v9
	v_cmp_ngt_f32_e32 vcc, s26, v8
	v_ldexp_f32 v9, v9, v12
	s_nop 0
	v_cndmask_b32_e32 v9, 0, v9, vcc
	v_cmp_nlt_f32_e32 vcc, s27, v8
	s_nop 1
	v_cndmask_b32_e32 v8, v11, v9, vcc
	v_add_f32_e32 v8, 1.0, v8
	v_rcp_f32_e32 v8, v8
	s_nop 0
	v_fma_f32 v12, v8, -2.0, 1.0
.LBB576_5:                              ;   in Loop: Header=BB576_3 Depth=1
	s_or_saveexec_b64 s[24:25], s[24:25]
	v_pk_mul_f32 v[8:9], v[6:7], v[6:7]
	s_xor_b64 exec, exec, s[24:25]
	s_cbranch_execz .LBB576_2
; %bb.6:                                ;   in Loop: Header=BB576_3 Depth=1
	v_fmamk_f32 v12, v8, 0xbbbac73d, v10
	v_fmaak_f32 v12, v8, v12, 0xbd5c1c4e
	v_fmaak_f32 v12, v8, v12, 0x3e088382
	;; [unrolled: 1-line block ×3, first 2 shown]
	v_mul_f32_e64 v12, |v6|, v12
	v_fma_f32 v12, v8, v12, |v6|
	s_branch .LBB576_2
.LBB576_7:
	s_endpgm
	.section	.rodata,"a",@progbits
	.p2align	6, 0x0
	.amdhsa_kernel _ZN5aiter18act_and_mul_kernelIfDF16_TnPFfRKT_EXadL_ZNS_16gelu_tanh_kernelIfEEfS3_EELi2ELb0ELi0EEEvPT0_PS2_if
		.amdhsa_group_segment_fixed_size 0
		.amdhsa_private_segment_fixed_size 0
		.amdhsa_kernarg_size 280
		.amdhsa_user_sgpr_count 2
		.amdhsa_user_sgpr_dispatch_ptr 0
		.amdhsa_user_sgpr_queue_ptr 0
		.amdhsa_user_sgpr_kernarg_segment_ptr 1
		.amdhsa_user_sgpr_dispatch_id 0
		.amdhsa_user_sgpr_kernarg_preload_length 0
		.amdhsa_user_sgpr_kernarg_preload_offset 0
		.amdhsa_user_sgpr_private_segment_size 0
		.amdhsa_uses_dynamic_stack 0
		.amdhsa_enable_private_segment 0
		.amdhsa_system_sgpr_workgroup_id_x 1
		.amdhsa_system_sgpr_workgroup_id_y 0
		.amdhsa_system_sgpr_workgroup_id_z 0
		.amdhsa_system_sgpr_workgroup_info 0
		.amdhsa_system_vgpr_workitem_id 0
		.amdhsa_next_free_vgpr 16
		.amdhsa_next_free_sgpr 32
		.amdhsa_accum_offset 16
		.amdhsa_reserve_vcc 1
		.amdhsa_float_round_mode_32 0
		.amdhsa_float_round_mode_16_64 0
		.amdhsa_float_denorm_mode_32 3
		.amdhsa_float_denorm_mode_16_64 3
		.amdhsa_dx10_clamp 1
		.amdhsa_ieee_mode 1
		.amdhsa_fp16_overflow 0
		.amdhsa_tg_split 0
		.amdhsa_exception_fp_ieee_invalid_op 0
		.amdhsa_exception_fp_denorm_src 0
		.amdhsa_exception_fp_ieee_div_zero 0
		.amdhsa_exception_fp_ieee_overflow 0
		.amdhsa_exception_fp_ieee_underflow 0
		.amdhsa_exception_fp_ieee_inexact 0
		.amdhsa_exception_int_div_zero 0
	.end_amdhsa_kernel
	.section	.text._ZN5aiter18act_and_mul_kernelIfDF16_TnPFfRKT_EXadL_ZNS_16gelu_tanh_kernelIfEEfS3_EELi2ELb0ELi0EEEvPT0_PS2_if,"axG",@progbits,_ZN5aiter18act_and_mul_kernelIfDF16_TnPFfRKT_EXadL_ZNS_16gelu_tanh_kernelIfEEfS3_EELi2ELb0ELi0EEEvPT0_PS2_if,comdat
.Lfunc_end576:
	.size	_ZN5aiter18act_and_mul_kernelIfDF16_TnPFfRKT_EXadL_ZNS_16gelu_tanh_kernelIfEEfS3_EELi2ELb0ELi0EEEvPT0_PS2_if, .Lfunc_end576-_ZN5aiter18act_and_mul_kernelIfDF16_TnPFfRKT_EXadL_ZNS_16gelu_tanh_kernelIfEEfS3_EELi2ELb0ELi0EEEvPT0_PS2_if
                                        ; -- End function
	.section	.AMDGPU.csdata,"",@progbits
; Kernel info:
; codeLenInByte = 824
; NumSgprs: 38
; NumVgprs: 16
; NumAgprs: 0
; TotalNumVgprs: 16
; ScratchSize: 0
; MemoryBound: 0
; FloatMode: 240
; IeeeMode: 1
; LDSByteSize: 0 bytes/workgroup (compile time only)
; SGPRBlocks: 4
; VGPRBlocks: 1
; NumSGPRsForWavesPerEU: 38
; NumVGPRsForWavesPerEU: 16
; AccumOffset: 16
; Occupancy: 8
; WaveLimiterHint : 0
; COMPUTE_PGM_RSRC2:SCRATCH_EN: 0
; COMPUTE_PGM_RSRC2:USER_SGPR: 2
; COMPUTE_PGM_RSRC2:TRAP_HANDLER: 0
; COMPUTE_PGM_RSRC2:TGID_X_EN: 1
; COMPUTE_PGM_RSRC2:TGID_Y_EN: 0
; COMPUTE_PGM_RSRC2:TGID_Z_EN: 0
; COMPUTE_PGM_RSRC2:TIDIG_COMP_CNT: 0
; COMPUTE_PGM_RSRC3_GFX90A:ACCUM_OFFSET: 3
; COMPUTE_PGM_RSRC3_GFX90A:TG_SPLIT: 0
	.section	.text._ZN5aiter18act_and_mul_kernelIfDF16_TnPFfRKT_EXadL_ZNS_16gelu_tanh_kernelIfEEfS3_EELi1ELb0ELi0EEEvPT0_PS2_if,"axG",@progbits,_ZN5aiter18act_and_mul_kernelIfDF16_TnPFfRKT_EXadL_ZNS_16gelu_tanh_kernelIfEEfS3_EELi1ELb0ELi0EEEvPT0_PS2_if,comdat
	.protected	_ZN5aiter18act_and_mul_kernelIfDF16_TnPFfRKT_EXadL_ZNS_16gelu_tanh_kernelIfEEfS3_EELi1ELb0ELi0EEEvPT0_PS2_if ; -- Begin function _ZN5aiter18act_and_mul_kernelIfDF16_TnPFfRKT_EXadL_ZNS_16gelu_tanh_kernelIfEEfS3_EELi1ELb0ELi0EEEvPT0_PS2_if
	.globl	_ZN5aiter18act_and_mul_kernelIfDF16_TnPFfRKT_EXadL_ZNS_16gelu_tanh_kernelIfEEfS3_EELi1ELb0ELi0EEEvPT0_PS2_if
	.p2align	8
	.type	_ZN5aiter18act_and_mul_kernelIfDF16_TnPFfRKT_EXadL_ZNS_16gelu_tanh_kernelIfEEfS3_EELi1ELb0ELi0EEEvPT0_PS2_if,@function
_ZN5aiter18act_and_mul_kernelIfDF16_TnPFfRKT_EXadL_ZNS_16gelu_tanh_kernelIfEEfS3_EELi1ELb0ELi0EEEvPT0_PS2_if: ; @_ZN5aiter18act_and_mul_kernelIfDF16_TnPFfRKT_EXadL_ZNS_16gelu_tanh_kernelIfEEfS3_EELi1ELb0ELi0EEEvPT0_PS2_if
; %bb.0:
	s_load_dword s12, s[0:1], 0x10
	s_waitcnt lgkmcnt(0)
	v_cmp_gt_i32_e32 vcc, s12, v0
	s_and_saveexec_b64 s[4:5], vcc
	s_cbranch_execz .LBB577_7
; %bb.1:
	s_load_dwordx4 s[8:11], s[0:1], 0x0
	s_load_dword s14, s[0:1], 0x24
	s_ashr_i32 s13, s12, 31
	s_mul_hi_u32 s3, s12, s2
	s_mul_i32 s4, s13, s2
	s_add_i32 s3, s3, s4
	s_mul_i32 s2, s12, s2
	s_lshl_b64 s[6:7], s[2:3], 1
	s_lshl_b64 s[2:3], s[2:3], 3
	s_waitcnt lgkmcnt(0)
	s_add_u32 s0, s10, s2
	s_addc_u32 s1, s11, s3
	s_lshl_b64 s[2:3], s[12:13], 2
	s_add_u32 s4, s0, s2
	s_addc_u32 s5, s1, s3
	s_lshl_b32 s2, s12, 2
	s_and_b32 s1, s1, 0xffff
	s_and_b32 s5, s5, 0xffff
	s_add_u32 s8, s8, s6
	s_addc_u32 s6, s9, s7
	s_add_i32 s7, s12, 1
	s_lshr_b32 s9, s7, 31
	s_add_i32 s7, s7, s9
	s_mov_b32 s3, 0x20000
	s_lshl_b32 s7, s7, 1
	s_and_b32 s14, s14, 0xffff
                                        ; implicit-def: $vgpr5
                                        ; implicit-def: $vgpr5
	;; [unrolled: 1-line block ×3, first 2 shown]
	s_and_b32 s10, s7, -4
	s_and_b32 s9, s6, 0xffff
	s_mov_b32 s11, s3
	s_mov_b32 s15, 0
	v_mov_b32_e32 v1, 0
	v_lshlrev_b32_e32 v2, 1, v0
	s_lshl_b32 s20, s14, 1
	v_lshlrev_b32_e32 v3, 2, v0
	s_lshl_b32 s21, s14, 2
	s_mov_b64 s[16:17], 0
	s_mov_b32 s6, s2
	s_mov_b32 s7, s3
	;; [unrolled: 1-line block ×6, first 2 shown]
	v_mov_b32_e32 v4, 0x3ca908c9
	s_brev_b32 s26, -2
	v_mov_b32_e32 v5, 0x7f800000
	s_branch .LBB577_3
.LBB577_2:                              ;   in Loop: Header=BB577_3 Depth=1
	s_or_b64 exec, exec, s[18:19]
	v_bfi_b32 v8, s26, v9, v8
	v_mul_f32_e32 v7, 0.5, v7
	v_add_f32_e32 v8, 1.0, v8
	v_mul_f32_e32 v7, v7, v8
	v_lshl_add_u64 v[0:1], v[0:1], 0, s[14:15]
	s_waitcnt vmcnt(0)
	v_fma_mixlo_f16 v6, v7, v6, 0
	v_cmp_le_i64_e32 vcc, s[12:13], v[0:1]
	buffer_store_short v6, v2, s[8:11], 0 offen
	v_add_u32_e32 v2, s20, v2
	s_or_b64 s[16:17], vcc, s[16:17]
	v_add_u32_e32 v3, s21, v3
	s_andn2_b64 exec, exec, s[16:17]
	s_cbranch_execz .LBB577_7
.LBB577_3:                              ; =>This Inner Loop Header: Depth=1
	buffer_load_dword v7, v3, s[0:3], 0 offen
	buffer_load_dword v6, v3, s[4:7], 0 offen
                                        ; implicit-def: $vgpr9
	s_waitcnt vmcnt(1)
	v_mul_f32_e32 v8, v7, v7
	v_mul_f32_e32 v8, v8, v7
	v_fmamk_f32 v8, v8, 0x3d372713, v7
	v_mul_f32_e32 v8, 0x3f4c422a, v8
	v_cmp_nlt_f32_e64 s[18:19], |v8|, s22
	s_and_saveexec_b64 s[28:29], s[18:19]
	s_xor_b64 s[18:19], exec, s[28:29]
	s_cbranch_execz .LBB577_5
; %bb.4:                                ;   in Loop: Header=BB577_3 Depth=1
	v_add_f32_e64 v9, |v8|, |v8|
	v_mul_f32_e32 v10, 0x3fb8aa3b, v9
	v_rndne_f32_e32 v11, v10
	v_sub_f32_e32 v12, v10, v11
	v_fma_f32 v10, v9, s23, -v10
	v_fmac_f32_e32 v10, 0x32a5705f, v9
	v_add_f32_e32 v10, v12, v10
	v_cvt_i32_f32_e32 v11, v11
	v_exp_f32_e32 v10, v10
	v_cmp_ngt_f32_e32 vcc, s24, v9
	v_ldexp_f32 v10, v10, v11
	s_nop 0
	v_cndmask_b32_e32 v10, 0, v10, vcc
	v_cmp_nlt_f32_e32 vcc, s25, v9
	s_nop 1
	v_cndmask_b32_e32 v9, v5, v10, vcc
	v_add_f32_e32 v9, 1.0, v9
	v_rcp_f32_e32 v9, v9
	s_nop 0
	v_fma_f32 v9, v9, -2.0, 1.0
.LBB577_5:                              ;   in Loop: Header=BB577_3 Depth=1
	s_andn2_saveexec_b64 s[18:19], s[18:19]
	s_cbranch_execz .LBB577_2
; %bb.6:                                ;   in Loop: Header=BB577_3 Depth=1
	v_mul_f32_e32 v9, v8, v8
	v_fmamk_f32 v10, v9, 0xbbbac73d, v4
	v_fmaak_f32 v10, v9, v10, 0xbd5c1c4e
	v_fmaak_f32 v10, v9, v10, 0x3e088382
	;; [unrolled: 1-line block ×3, first 2 shown]
	v_mul_f32_e64 v10, |v8|, v10
	v_fma_f32 v9, v9, v10, |v8|
	s_branch .LBB577_2
.LBB577_7:
	s_endpgm
	.section	.rodata,"a",@progbits
	.p2align	6, 0x0
	.amdhsa_kernel _ZN5aiter18act_and_mul_kernelIfDF16_TnPFfRKT_EXadL_ZNS_16gelu_tanh_kernelIfEEfS3_EELi1ELb0ELi0EEEvPT0_PS2_if
		.amdhsa_group_segment_fixed_size 0
		.amdhsa_private_segment_fixed_size 0
		.amdhsa_kernarg_size 280
		.amdhsa_user_sgpr_count 2
		.amdhsa_user_sgpr_dispatch_ptr 0
		.amdhsa_user_sgpr_queue_ptr 0
		.amdhsa_user_sgpr_kernarg_segment_ptr 1
		.amdhsa_user_sgpr_dispatch_id 0
		.amdhsa_user_sgpr_kernarg_preload_length 0
		.amdhsa_user_sgpr_kernarg_preload_offset 0
		.amdhsa_user_sgpr_private_segment_size 0
		.amdhsa_uses_dynamic_stack 0
		.amdhsa_enable_private_segment 0
		.amdhsa_system_sgpr_workgroup_id_x 1
		.amdhsa_system_sgpr_workgroup_id_y 0
		.amdhsa_system_sgpr_workgroup_id_z 0
		.amdhsa_system_sgpr_workgroup_info 0
		.amdhsa_system_vgpr_workitem_id 0
		.amdhsa_next_free_vgpr 13
		.amdhsa_next_free_sgpr 30
		.amdhsa_accum_offset 16
		.amdhsa_reserve_vcc 1
		.amdhsa_float_round_mode_32 0
		.amdhsa_float_round_mode_16_64 0
		.amdhsa_float_denorm_mode_32 3
		.amdhsa_float_denorm_mode_16_64 3
		.amdhsa_dx10_clamp 1
		.amdhsa_ieee_mode 1
		.amdhsa_fp16_overflow 0
		.amdhsa_tg_split 0
		.amdhsa_exception_fp_ieee_invalid_op 0
		.amdhsa_exception_fp_denorm_src 0
		.amdhsa_exception_fp_ieee_div_zero 0
		.amdhsa_exception_fp_ieee_overflow 0
		.amdhsa_exception_fp_ieee_underflow 0
		.amdhsa_exception_fp_ieee_inexact 0
		.amdhsa_exception_int_div_zero 0
	.end_amdhsa_kernel
	.section	.text._ZN5aiter18act_and_mul_kernelIfDF16_TnPFfRKT_EXadL_ZNS_16gelu_tanh_kernelIfEEfS3_EELi1ELb0ELi0EEEvPT0_PS2_if,"axG",@progbits,_ZN5aiter18act_and_mul_kernelIfDF16_TnPFfRKT_EXadL_ZNS_16gelu_tanh_kernelIfEEfS3_EELi1ELb0ELi0EEEvPT0_PS2_if,comdat
.Lfunc_end577:
	.size	_ZN5aiter18act_and_mul_kernelIfDF16_TnPFfRKT_EXadL_ZNS_16gelu_tanh_kernelIfEEfS3_EELi1ELb0ELi0EEEvPT0_PS2_if, .Lfunc_end577-_ZN5aiter18act_and_mul_kernelIfDF16_TnPFfRKT_EXadL_ZNS_16gelu_tanh_kernelIfEEfS3_EELi1ELb0ELi0EEEvPT0_PS2_if
                                        ; -- End function
	.section	.AMDGPU.csdata,"",@progbits
; Kernel info:
; codeLenInByte = 572
; NumSgprs: 36
; NumVgprs: 13
; NumAgprs: 0
; TotalNumVgprs: 13
; ScratchSize: 0
; MemoryBound: 0
; FloatMode: 240
; IeeeMode: 1
; LDSByteSize: 0 bytes/workgroup (compile time only)
; SGPRBlocks: 4
; VGPRBlocks: 1
; NumSGPRsForWavesPerEU: 36
; NumVGPRsForWavesPerEU: 13
; AccumOffset: 16
; Occupancy: 8
; WaveLimiterHint : 0
; COMPUTE_PGM_RSRC2:SCRATCH_EN: 0
; COMPUTE_PGM_RSRC2:USER_SGPR: 2
; COMPUTE_PGM_RSRC2:TRAP_HANDLER: 0
; COMPUTE_PGM_RSRC2:TGID_X_EN: 1
; COMPUTE_PGM_RSRC2:TGID_Y_EN: 0
; COMPUTE_PGM_RSRC2:TGID_Z_EN: 0
; COMPUTE_PGM_RSRC2:TIDIG_COMP_CNT: 0
; COMPUTE_PGM_RSRC3_GFX90A:ACCUM_OFFSET: 3
; COMPUTE_PGM_RSRC3_GFX90A:TG_SPLIT: 0
	.section	.text._ZN5aiter18act_and_mul_kernelIffTnPFfRKT_EXadL_ZNS_16gelu_tanh_kernelIfEEfS3_EELi16ELb0ELi0EEEvPT0_PS2_if,"axG",@progbits,_ZN5aiter18act_and_mul_kernelIffTnPFfRKT_EXadL_ZNS_16gelu_tanh_kernelIfEEfS3_EELi16ELb0ELi0EEEvPT0_PS2_if,comdat
	.protected	_ZN5aiter18act_and_mul_kernelIffTnPFfRKT_EXadL_ZNS_16gelu_tanh_kernelIfEEfS3_EELi16ELb0ELi0EEEvPT0_PS2_if ; -- Begin function _ZN5aiter18act_and_mul_kernelIffTnPFfRKT_EXadL_ZNS_16gelu_tanh_kernelIfEEfS3_EELi16ELb0ELi0EEEvPT0_PS2_if
	.globl	_ZN5aiter18act_and_mul_kernelIffTnPFfRKT_EXadL_ZNS_16gelu_tanh_kernelIfEEfS3_EELi16ELb0ELi0EEEvPT0_PS2_if
	.p2align	8
	.type	_ZN5aiter18act_and_mul_kernelIffTnPFfRKT_EXadL_ZNS_16gelu_tanh_kernelIfEEfS3_EELi16ELb0ELi0EEEvPT0_PS2_if,@function
_ZN5aiter18act_and_mul_kernelIffTnPFfRKT_EXadL_ZNS_16gelu_tanh_kernelIfEEfS3_EELi16ELb0ELi0EEEvPT0_PS2_if: ; @_ZN5aiter18act_and_mul_kernelIffTnPFfRKT_EXadL_ZNS_16gelu_tanh_kernelIfEEfS3_EELi16ELb0ELi0EEEvPT0_PS2_if
; %bb.0:
	s_load_dword s16, s[0:1], 0x10
	v_lshlrev_b32_e32 v32, 4, v0
	s_waitcnt lgkmcnt(0)
	v_cmp_gt_i32_e32 vcc, s16, v32
	s_and_saveexec_b64 s[4:5], vcc
	s_cbranch_execz .LBB578_67
; %bb.1:
	s_load_dwordx4 s[12:15], s[0:1], 0x0
	s_ashr_i32 s17, s16, 31
	s_mul_hi_u32 s3, s16, s2
	s_mul_i32 s4, s17, s2
	s_add_i32 s3, s3, s4
	s_mul_i32 s2, s16, s2
	s_lshl_b64 s[4:5], s[2:3], 3
	s_waitcnt lgkmcnt(0)
	s_add_u32 s4, s14, s4
	s_addc_u32 s5, s15, s5
	s_lshl_b64 s[6:7], s[16:17], 2
	s_add_u32 s8, s4, s6
	s_addc_u32 s9, s5, s7
	s_lshl_b32 s6, s16, 2
	s_and_b32 s5, s5, 0xffff
	s_and_b32 s9, s9, 0xffff
	s_lshl_b64 s[2:3], s[2:3], 2
	s_add_u32 s12, s12, s2
	s_addc_u32 s2, s13, s3
	s_and_b32 s13, s2, 0xffff
	s_mov_b32 s7, 0x20000
	s_add_u32 s0, s0, 24
	v_mov_b32_e32 v33, 0
	s_addc_u32 s1, s1, 0
	s_mov_b64 s[2:3], 0
	s_mov_b32 s19, 0
	s_mov_b32 s10, s6
	;; [unrolled: 1-line block ×7, first 2 shown]
	v_mov_b32_e32 v34, 0x3ca908c9
	s_brev_b32 s26, -2
	v_mov_b32_e32 v35, 0x7f800000
	s_mov_b32 s14, s6
	s_mov_b32 s15, s7
                                        ; implicit-def: $vgpr0
                                        ; implicit-def: $vgpr0
	;; [unrolled: 1-line block ×3, first 2 shown]
	s_branch .LBB578_3
.LBB578_2:                              ;   in Loop: Header=BB578_3 Depth=1
	s_or_b64 exec, exec, s[20:21]
	v_bfi_b32 v4, s26, v5, v4
	v_mul_f32_e32 v6, 0.5, v6
	v_add_f32_e32 v4, 1.0, v4
	v_mul_f32_e32 v4, v6, v4
	v_bfi_b32 v6, s26, v17, v16
	v_mul_f32_e32 v5, 0.5, v7
	v_add_f32_e32 v6, 1.0, v6
	v_mul_f32_e32 v5, v5, v6
	;;#ASMSTART
	v_pk_mul_f32 v[2:3], v[4:5], v[2:3]
	;;#ASMEND
	s_load_dword s18, s[0:1], 0xc
	buffer_store_dwordx4 v[8:11], v36, s[12:15], 0 offen
	buffer_store_dwordx4 v[20:23], v36, s[12:15], 16 offen
	;; [unrolled: 1-line block ×4, first 2 shown]
	s_waitcnt lgkmcnt(0)
	s_and_b32 s18, s18, 0xffff
	s_lshl_b32 s18, s18, 4
	v_lshl_add_u64 v[32:33], s[18:19], 0, v[32:33]
	v_cmp_le_i64_e32 vcc, s[16:17], v[32:33]
	s_or_b64 s[2:3], vcc, s[2:3]
	s_andn2_b64 exec, exec, s[2:3]
	s_cbranch_execz .LBB578_67
.LBB578_3:                              ; =>This Inner Loop Header: Depth=1
	v_lshlrev_b32_e32 v36, 2, v32
	buffer_load_dwordx4 v[28:31], v36, s[4:7], 0 offen
	buffer_load_dwordx4 v[24:27], v36, s[4:7], 16 offen
	;; [unrolled: 1-line block ×8, first 2 shown]
                                        ; implicit-def: $vgpr38
	s_waitcnt vmcnt(7)
	v_mul_f32_e32 v37, v28, v28
	v_mul_f32_e32 v37, v28, v37
	v_fmamk_f32 v37, v37, 0x3d372713, v28
	v_mul_f32_e32 v37, 0x3f4c422a, v37
	v_cmp_nlt_f32_e64 s[20:21], |v37|, s22
	s_and_saveexec_b64 s[28:29], s[20:21]
	s_xor_b64 s[20:21], exec, s[28:29]
	s_cbranch_execz .LBB578_5
; %bb.4:                                ;   in Loop: Header=BB578_3 Depth=1
	v_add_f32_e64 v38, |v37|, |v37|
	v_mul_f32_e32 v39, 0x3fb8aa3b, v38
	v_rndne_f32_e32 v40, v39
	v_sub_f32_e32 v41, v39, v40
	v_fma_f32 v39, v38, s23, -v39
	v_fmac_f32_e32 v39, 0x32a5705f, v38
	v_add_f32_e32 v39, v41, v39
	v_cvt_i32_f32_e32 v40, v40
	v_exp_f32_e32 v39, v39
	v_cmp_ngt_f32_e32 vcc, s24, v38
	v_ldexp_f32 v39, v39, v40
	s_nop 0
	v_cndmask_b32_e32 v39, 0, v39, vcc
	v_cmp_nlt_f32_e32 vcc, s25, v38
	s_nop 1
	v_cndmask_b32_e32 v38, v35, v39, vcc
	v_add_f32_e32 v38, 1.0, v38
	v_rcp_f32_e32 v38, v38
	s_nop 0
	v_fma_f32 v38, v38, -2.0, 1.0
.LBB578_5:                              ;   in Loop: Header=BB578_3 Depth=1
	s_andn2_saveexec_b64 s[20:21], s[20:21]
; %bb.6:                                ;   in Loop: Header=BB578_3 Depth=1
	v_mul_f32_e32 v38, v37, v37
	v_fmamk_f32 v39, v38, 0xbbbac73d, v34
	v_fmaak_f32 v39, v38, v39, 0xbd5c1c4e
	v_fmaak_f32 v39, v38, v39, 0x3e088382
	v_fmaak_f32 v39, v38, v39, 0xbeaaaa99
	v_mul_f32_e64 v39, |v37|, v39
	v_fma_f32 v38, v38, v39, |v37|
; %bb.7:                                ;   in Loop: Header=BB578_3 Depth=1
	s_or_b64 exec, exec, s[20:21]
	v_mul_f32_e32 v39, v29, v29
	v_mul_f32_e32 v39, v29, v39
	v_fmamk_f32 v39, v39, 0x3d372713, v29
	v_mul_f32_e32 v39, 0x3f4c422a, v39
	v_cmp_nlt_f32_e64 s[20:21], |v39|, s22
                                        ; implicit-def: $vgpr40
	s_and_saveexec_b64 s[28:29], s[20:21]
	s_xor_b64 s[20:21], exec, s[28:29]
	s_cbranch_execz .LBB578_9
; %bb.8:                                ;   in Loop: Header=BB578_3 Depth=1
	v_add_f32_e64 v40, |v39|, |v39|
	v_mul_f32_e32 v41, 0x3fb8aa3b, v40
	v_rndne_f32_e32 v42, v41
	v_sub_f32_e32 v43, v41, v42
	v_fma_f32 v41, v40, s23, -v41
	v_fmac_f32_e32 v41, 0x32a5705f, v40
	v_add_f32_e32 v41, v43, v41
	v_cvt_i32_f32_e32 v42, v42
	v_exp_f32_e32 v41, v41
	v_cmp_ngt_f32_e32 vcc, s24, v40
	v_ldexp_f32 v41, v41, v42
	s_nop 0
	v_cndmask_b32_e32 v41, 0, v41, vcc
	v_cmp_nlt_f32_e32 vcc, s25, v40
	s_nop 1
	v_cndmask_b32_e32 v40, v35, v41, vcc
	v_add_f32_e32 v40, 1.0, v40
	v_rcp_f32_e32 v40, v40
	s_nop 0
	v_fma_f32 v40, v40, -2.0, 1.0
.LBB578_9:                              ;   in Loop: Header=BB578_3 Depth=1
	s_andn2_saveexec_b64 s[20:21], s[20:21]
; %bb.10:                               ;   in Loop: Header=BB578_3 Depth=1
	v_mul_f32_e32 v40, v39, v39
	v_fmamk_f32 v41, v40, 0xbbbac73d, v34
	v_fmaak_f32 v41, v40, v41, 0xbd5c1c4e
	v_fmaak_f32 v41, v40, v41, 0x3e088382
	v_fmaak_f32 v41, v40, v41, 0xbeaaaa99
	v_mul_f32_e64 v41, |v39|, v41
	v_fma_f32 v40, v40, v41, |v39|
; %bb.11:                               ;   in Loop: Header=BB578_3 Depth=1
	s_or_b64 exec, exec, s[20:21]
	v_bfi_b32 v37, s26, v38, v37
	v_mul_f32_e32 v28, 0.5, v28
	v_add_f32_e32 v37, 1.0, v37
	v_mul_f32_e32 v28, v28, v37
	v_bfi_b32 v37, s26, v40, v39
	v_mul_f32_e32 v29, 0.5, v29
	v_add_f32_e32 v37, 1.0, v37
	v_mul_f32_e32 v29, v29, v37
	s_waitcnt vmcnt(3)
	;;#ASMSTART
	v_pk_mul_f32 v[8:9], v[28:29], v[8:9]
	;;#ASMEND
	v_mul_f32_e32 v28, v30, v30
	v_mul_f32_e32 v28, v30, v28
	v_fmamk_f32 v28, v28, 0x3d372713, v30
	v_mul_f32_e32 v28, 0x3f4c422a, v28
	v_cmp_nlt_f32_e64 s[20:21], |v28|, s22
                                        ; implicit-def: $vgpr29
	s_and_saveexec_b64 s[28:29], s[20:21]
	s_xor_b64 s[20:21], exec, s[28:29]
	s_cbranch_execz .LBB578_13
; %bb.12:                               ;   in Loop: Header=BB578_3 Depth=1
	v_add_f32_e64 v29, |v28|, |v28|
	v_mul_f32_e32 v37, 0x3fb8aa3b, v29
	v_rndne_f32_e32 v38, v37
	v_sub_f32_e32 v39, v37, v38
	v_fma_f32 v37, v29, s23, -v37
	v_fmac_f32_e32 v37, 0x32a5705f, v29
	v_add_f32_e32 v37, v39, v37
	v_cvt_i32_f32_e32 v38, v38
	v_exp_f32_e32 v37, v37
	v_cmp_ngt_f32_e32 vcc, s24, v29
	v_ldexp_f32 v37, v37, v38
	s_nop 0
	v_cndmask_b32_e32 v37, 0, v37, vcc
	v_cmp_nlt_f32_e32 vcc, s25, v29
	s_nop 1
	v_cndmask_b32_e32 v29, v35, v37, vcc
	v_add_f32_e32 v29, 1.0, v29
	v_rcp_f32_e32 v29, v29
	s_nop 0
	v_fma_f32 v29, v29, -2.0, 1.0
.LBB578_13:                             ;   in Loop: Header=BB578_3 Depth=1
	s_andn2_saveexec_b64 s[20:21], s[20:21]
; %bb.14:                               ;   in Loop: Header=BB578_3 Depth=1
	v_mul_f32_e32 v29, v28, v28
	v_fmamk_f32 v37, v29, 0xbbbac73d, v34
	v_fmaak_f32 v37, v29, v37, 0xbd5c1c4e
	v_fmaak_f32 v37, v29, v37, 0x3e088382
	;; [unrolled: 1-line block ×3, first 2 shown]
	v_mul_f32_e64 v37, |v28|, v37
	v_fma_f32 v29, v29, v37, |v28|
; %bb.15:                               ;   in Loop: Header=BB578_3 Depth=1
	s_or_b64 exec, exec, s[20:21]
	v_mul_f32_e32 v37, v31, v31
	v_mul_f32_e32 v37, v31, v37
	v_fmamk_f32 v37, v37, 0x3d372713, v31
	v_mul_f32_e32 v37, 0x3f4c422a, v37
	v_cmp_nlt_f32_e64 s[20:21], |v37|, s22
                                        ; implicit-def: $vgpr38
	s_and_saveexec_b64 s[28:29], s[20:21]
	s_xor_b64 s[20:21], exec, s[28:29]
	s_cbranch_execz .LBB578_17
; %bb.16:                               ;   in Loop: Header=BB578_3 Depth=1
	v_add_f32_e64 v38, |v37|, |v37|
	v_mul_f32_e32 v39, 0x3fb8aa3b, v38
	v_rndne_f32_e32 v40, v39
	v_sub_f32_e32 v41, v39, v40
	v_fma_f32 v39, v38, s23, -v39
	v_fmac_f32_e32 v39, 0x32a5705f, v38
	v_add_f32_e32 v39, v41, v39
	v_cvt_i32_f32_e32 v40, v40
	v_exp_f32_e32 v39, v39
	v_cmp_ngt_f32_e32 vcc, s24, v38
	v_ldexp_f32 v39, v39, v40
	s_nop 0
	v_cndmask_b32_e32 v39, 0, v39, vcc
	v_cmp_nlt_f32_e32 vcc, s25, v38
	s_nop 1
	v_cndmask_b32_e32 v38, v35, v39, vcc
	v_add_f32_e32 v38, 1.0, v38
	v_rcp_f32_e32 v38, v38
	s_nop 0
	v_fma_f32 v38, v38, -2.0, 1.0
.LBB578_17:                             ;   in Loop: Header=BB578_3 Depth=1
	s_andn2_saveexec_b64 s[20:21], s[20:21]
; %bb.18:                               ;   in Loop: Header=BB578_3 Depth=1
	v_mul_f32_e32 v38, v37, v37
	v_fmamk_f32 v39, v38, 0xbbbac73d, v34
	v_fmaak_f32 v39, v38, v39, 0xbd5c1c4e
	v_fmaak_f32 v39, v38, v39, 0x3e088382
	;; [unrolled: 1-line block ×3, first 2 shown]
	v_mul_f32_e64 v39, |v37|, v39
	v_fma_f32 v38, v38, v39, |v37|
; %bb.19:                               ;   in Loop: Header=BB578_3 Depth=1
	s_or_b64 exec, exec, s[20:21]
	v_bfi_b32 v28, s26, v29, v28
	v_mul_f32_e32 v30, 0.5, v30
	v_add_f32_e32 v28, 1.0, v28
	v_mul_f32_e32 v28, v30, v28
	v_bfi_b32 v30, s26, v38, v37
	v_mul_f32_e32 v29, 0.5, v31
	v_add_f32_e32 v30, 1.0, v30
	v_mul_f32_e32 v29, v29, v30
	;;#ASMSTART
	v_pk_mul_f32 v[10:11], v[28:29], v[10:11]
	;;#ASMEND
	v_mul_f32_e32 v28, v24, v24
	v_mul_f32_e32 v28, v24, v28
	v_fmamk_f32 v28, v28, 0x3d372713, v24
	v_mul_f32_e32 v28, 0x3f4c422a, v28
	v_cmp_nlt_f32_e64 s[20:21], |v28|, s22
                                        ; implicit-def: $vgpr29
	s_and_saveexec_b64 s[28:29], s[20:21]
	s_xor_b64 s[20:21], exec, s[28:29]
	s_cbranch_execz .LBB578_21
; %bb.20:                               ;   in Loop: Header=BB578_3 Depth=1
	v_add_f32_e64 v29, |v28|, |v28|
	v_mul_f32_e32 v30, 0x3fb8aa3b, v29
	v_rndne_f32_e32 v31, v30
	v_sub_f32_e32 v37, v30, v31
	v_fma_f32 v30, v29, s23, -v30
	v_fmac_f32_e32 v30, 0x32a5705f, v29
	v_add_f32_e32 v30, v37, v30
	v_cvt_i32_f32_e32 v31, v31
	v_exp_f32_e32 v30, v30
	v_cmp_ngt_f32_e32 vcc, s24, v29
	v_ldexp_f32 v30, v30, v31
	s_nop 0
	v_cndmask_b32_e32 v30, 0, v30, vcc
	v_cmp_nlt_f32_e32 vcc, s25, v29
	s_nop 1
	v_cndmask_b32_e32 v29, v35, v30, vcc
	v_add_f32_e32 v29, 1.0, v29
	v_rcp_f32_e32 v29, v29
	s_nop 0
	v_fma_f32 v29, v29, -2.0, 1.0
.LBB578_21:                             ;   in Loop: Header=BB578_3 Depth=1
	s_andn2_saveexec_b64 s[20:21], s[20:21]
; %bb.22:                               ;   in Loop: Header=BB578_3 Depth=1
	v_mul_f32_e32 v29, v28, v28
	v_fmamk_f32 v30, v29, 0xbbbac73d, v34
	v_fmaak_f32 v30, v29, v30, 0xbd5c1c4e
	v_fmaak_f32 v30, v29, v30, 0x3e088382
	v_fmaak_f32 v30, v29, v30, 0xbeaaaa99
	v_mul_f32_e64 v30, |v28|, v30
	v_fma_f32 v29, v29, v30, |v28|
; %bb.23:                               ;   in Loop: Header=BB578_3 Depth=1
	s_or_b64 exec, exec, s[20:21]
	v_mul_f32_e32 v30, v25, v25
	v_mul_f32_e32 v30, v25, v30
	v_fmamk_f32 v30, v30, 0x3d372713, v25
	v_mul_f32_e32 v30, 0x3f4c422a, v30
	v_cmp_nlt_f32_e64 s[20:21], |v30|, s22
                                        ; implicit-def: $vgpr31
	s_and_saveexec_b64 s[28:29], s[20:21]
	s_xor_b64 s[20:21], exec, s[28:29]
	s_cbranch_execz .LBB578_25
; %bb.24:                               ;   in Loop: Header=BB578_3 Depth=1
	v_add_f32_e64 v31, |v30|, |v30|
	v_mul_f32_e32 v37, 0x3fb8aa3b, v31
	v_rndne_f32_e32 v38, v37
	v_sub_f32_e32 v39, v37, v38
	v_fma_f32 v37, v31, s23, -v37
	v_fmac_f32_e32 v37, 0x32a5705f, v31
	v_add_f32_e32 v37, v39, v37
	v_cvt_i32_f32_e32 v38, v38
	v_exp_f32_e32 v37, v37
	v_cmp_ngt_f32_e32 vcc, s24, v31
	v_ldexp_f32 v37, v37, v38
	s_nop 0
	v_cndmask_b32_e32 v37, 0, v37, vcc
	v_cmp_nlt_f32_e32 vcc, s25, v31
	s_nop 1
	v_cndmask_b32_e32 v31, v35, v37, vcc
	v_add_f32_e32 v31, 1.0, v31
	v_rcp_f32_e32 v31, v31
	s_nop 0
	v_fma_f32 v31, v31, -2.0, 1.0
.LBB578_25:                             ;   in Loop: Header=BB578_3 Depth=1
	s_andn2_saveexec_b64 s[20:21], s[20:21]
; %bb.26:                               ;   in Loop: Header=BB578_3 Depth=1
	v_mul_f32_e32 v31, v30, v30
	v_fmamk_f32 v37, v31, 0xbbbac73d, v34
	v_fmaak_f32 v37, v31, v37, 0xbd5c1c4e
	v_fmaak_f32 v37, v31, v37, 0x3e088382
	;; [unrolled: 1-line block ×3, first 2 shown]
	v_mul_f32_e64 v37, |v30|, v37
	v_fma_f32 v31, v31, v37, |v30|
; %bb.27:                               ;   in Loop: Header=BB578_3 Depth=1
	s_or_b64 exec, exec, s[20:21]
	v_bfi_b32 v28, s26, v29, v28
	v_mul_f32_e32 v24, 0.5, v24
	v_add_f32_e32 v28, 1.0, v28
	v_mul_f32_e32 v24, v24, v28
	v_bfi_b32 v28, s26, v31, v30
	v_mul_f32_e32 v25, 0.5, v25
	v_add_f32_e32 v28, 1.0, v28
	v_mul_f32_e32 v25, v25, v28
	s_waitcnt vmcnt(2)
	;;#ASMSTART
	v_pk_mul_f32 v[20:21], v[24:25], v[20:21]
	;;#ASMEND
	v_mul_f32_e32 v24, v26, v26
	v_mul_f32_e32 v24, v26, v24
	v_fmamk_f32 v24, v24, 0x3d372713, v26
	v_mul_f32_e32 v24, 0x3f4c422a, v24
	v_cmp_nlt_f32_e64 s[20:21], |v24|, s22
                                        ; implicit-def: $vgpr25
	s_and_saveexec_b64 s[28:29], s[20:21]
	s_xor_b64 s[20:21], exec, s[28:29]
	s_cbranch_execz .LBB578_29
; %bb.28:                               ;   in Loop: Header=BB578_3 Depth=1
	v_add_f32_e64 v25, |v24|, |v24|
	v_mul_f32_e32 v28, 0x3fb8aa3b, v25
	v_rndne_f32_e32 v29, v28
	v_sub_f32_e32 v30, v28, v29
	v_fma_f32 v28, v25, s23, -v28
	v_fmac_f32_e32 v28, 0x32a5705f, v25
	v_add_f32_e32 v28, v30, v28
	v_cvt_i32_f32_e32 v29, v29
	v_exp_f32_e32 v28, v28
	v_cmp_ngt_f32_e32 vcc, s24, v25
	v_ldexp_f32 v28, v28, v29
	s_nop 0
	v_cndmask_b32_e32 v28, 0, v28, vcc
	v_cmp_nlt_f32_e32 vcc, s25, v25
	s_nop 1
	v_cndmask_b32_e32 v25, v35, v28, vcc
	v_add_f32_e32 v25, 1.0, v25
	v_rcp_f32_e32 v25, v25
	s_nop 0
	v_fma_f32 v25, v25, -2.0, 1.0
.LBB578_29:                             ;   in Loop: Header=BB578_3 Depth=1
	s_andn2_saveexec_b64 s[20:21], s[20:21]
; %bb.30:                               ;   in Loop: Header=BB578_3 Depth=1
	v_mul_f32_e32 v25, v24, v24
	v_fmamk_f32 v28, v25, 0xbbbac73d, v34
	v_fmaak_f32 v28, v25, v28, 0xbd5c1c4e
	v_fmaak_f32 v28, v25, v28, 0x3e088382
	;; [unrolled: 1-line block ×3, first 2 shown]
	v_mul_f32_e64 v28, |v24|, v28
	v_fma_f32 v25, v25, v28, |v24|
; %bb.31:                               ;   in Loop: Header=BB578_3 Depth=1
	s_or_b64 exec, exec, s[20:21]
	v_mul_f32_e32 v28, v27, v27
	v_mul_f32_e32 v28, v27, v28
	v_fmamk_f32 v28, v28, 0x3d372713, v27
	v_mul_f32_e32 v28, 0x3f4c422a, v28
	v_cmp_nlt_f32_e64 s[20:21], |v28|, s22
                                        ; implicit-def: $vgpr29
	s_and_saveexec_b64 s[28:29], s[20:21]
	s_xor_b64 s[20:21], exec, s[28:29]
	s_cbranch_execz .LBB578_33
; %bb.32:                               ;   in Loop: Header=BB578_3 Depth=1
	v_add_f32_e64 v29, |v28|, |v28|
	v_mul_f32_e32 v30, 0x3fb8aa3b, v29
	v_rndne_f32_e32 v31, v30
	v_sub_f32_e32 v37, v30, v31
	v_fma_f32 v30, v29, s23, -v30
	v_fmac_f32_e32 v30, 0x32a5705f, v29
	v_add_f32_e32 v30, v37, v30
	v_cvt_i32_f32_e32 v31, v31
	v_exp_f32_e32 v30, v30
	v_cmp_ngt_f32_e32 vcc, s24, v29
	v_ldexp_f32 v30, v30, v31
	s_nop 0
	v_cndmask_b32_e32 v30, 0, v30, vcc
	v_cmp_nlt_f32_e32 vcc, s25, v29
	s_nop 1
	v_cndmask_b32_e32 v29, v35, v30, vcc
	v_add_f32_e32 v29, 1.0, v29
	v_rcp_f32_e32 v29, v29
	s_nop 0
	v_fma_f32 v29, v29, -2.0, 1.0
.LBB578_33:                             ;   in Loop: Header=BB578_3 Depth=1
	s_andn2_saveexec_b64 s[20:21], s[20:21]
; %bb.34:                               ;   in Loop: Header=BB578_3 Depth=1
	v_mul_f32_e32 v29, v28, v28
	v_fmamk_f32 v30, v29, 0xbbbac73d, v34
	v_fmaak_f32 v30, v29, v30, 0xbd5c1c4e
	v_fmaak_f32 v30, v29, v30, 0x3e088382
	;; [unrolled: 1-line block ×3, first 2 shown]
	v_mul_f32_e64 v30, |v28|, v30
	v_fma_f32 v29, v29, v30, |v28|
; %bb.35:                               ;   in Loop: Header=BB578_3 Depth=1
	s_or_b64 exec, exec, s[20:21]
	v_bfi_b32 v24, s26, v25, v24
	v_mul_f32_e32 v26, 0.5, v26
	v_add_f32_e32 v24, 1.0, v24
	v_mul_f32_e32 v24, v26, v24
	v_bfi_b32 v26, s26, v29, v28
	v_mul_f32_e32 v25, 0.5, v27
	v_add_f32_e32 v26, 1.0, v26
	v_mul_f32_e32 v25, v25, v26
	;;#ASMSTART
	v_pk_mul_f32 v[22:23], v[24:25], v[22:23]
	;;#ASMEND
	v_mul_f32_e32 v24, v16, v16
	v_mul_f32_e32 v24, v16, v24
	v_fmamk_f32 v24, v24, 0x3d372713, v16
	v_mul_f32_e32 v24, 0x3f4c422a, v24
	v_cmp_nlt_f32_e64 s[20:21], |v24|, s22
                                        ; implicit-def: $vgpr25
	s_and_saveexec_b64 s[28:29], s[20:21]
	s_xor_b64 s[20:21], exec, s[28:29]
	s_cbranch_execz .LBB578_37
; %bb.36:                               ;   in Loop: Header=BB578_3 Depth=1
	v_add_f32_e64 v25, |v24|, |v24|
	v_mul_f32_e32 v26, 0x3fb8aa3b, v25
	v_rndne_f32_e32 v27, v26
	v_sub_f32_e32 v28, v26, v27
	v_fma_f32 v26, v25, s23, -v26
	v_fmac_f32_e32 v26, 0x32a5705f, v25
	v_add_f32_e32 v26, v28, v26
	v_cvt_i32_f32_e32 v27, v27
	v_exp_f32_e32 v26, v26
	v_cmp_ngt_f32_e32 vcc, s24, v25
	v_ldexp_f32 v26, v26, v27
	s_nop 0
	v_cndmask_b32_e32 v26, 0, v26, vcc
	v_cmp_nlt_f32_e32 vcc, s25, v25
	s_nop 1
	v_cndmask_b32_e32 v25, v35, v26, vcc
	v_add_f32_e32 v25, 1.0, v25
	v_rcp_f32_e32 v25, v25
	s_nop 0
	v_fma_f32 v25, v25, -2.0, 1.0
.LBB578_37:                             ;   in Loop: Header=BB578_3 Depth=1
	s_andn2_saveexec_b64 s[20:21], s[20:21]
; %bb.38:                               ;   in Loop: Header=BB578_3 Depth=1
	v_mul_f32_e32 v25, v24, v24
	v_fmamk_f32 v26, v25, 0xbbbac73d, v34
	v_fmaak_f32 v26, v25, v26, 0xbd5c1c4e
	v_fmaak_f32 v26, v25, v26, 0x3e088382
	;; [unrolled: 1-line block ×3, first 2 shown]
	v_mul_f32_e64 v26, |v24|, v26
	v_fma_f32 v25, v25, v26, |v24|
; %bb.39:                               ;   in Loop: Header=BB578_3 Depth=1
	s_or_b64 exec, exec, s[20:21]
	v_mul_f32_e32 v26, v17, v17
	v_mul_f32_e32 v26, v17, v26
	v_fmamk_f32 v26, v26, 0x3d372713, v17
	v_mul_f32_e32 v26, 0x3f4c422a, v26
	v_cmp_nlt_f32_e64 s[20:21], |v26|, s22
                                        ; implicit-def: $vgpr27
	s_and_saveexec_b64 s[28:29], s[20:21]
	s_xor_b64 s[20:21], exec, s[28:29]
	s_cbranch_execz .LBB578_41
; %bb.40:                               ;   in Loop: Header=BB578_3 Depth=1
	v_add_f32_e64 v27, |v26|, |v26|
	v_mul_f32_e32 v28, 0x3fb8aa3b, v27
	v_rndne_f32_e32 v29, v28
	v_sub_f32_e32 v30, v28, v29
	v_fma_f32 v28, v27, s23, -v28
	v_fmac_f32_e32 v28, 0x32a5705f, v27
	v_add_f32_e32 v28, v30, v28
	v_cvt_i32_f32_e32 v29, v29
	v_exp_f32_e32 v28, v28
	v_cmp_ngt_f32_e32 vcc, s24, v27
	v_ldexp_f32 v28, v28, v29
	s_nop 0
	v_cndmask_b32_e32 v28, 0, v28, vcc
	v_cmp_nlt_f32_e32 vcc, s25, v27
	s_nop 1
	v_cndmask_b32_e32 v27, v35, v28, vcc
	v_add_f32_e32 v27, 1.0, v27
	v_rcp_f32_e32 v27, v27
	s_nop 0
	v_fma_f32 v27, v27, -2.0, 1.0
.LBB578_41:                             ;   in Loop: Header=BB578_3 Depth=1
	s_andn2_saveexec_b64 s[20:21], s[20:21]
; %bb.42:                               ;   in Loop: Header=BB578_3 Depth=1
	v_mul_f32_e32 v27, v26, v26
	v_fmamk_f32 v28, v27, 0xbbbac73d, v34
	v_fmaak_f32 v28, v27, v28, 0xbd5c1c4e
	v_fmaak_f32 v28, v27, v28, 0x3e088382
	;; [unrolled: 1-line block ×3, first 2 shown]
	v_mul_f32_e64 v28, |v26|, v28
	v_fma_f32 v27, v27, v28, |v26|
; %bb.43:                               ;   in Loop: Header=BB578_3 Depth=1
	s_or_b64 exec, exec, s[20:21]
	v_bfi_b32 v24, s26, v25, v24
	v_mul_f32_e32 v16, 0.5, v16
	v_add_f32_e32 v24, 1.0, v24
	v_mul_f32_e32 v16, v16, v24
	v_bfi_b32 v24, s26, v27, v26
	v_mul_f32_e32 v17, 0.5, v17
	v_add_f32_e32 v24, 1.0, v24
	v_mul_f32_e32 v17, v17, v24
	s_waitcnt vmcnt(1)
	;;#ASMSTART
	v_pk_mul_f32 v[12:13], v[16:17], v[12:13]
	;;#ASMEND
	v_mul_f32_e32 v16, v18, v18
	v_mul_f32_e32 v16, v18, v16
	v_fmamk_f32 v16, v16, 0x3d372713, v18
	v_mul_f32_e32 v16, 0x3f4c422a, v16
	v_cmp_nlt_f32_e64 s[20:21], |v16|, s22
                                        ; implicit-def: $vgpr17
	s_and_saveexec_b64 s[28:29], s[20:21]
	s_xor_b64 s[20:21], exec, s[28:29]
	s_cbranch_execz .LBB578_45
; %bb.44:                               ;   in Loop: Header=BB578_3 Depth=1
	v_add_f32_e64 v17, |v16|, |v16|
	v_mul_f32_e32 v24, 0x3fb8aa3b, v17
	v_rndne_f32_e32 v25, v24
	v_sub_f32_e32 v26, v24, v25
	v_fma_f32 v24, v17, s23, -v24
	v_fmac_f32_e32 v24, 0x32a5705f, v17
	v_add_f32_e32 v24, v26, v24
	v_cvt_i32_f32_e32 v25, v25
	v_exp_f32_e32 v24, v24
	v_cmp_ngt_f32_e32 vcc, s24, v17
	v_ldexp_f32 v24, v24, v25
	s_nop 0
	v_cndmask_b32_e32 v24, 0, v24, vcc
	v_cmp_nlt_f32_e32 vcc, s25, v17
	s_nop 1
	v_cndmask_b32_e32 v17, v35, v24, vcc
	v_add_f32_e32 v17, 1.0, v17
	v_rcp_f32_e32 v17, v17
	s_nop 0
	v_fma_f32 v17, v17, -2.0, 1.0
.LBB578_45:                             ;   in Loop: Header=BB578_3 Depth=1
	s_andn2_saveexec_b64 s[20:21], s[20:21]
; %bb.46:                               ;   in Loop: Header=BB578_3 Depth=1
	v_mul_f32_e32 v17, v16, v16
	v_fmamk_f32 v24, v17, 0xbbbac73d, v34
	v_fmaak_f32 v24, v17, v24, 0xbd5c1c4e
	v_fmaak_f32 v24, v17, v24, 0x3e088382
	;; [unrolled: 1-line block ×3, first 2 shown]
	v_mul_f32_e64 v24, |v16|, v24
	v_fma_f32 v17, v17, v24, |v16|
; %bb.47:                               ;   in Loop: Header=BB578_3 Depth=1
	s_or_b64 exec, exec, s[20:21]
	v_mul_f32_e32 v24, v19, v19
	v_mul_f32_e32 v24, v19, v24
	v_fmamk_f32 v24, v24, 0x3d372713, v19
	v_mul_f32_e32 v24, 0x3f4c422a, v24
	v_cmp_nlt_f32_e64 s[20:21], |v24|, s22
                                        ; implicit-def: $vgpr25
	s_and_saveexec_b64 s[28:29], s[20:21]
	s_xor_b64 s[20:21], exec, s[28:29]
	s_cbranch_execz .LBB578_49
; %bb.48:                               ;   in Loop: Header=BB578_3 Depth=1
	v_add_f32_e64 v25, |v24|, |v24|
	v_mul_f32_e32 v26, 0x3fb8aa3b, v25
	v_rndne_f32_e32 v27, v26
	v_sub_f32_e32 v28, v26, v27
	v_fma_f32 v26, v25, s23, -v26
	v_fmac_f32_e32 v26, 0x32a5705f, v25
	v_add_f32_e32 v26, v28, v26
	v_cvt_i32_f32_e32 v27, v27
	v_exp_f32_e32 v26, v26
	v_cmp_ngt_f32_e32 vcc, s24, v25
	v_ldexp_f32 v26, v26, v27
	s_nop 0
	v_cndmask_b32_e32 v26, 0, v26, vcc
	v_cmp_nlt_f32_e32 vcc, s25, v25
	s_nop 1
	v_cndmask_b32_e32 v25, v35, v26, vcc
	v_add_f32_e32 v25, 1.0, v25
	v_rcp_f32_e32 v25, v25
	s_nop 0
	v_fma_f32 v25, v25, -2.0, 1.0
.LBB578_49:                             ;   in Loop: Header=BB578_3 Depth=1
	s_andn2_saveexec_b64 s[20:21], s[20:21]
; %bb.50:                               ;   in Loop: Header=BB578_3 Depth=1
	v_mul_f32_e32 v25, v24, v24
	v_fmamk_f32 v26, v25, 0xbbbac73d, v34
	v_fmaak_f32 v26, v25, v26, 0xbd5c1c4e
	v_fmaak_f32 v26, v25, v26, 0x3e088382
	;; [unrolled: 1-line block ×3, first 2 shown]
	v_mul_f32_e64 v26, |v24|, v26
	v_fma_f32 v25, v25, v26, |v24|
; %bb.51:                               ;   in Loop: Header=BB578_3 Depth=1
	s_or_b64 exec, exec, s[20:21]
	v_bfi_b32 v16, s26, v17, v16
	v_mul_f32_e32 v18, 0.5, v18
	v_add_f32_e32 v16, 1.0, v16
	v_mul_f32_e32 v16, v18, v16
	v_bfi_b32 v18, s26, v25, v24
	v_mul_f32_e32 v17, 0.5, v19
	v_add_f32_e32 v18, 1.0, v18
	v_mul_f32_e32 v17, v17, v18
	;;#ASMSTART
	v_pk_mul_f32 v[14:15], v[16:17], v[14:15]
	;;#ASMEND
	v_mul_f32_e32 v16, v4, v4
	v_mul_f32_e32 v16, v4, v16
	v_fmamk_f32 v16, v16, 0x3d372713, v4
	v_mul_f32_e32 v16, 0x3f4c422a, v16
	v_cmp_nlt_f32_e64 s[20:21], |v16|, s22
                                        ; implicit-def: $vgpr17
	s_and_saveexec_b64 s[28:29], s[20:21]
	s_xor_b64 s[20:21], exec, s[28:29]
	s_cbranch_execz .LBB578_53
; %bb.52:                               ;   in Loop: Header=BB578_3 Depth=1
	v_add_f32_e64 v17, |v16|, |v16|
	v_mul_f32_e32 v18, 0x3fb8aa3b, v17
	v_rndne_f32_e32 v19, v18
	v_sub_f32_e32 v24, v18, v19
	v_fma_f32 v18, v17, s23, -v18
	v_fmac_f32_e32 v18, 0x32a5705f, v17
	v_add_f32_e32 v18, v24, v18
	v_cvt_i32_f32_e32 v19, v19
	v_exp_f32_e32 v18, v18
	v_cmp_ngt_f32_e32 vcc, s24, v17
	v_ldexp_f32 v18, v18, v19
	s_nop 0
	v_cndmask_b32_e32 v18, 0, v18, vcc
	v_cmp_nlt_f32_e32 vcc, s25, v17
	s_nop 1
	v_cndmask_b32_e32 v17, v35, v18, vcc
	v_add_f32_e32 v17, 1.0, v17
	v_rcp_f32_e32 v17, v17
	s_nop 0
	v_fma_f32 v17, v17, -2.0, 1.0
.LBB578_53:                             ;   in Loop: Header=BB578_3 Depth=1
	s_andn2_saveexec_b64 s[20:21], s[20:21]
; %bb.54:                               ;   in Loop: Header=BB578_3 Depth=1
	v_mul_f32_e32 v17, v16, v16
	v_fmamk_f32 v18, v17, 0xbbbac73d, v34
	v_fmaak_f32 v18, v17, v18, 0xbd5c1c4e
	v_fmaak_f32 v18, v17, v18, 0x3e088382
	;; [unrolled: 1-line block ×3, first 2 shown]
	v_mul_f32_e64 v18, |v16|, v18
	v_fma_f32 v17, v17, v18, |v16|
; %bb.55:                               ;   in Loop: Header=BB578_3 Depth=1
	s_or_b64 exec, exec, s[20:21]
	v_mul_f32_e32 v18, v5, v5
	v_mul_f32_e32 v18, v5, v18
	v_fmamk_f32 v18, v18, 0x3d372713, v5
	v_mul_f32_e32 v18, 0x3f4c422a, v18
	v_cmp_nlt_f32_e64 s[20:21], |v18|, s22
                                        ; implicit-def: $vgpr19
	s_and_saveexec_b64 s[28:29], s[20:21]
	s_xor_b64 s[20:21], exec, s[28:29]
	s_cbranch_execz .LBB578_57
; %bb.56:                               ;   in Loop: Header=BB578_3 Depth=1
	v_add_f32_e64 v19, |v18|, |v18|
	v_mul_f32_e32 v24, 0x3fb8aa3b, v19
	v_rndne_f32_e32 v25, v24
	v_sub_f32_e32 v26, v24, v25
	v_fma_f32 v24, v19, s23, -v24
	v_fmac_f32_e32 v24, 0x32a5705f, v19
	v_add_f32_e32 v24, v26, v24
	v_cvt_i32_f32_e32 v25, v25
	v_exp_f32_e32 v24, v24
	v_cmp_ngt_f32_e32 vcc, s24, v19
	v_ldexp_f32 v24, v24, v25
	s_nop 0
	v_cndmask_b32_e32 v24, 0, v24, vcc
	v_cmp_nlt_f32_e32 vcc, s25, v19
	s_nop 1
	v_cndmask_b32_e32 v19, v35, v24, vcc
	v_add_f32_e32 v19, 1.0, v19
	v_rcp_f32_e32 v19, v19
	s_nop 0
	v_fma_f32 v19, v19, -2.0, 1.0
.LBB578_57:                             ;   in Loop: Header=BB578_3 Depth=1
	s_andn2_saveexec_b64 s[20:21], s[20:21]
; %bb.58:                               ;   in Loop: Header=BB578_3 Depth=1
	v_mul_f32_e32 v19, v18, v18
	v_fmamk_f32 v24, v19, 0xbbbac73d, v34
	v_fmaak_f32 v24, v19, v24, 0xbd5c1c4e
	v_fmaak_f32 v24, v19, v24, 0x3e088382
	;; [unrolled: 1-line block ×3, first 2 shown]
	v_mul_f32_e64 v24, |v18|, v24
	v_fma_f32 v19, v19, v24, |v18|
; %bb.59:                               ;   in Loop: Header=BB578_3 Depth=1
	s_or_b64 exec, exec, s[20:21]
	v_bfi_b32 v16, s26, v17, v16
	v_mul_f32_e32 v4, 0.5, v4
	v_add_f32_e32 v16, 1.0, v16
	v_mul_f32_e32 v4, v4, v16
	v_bfi_b32 v16, s26, v19, v18
	v_mul_f32_e32 v5, 0.5, v5
	v_add_f32_e32 v16, 1.0, v16
	v_mul_f32_e32 v5, v5, v16
	s_waitcnt vmcnt(0)
	;;#ASMSTART
	v_pk_mul_f32 v[0:1], v[4:5], v[0:1]
	;;#ASMEND
	v_mul_f32_e32 v4, v6, v6
	v_mul_f32_e32 v4, v6, v4
	v_fmamk_f32 v4, v4, 0x3d372713, v6
	v_mul_f32_e32 v4, 0x3f4c422a, v4
	v_cmp_nlt_f32_e64 s[20:21], |v4|, s22
                                        ; implicit-def: $vgpr5
	s_and_saveexec_b64 s[28:29], s[20:21]
	s_xor_b64 s[20:21], exec, s[28:29]
	s_cbranch_execz .LBB578_61
; %bb.60:                               ;   in Loop: Header=BB578_3 Depth=1
	v_add_f32_e64 v5, |v4|, |v4|
	v_mul_f32_e32 v16, 0x3fb8aa3b, v5
	v_rndne_f32_e32 v17, v16
	v_sub_f32_e32 v18, v16, v17
	v_fma_f32 v16, v5, s23, -v16
	v_fmac_f32_e32 v16, 0x32a5705f, v5
	v_add_f32_e32 v16, v18, v16
	v_cvt_i32_f32_e32 v17, v17
	v_exp_f32_e32 v16, v16
	v_cmp_ngt_f32_e32 vcc, s24, v5
	v_ldexp_f32 v16, v16, v17
	s_nop 0
	v_cndmask_b32_e32 v16, 0, v16, vcc
	v_cmp_nlt_f32_e32 vcc, s25, v5
	s_nop 1
	v_cndmask_b32_e32 v5, v35, v16, vcc
	v_add_f32_e32 v5, 1.0, v5
	v_rcp_f32_e32 v5, v5
	s_nop 0
	v_fma_f32 v5, v5, -2.0, 1.0
.LBB578_61:                             ;   in Loop: Header=BB578_3 Depth=1
	s_andn2_saveexec_b64 s[20:21], s[20:21]
; %bb.62:                               ;   in Loop: Header=BB578_3 Depth=1
	v_mul_f32_e32 v5, v4, v4
	v_fmamk_f32 v16, v5, 0xbbbac73d, v34
	v_fmaak_f32 v16, v5, v16, 0xbd5c1c4e
	v_fmaak_f32 v16, v5, v16, 0x3e088382
	;; [unrolled: 1-line block ×3, first 2 shown]
	v_mul_f32_e64 v16, |v4|, v16
	v_fma_f32 v5, v5, v16, |v4|
; %bb.63:                               ;   in Loop: Header=BB578_3 Depth=1
	s_or_b64 exec, exec, s[20:21]
	v_mul_f32_e32 v16, v7, v7
	v_mul_f32_e32 v16, v7, v16
	v_fmamk_f32 v16, v16, 0x3d372713, v7
	v_mul_f32_e32 v16, 0x3f4c422a, v16
	v_cmp_nlt_f32_e64 s[20:21], |v16|, s22
                                        ; implicit-def: $vgpr17
	s_and_saveexec_b64 s[28:29], s[20:21]
	s_xor_b64 s[20:21], exec, s[28:29]
	s_cbranch_execz .LBB578_65
; %bb.64:                               ;   in Loop: Header=BB578_3 Depth=1
	v_add_f32_e64 v17, |v16|, |v16|
	v_mul_f32_e32 v18, 0x3fb8aa3b, v17
	v_rndne_f32_e32 v19, v18
	v_sub_f32_e32 v24, v18, v19
	v_fma_f32 v18, v17, s23, -v18
	v_fmac_f32_e32 v18, 0x32a5705f, v17
	v_add_f32_e32 v18, v24, v18
	v_cvt_i32_f32_e32 v19, v19
	v_exp_f32_e32 v18, v18
	v_cmp_ngt_f32_e32 vcc, s24, v17
	v_ldexp_f32 v18, v18, v19
	s_nop 0
	v_cndmask_b32_e32 v18, 0, v18, vcc
	v_cmp_nlt_f32_e32 vcc, s25, v17
	s_nop 1
	v_cndmask_b32_e32 v17, v35, v18, vcc
	v_add_f32_e32 v17, 1.0, v17
	v_rcp_f32_e32 v17, v17
	s_nop 0
	v_fma_f32 v17, v17, -2.0, 1.0
.LBB578_65:                             ;   in Loop: Header=BB578_3 Depth=1
	s_andn2_saveexec_b64 s[20:21], s[20:21]
	s_cbranch_execz .LBB578_2
; %bb.66:                               ;   in Loop: Header=BB578_3 Depth=1
	v_mul_f32_e32 v17, v16, v16
	v_fmamk_f32 v18, v17, 0xbbbac73d, v34
	v_fmaak_f32 v18, v17, v18, 0xbd5c1c4e
	v_fmaak_f32 v18, v17, v18, 0x3e088382
	;; [unrolled: 1-line block ×3, first 2 shown]
	v_mul_f32_e64 v18, |v16|, v18
	v_fma_f32 v17, v17, v18, |v16|
	s_branch .LBB578_2
.LBB578_67:
	s_endpgm
	.section	.rodata,"a",@progbits
	.p2align	6, 0x0
	.amdhsa_kernel _ZN5aiter18act_and_mul_kernelIffTnPFfRKT_EXadL_ZNS_16gelu_tanh_kernelIfEEfS3_EELi16ELb0ELi0EEEvPT0_PS2_if
		.amdhsa_group_segment_fixed_size 0
		.amdhsa_private_segment_fixed_size 0
		.amdhsa_kernarg_size 280
		.amdhsa_user_sgpr_count 2
		.amdhsa_user_sgpr_dispatch_ptr 0
		.amdhsa_user_sgpr_queue_ptr 0
		.amdhsa_user_sgpr_kernarg_segment_ptr 1
		.amdhsa_user_sgpr_dispatch_id 0
		.amdhsa_user_sgpr_kernarg_preload_length 0
		.amdhsa_user_sgpr_kernarg_preload_offset 0
		.amdhsa_user_sgpr_private_segment_size 0
		.amdhsa_uses_dynamic_stack 0
		.amdhsa_enable_private_segment 0
		.amdhsa_system_sgpr_workgroup_id_x 1
		.amdhsa_system_sgpr_workgroup_id_y 0
		.amdhsa_system_sgpr_workgroup_id_z 0
		.amdhsa_system_sgpr_workgroup_info 0
		.amdhsa_system_vgpr_workitem_id 0
		.amdhsa_next_free_vgpr 44
		.amdhsa_next_free_sgpr 30
		.amdhsa_accum_offset 44
		.amdhsa_reserve_vcc 1
		.amdhsa_float_round_mode_32 0
		.amdhsa_float_round_mode_16_64 0
		.amdhsa_float_denorm_mode_32 3
		.amdhsa_float_denorm_mode_16_64 3
		.amdhsa_dx10_clamp 1
		.amdhsa_ieee_mode 1
		.amdhsa_fp16_overflow 0
		.amdhsa_tg_split 0
		.amdhsa_exception_fp_ieee_invalid_op 0
		.amdhsa_exception_fp_denorm_src 0
		.amdhsa_exception_fp_ieee_div_zero 0
		.amdhsa_exception_fp_ieee_overflow 0
		.amdhsa_exception_fp_ieee_underflow 0
		.amdhsa_exception_fp_ieee_inexact 0
		.amdhsa_exception_int_div_zero 0
	.end_amdhsa_kernel
	.section	.text._ZN5aiter18act_and_mul_kernelIffTnPFfRKT_EXadL_ZNS_16gelu_tanh_kernelIfEEfS3_EELi16ELb0ELi0EEEvPT0_PS2_if,"axG",@progbits,_ZN5aiter18act_and_mul_kernelIffTnPFfRKT_EXadL_ZNS_16gelu_tanh_kernelIfEEfS3_EELi16ELb0ELi0EEEvPT0_PS2_if,comdat
.Lfunc_end578:
	.size	_ZN5aiter18act_and_mul_kernelIffTnPFfRKT_EXadL_ZNS_16gelu_tanh_kernelIfEEfS3_EELi16ELb0ELi0EEEvPT0_PS2_if, .Lfunc_end578-_ZN5aiter18act_and_mul_kernelIffTnPFfRKT_EXadL_ZNS_16gelu_tanh_kernelIfEEfS3_EELi16ELb0ELi0EEEvPT0_PS2_if
                                        ; -- End function
	.section	.AMDGPU.csdata,"",@progbits
; Kernel info:
; codeLenInByte = 4116
; NumSgprs: 36
; NumVgprs: 44
; NumAgprs: 0
; TotalNumVgprs: 44
; ScratchSize: 0
; MemoryBound: 0
; FloatMode: 240
; IeeeMode: 1
; LDSByteSize: 0 bytes/workgroup (compile time only)
; SGPRBlocks: 4
; VGPRBlocks: 5
; NumSGPRsForWavesPerEU: 36
; NumVGPRsForWavesPerEU: 44
; AccumOffset: 44
; Occupancy: 8
; WaveLimiterHint : 0
; COMPUTE_PGM_RSRC2:SCRATCH_EN: 0
; COMPUTE_PGM_RSRC2:USER_SGPR: 2
; COMPUTE_PGM_RSRC2:TRAP_HANDLER: 0
; COMPUTE_PGM_RSRC2:TGID_X_EN: 1
; COMPUTE_PGM_RSRC2:TGID_Y_EN: 0
; COMPUTE_PGM_RSRC2:TGID_Z_EN: 0
; COMPUTE_PGM_RSRC2:TIDIG_COMP_CNT: 0
; COMPUTE_PGM_RSRC3_GFX90A:ACCUM_OFFSET: 10
; COMPUTE_PGM_RSRC3_GFX90A:TG_SPLIT: 0
	.section	.text._ZN5aiter18act_and_mul_kernelIffTnPFfRKT_EXadL_ZNS_16gelu_tanh_kernelIfEEfS3_EELi8ELb0ELi0EEEvPT0_PS2_if,"axG",@progbits,_ZN5aiter18act_and_mul_kernelIffTnPFfRKT_EXadL_ZNS_16gelu_tanh_kernelIfEEfS3_EELi8ELb0ELi0EEEvPT0_PS2_if,comdat
	.protected	_ZN5aiter18act_and_mul_kernelIffTnPFfRKT_EXadL_ZNS_16gelu_tanh_kernelIfEEfS3_EELi8ELb0ELi0EEEvPT0_PS2_if ; -- Begin function _ZN5aiter18act_and_mul_kernelIffTnPFfRKT_EXadL_ZNS_16gelu_tanh_kernelIfEEfS3_EELi8ELb0ELi0EEEvPT0_PS2_if
	.globl	_ZN5aiter18act_and_mul_kernelIffTnPFfRKT_EXadL_ZNS_16gelu_tanh_kernelIfEEfS3_EELi8ELb0ELi0EEEvPT0_PS2_if
	.p2align	8
	.type	_ZN5aiter18act_and_mul_kernelIffTnPFfRKT_EXadL_ZNS_16gelu_tanh_kernelIfEEfS3_EELi8ELb0ELi0EEEvPT0_PS2_if,@function
_ZN5aiter18act_and_mul_kernelIffTnPFfRKT_EXadL_ZNS_16gelu_tanh_kernelIfEEfS3_EELi8ELb0ELi0EEEvPT0_PS2_if: ; @_ZN5aiter18act_and_mul_kernelIffTnPFfRKT_EXadL_ZNS_16gelu_tanh_kernelIfEEfS3_EELi8ELb0ELi0EEEvPT0_PS2_if
; %bb.0:
	s_load_dword s16, s[0:1], 0x10
	v_lshlrev_b32_e32 v16, 3, v0
	s_waitcnt lgkmcnt(0)
	v_cmp_gt_i32_e32 vcc, s16, v16
	s_and_saveexec_b64 s[4:5], vcc
	s_cbranch_execz .LBB579_35
; %bb.1:
	s_load_dwordx4 s[12:15], s[0:1], 0x0
	s_ashr_i32 s17, s16, 31
	s_mul_hi_u32 s3, s16, s2
	s_mul_i32 s4, s17, s2
	s_add_i32 s3, s3, s4
	s_mul_i32 s2, s16, s2
	s_lshl_b64 s[4:5], s[2:3], 3
	s_waitcnt lgkmcnt(0)
	s_add_u32 s4, s14, s4
	s_addc_u32 s5, s15, s5
	s_lshl_b64 s[6:7], s[16:17], 2
	s_add_u32 s8, s4, s6
	s_addc_u32 s9, s5, s7
	s_lshl_b32 s6, s16, 2
	s_and_b32 s5, s5, 0xffff
	s_and_b32 s9, s9, 0xffff
	s_lshl_b64 s[2:3], s[2:3], 2
	s_add_u32 s12, s12, s2
	s_addc_u32 s2, s13, s3
	s_and_b32 s13, s2, 0xffff
	s_mov_b32 s7, 0x20000
	s_add_u32 s0, s0, 24
	v_mov_b32_e32 v17, 0
	s_addc_u32 s1, s1, 0
	s_mov_b64 s[2:3], 0
	s_mov_b32 s19, 0
	s_mov_b32 s10, s6
	;; [unrolled: 1-line block ×7, first 2 shown]
	v_mov_b32_e32 v18, 0x3ca908c9
	s_brev_b32 s26, -2
	v_mov_b32_e32 v19, 0x7f800000
	s_mov_b32 s14, s6
	s_mov_b32 s15, s7
                                        ; implicit-def: $vgpr0
                                        ; implicit-def: $vgpr0
	;; [unrolled: 1-line block ×3, first 2 shown]
	s_branch .LBB579_3
.LBB579_2:                              ;   in Loop: Header=BB579_3 Depth=1
	s_or_b64 exec, exec, s[20:21]
	v_bfi_b32 v4, s26, v5, v4
	v_mul_f32_e32 v6, 0.5, v6
	v_add_f32_e32 v4, 1.0, v4
	v_mul_f32_e32 v4, v6, v4
	v_bfi_b32 v6, s26, v13, v12
	v_mul_f32_e32 v5, 0.5, v7
	v_add_f32_e32 v6, 1.0, v6
	v_mul_f32_e32 v5, v5, v6
	;;#ASMSTART
	v_pk_mul_f32 v[2:3], v[4:5], v[2:3]
	;;#ASMEND
	s_load_dword s18, s[0:1], 0xc
	buffer_store_dwordx4 v[8:11], v20, s[12:15], 0 offen
	buffer_store_dwordx4 v[0:3], v20, s[12:15], 16 offen
	s_waitcnt lgkmcnt(0)
	s_and_b32 s18, s18, 0xffff
	s_lshl_b32 s18, s18, 3
	v_lshl_add_u64 v[16:17], s[18:19], 0, v[16:17]
	v_cmp_le_i64_e32 vcc, s[16:17], v[16:17]
	s_or_b64 s[2:3], vcc, s[2:3]
	s_andn2_b64 exec, exec, s[2:3]
	s_cbranch_execz .LBB579_35
.LBB579_3:                              ; =>This Inner Loop Header: Depth=1
	v_lshlrev_b32_e32 v20, 2, v16
	buffer_load_dwordx4 v[12:15], v20, s[4:7], 0 offen
	buffer_load_dwordx4 v[4:7], v20, s[4:7], 16 offen
	;; [unrolled: 1-line block ×4, first 2 shown]
                                        ; implicit-def: $vgpr22
	s_waitcnt vmcnt(3)
	v_mul_f32_e32 v21, v12, v12
	v_mul_f32_e32 v21, v12, v21
	v_fmamk_f32 v21, v21, 0x3d372713, v12
	v_mul_f32_e32 v21, 0x3f4c422a, v21
	v_cmp_nlt_f32_e64 s[20:21], |v21|, s22
	s_and_saveexec_b64 s[28:29], s[20:21]
	s_xor_b64 s[20:21], exec, s[28:29]
	s_cbranch_execz .LBB579_5
; %bb.4:                                ;   in Loop: Header=BB579_3 Depth=1
	v_add_f32_e64 v22, |v21|, |v21|
	v_mul_f32_e32 v23, 0x3fb8aa3b, v22
	v_rndne_f32_e32 v24, v23
	v_sub_f32_e32 v25, v23, v24
	v_fma_f32 v23, v22, s23, -v23
	v_fmac_f32_e32 v23, 0x32a5705f, v22
	v_add_f32_e32 v23, v25, v23
	v_cvt_i32_f32_e32 v24, v24
	v_exp_f32_e32 v23, v23
	v_cmp_ngt_f32_e32 vcc, s24, v22
	v_ldexp_f32 v23, v23, v24
	s_nop 0
	v_cndmask_b32_e32 v23, 0, v23, vcc
	v_cmp_nlt_f32_e32 vcc, s25, v22
	s_nop 1
	v_cndmask_b32_e32 v22, v19, v23, vcc
	v_add_f32_e32 v22, 1.0, v22
	v_rcp_f32_e32 v22, v22
	s_nop 0
	v_fma_f32 v22, v22, -2.0, 1.0
.LBB579_5:                              ;   in Loop: Header=BB579_3 Depth=1
	s_andn2_saveexec_b64 s[20:21], s[20:21]
; %bb.6:                                ;   in Loop: Header=BB579_3 Depth=1
	v_mul_f32_e32 v22, v21, v21
	v_fmamk_f32 v23, v22, 0xbbbac73d, v18
	v_fmaak_f32 v23, v22, v23, 0xbd5c1c4e
	v_fmaak_f32 v23, v22, v23, 0x3e088382
	;; [unrolled: 1-line block ×3, first 2 shown]
	v_mul_f32_e64 v23, |v21|, v23
	v_fma_f32 v22, v22, v23, |v21|
; %bb.7:                                ;   in Loop: Header=BB579_3 Depth=1
	s_or_b64 exec, exec, s[20:21]
	v_mul_f32_e32 v23, v13, v13
	v_mul_f32_e32 v23, v13, v23
	v_fmamk_f32 v23, v23, 0x3d372713, v13
	v_mul_f32_e32 v23, 0x3f4c422a, v23
	v_cmp_nlt_f32_e64 s[20:21], |v23|, s22
                                        ; implicit-def: $vgpr24
	s_and_saveexec_b64 s[28:29], s[20:21]
	s_xor_b64 s[20:21], exec, s[28:29]
	s_cbranch_execz .LBB579_9
; %bb.8:                                ;   in Loop: Header=BB579_3 Depth=1
	v_add_f32_e64 v24, |v23|, |v23|
	v_mul_f32_e32 v25, 0x3fb8aa3b, v24
	v_rndne_f32_e32 v26, v25
	v_sub_f32_e32 v27, v25, v26
	v_fma_f32 v25, v24, s23, -v25
	v_fmac_f32_e32 v25, 0x32a5705f, v24
	v_add_f32_e32 v25, v27, v25
	v_cvt_i32_f32_e32 v26, v26
	v_exp_f32_e32 v25, v25
	v_cmp_ngt_f32_e32 vcc, s24, v24
	v_ldexp_f32 v25, v25, v26
	s_nop 0
	v_cndmask_b32_e32 v25, 0, v25, vcc
	v_cmp_nlt_f32_e32 vcc, s25, v24
	s_nop 1
	v_cndmask_b32_e32 v24, v19, v25, vcc
	v_add_f32_e32 v24, 1.0, v24
	v_rcp_f32_e32 v24, v24
	s_nop 0
	v_fma_f32 v24, v24, -2.0, 1.0
.LBB579_9:                              ;   in Loop: Header=BB579_3 Depth=1
	s_andn2_saveexec_b64 s[20:21], s[20:21]
; %bb.10:                               ;   in Loop: Header=BB579_3 Depth=1
	v_mul_f32_e32 v24, v23, v23
	v_fmamk_f32 v25, v24, 0xbbbac73d, v18
	v_fmaak_f32 v25, v24, v25, 0xbd5c1c4e
	v_fmaak_f32 v25, v24, v25, 0x3e088382
	;; [unrolled: 1-line block ×3, first 2 shown]
	v_mul_f32_e64 v25, |v23|, v25
	v_fma_f32 v24, v24, v25, |v23|
; %bb.11:                               ;   in Loop: Header=BB579_3 Depth=1
	s_or_b64 exec, exec, s[20:21]
	v_bfi_b32 v21, s26, v22, v21
	v_mul_f32_e32 v12, 0.5, v12
	v_add_f32_e32 v21, 1.0, v21
	v_mul_f32_e32 v12, v12, v21
	v_bfi_b32 v21, s26, v24, v23
	v_mul_f32_e32 v13, 0.5, v13
	v_add_f32_e32 v21, 1.0, v21
	v_mul_f32_e32 v13, v13, v21
	s_waitcnt vmcnt(1)
	;;#ASMSTART
	v_pk_mul_f32 v[8:9], v[12:13], v[8:9]
	;;#ASMEND
	v_mul_f32_e32 v12, v14, v14
	v_mul_f32_e32 v12, v14, v12
	v_fmamk_f32 v12, v12, 0x3d372713, v14
	v_mul_f32_e32 v12, 0x3f4c422a, v12
	v_cmp_nlt_f32_e64 s[20:21], |v12|, s22
                                        ; implicit-def: $vgpr13
	s_and_saveexec_b64 s[28:29], s[20:21]
	s_xor_b64 s[20:21], exec, s[28:29]
	s_cbranch_execz .LBB579_13
; %bb.12:                               ;   in Loop: Header=BB579_3 Depth=1
	v_add_f32_e64 v13, |v12|, |v12|
	v_mul_f32_e32 v21, 0x3fb8aa3b, v13
	v_rndne_f32_e32 v22, v21
	v_sub_f32_e32 v23, v21, v22
	v_fma_f32 v21, v13, s23, -v21
	v_fmac_f32_e32 v21, 0x32a5705f, v13
	v_add_f32_e32 v21, v23, v21
	v_cvt_i32_f32_e32 v22, v22
	v_exp_f32_e32 v21, v21
	v_cmp_ngt_f32_e32 vcc, s24, v13
	v_ldexp_f32 v21, v21, v22
	s_nop 0
	v_cndmask_b32_e32 v21, 0, v21, vcc
	v_cmp_nlt_f32_e32 vcc, s25, v13
	s_nop 1
	v_cndmask_b32_e32 v13, v19, v21, vcc
	v_add_f32_e32 v13, 1.0, v13
	v_rcp_f32_e32 v13, v13
	s_nop 0
	v_fma_f32 v13, v13, -2.0, 1.0
.LBB579_13:                             ;   in Loop: Header=BB579_3 Depth=1
	s_andn2_saveexec_b64 s[20:21], s[20:21]
; %bb.14:                               ;   in Loop: Header=BB579_3 Depth=1
	v_mul_f32_e32 v13, v12, v12
	v_fmamk_f32 v21, v13, 0xbbbac73d, v18
	v_fmaak_f32 v21, v13, v21, 0xbd5c1c4e
	v_fmaak_f32 v21, v13, v21, 0x3e088382
	;; [unrolled: 1-line block ×3, first 2 shown]
	v_mul_f32_e64 v21, |v12|, v21
	v_fma_f32 v13, v13, v21, |v12|
; %bb.15:                               ;   in Loop: Header=BB579_3 Depth=1
	s_or_b64 exec, exec, s[20:21]
	v_mul_f32_e32 v21, v15, v15
	v_mul_f32_e32 v21, v15, v21
	v_fmamk_f32 v21, v21, 0x3d372713, v15
	v_mul_f32_e32 v21, 0x3f4c422a, v21
	v_cmp_nlt_f32_e64 s[20:21], |v21|, s22
                                        ; implicit-def: $vgpr22
	s_and_saveexec_b64 s[28:29], s[20:21]
	s_xor_b64 s[20:21], exec, s[28:29]
	s_cbranch_execz .LBB579_17
; %bb.16:                               ;   in Loop: Header=BB579_3 Depth=1
	v_add_f32_e64 v22, |v21|, |v21|
	v_mul_f32_e32 v23, 0x3fb8aa3b, v22
	v_rndne_f32_e32 v24, v23
	v_sub_f32_e32 v25, v23, v24
	v_fma_f32 v23, v22, s23, -v23
	v_fmac_f32_e32 v23, 0x32a5705f, v22
	v_add_f32_e32 v23, v25, v23
	v_cvt_i32_f32_e32 v24, v24
	v_exp_f32_e32 v23, v23
	v_cmp_ngt_f32_e32 vcc, s24, v22
	v_ldexp_f32 v23, v23, v24
	s_nop 0
	v_cndmask_b32_e32 v23, 0, v23, vcc
	v_cmp_nlt_f32_e32 vcc, s25, v22
	s_nop 1
	v_cndmask_b32_e32 v22, v19, v23, vcc
	v_add_f32_e32 v22, 1.0, v22
	v_rcp_f32_e32 v22, v22
	s_nop 0
	v_fma_f32 v22, v22, -2.0, 1.0
.LBB579_17:                             ;   in Loop: Header=BB579_3 Depth=1
	s_andn2_saveexec_b64 s[20:21], s[20:21]
; %bb.18:                               ;   in Loop: Header=BB579_3 Depth=1
	v_mul_f32_e32 v22, v21, v21
	v_fmamk_f32 v23, v22, 0xbbbac73d, v18
	v_fmaak_f32 v23, v22, v23, 0xbd5c1c4e
	v_fmaak_f32 v23, v22, v23, 0x3e088382
	;; [unrolled: 1-line block ×3, first 2 shown]
	v_mul_f32_e64 v23, |v21|, v23
	v_fma_f32 v22, v22, v23, |v21|
; %bb.19:                               ;   in Loop: Header=BB579_3 Depth=1
	s_or_b64 exec, exec, s[20:21]
	v_bfi_b32 v12, s26, v13, v12
	v_mul_f32_e32 v14, 0.5, v14
	v_add_f32_e32 v12, 1.0, v12
	v_mul_f32_e32 v12, v14, v12
	v_bfi_b32 v14, s26, v22, v21
	v_mul_f32_e32 v13, 0.5, v15
	v_add_f32_e32 v14, 1.0, v14
	v_mul_f32_e32 v13, v13, v14
	;;#ASMSTART
	v_pk_mul_f32 v[10:11], v[12:13], v[10:11]
	;;#ASMEND
	v_mul_f32_e32 v12, v4, v4
	v_mul_f32_e32 v12, v4, v12
	v_fmamk_f32 v12, v12, 0x3d372713, v4
	v_mul_f32_e32 v12, 0x3f4c422a, v12
	v_cmp_nlt_f32_e64 s[20:21], |v12|, s22
                                        ; implicit-def: $vgpr13
	s_and_saveexec_b64 s[28:29], s[20:21]
	s_xor_b64 s[20:21], exec, s[28:29]
	s_cbranch_execz .LBB579_21
; %bb.20:                               ;   in Loop: Header=BB579_3 Depth=1
	v_add_f32_e64 v13, |v12|, |v12|
	v_mul_f32_e32 v14, 0x3fb8aa3b, v13
	v_rndne_f32_e32 v15, v14
	v_sub_f32_e32 v21, v14, v15
	v_fma_f32 v14, v13, s23, -v14
	v_fmac_f32_e32 v14, 0x32a5705f, v13
	v_add_f32_e32 v14, v21, v14
	v_cvt_i32_f32_e32 v15, v15
	v_exp_f32_e32 v14, v14
	v_cmp_ngt_f32_e32 vcc, s24, v13
	v_ldexp_f32 v14, v14, v15
	s_nop 0
	v_cndmask_b32_e32 v14, 0, v14, vcc
	v_cmp_nlt_f32_e32 vcc, s25, v13
	s_nop 1
	v_cndmask_b32_e32 v13, v19, v14, vcc
	v_add_f32_e32 v13, 1.0, v13
	v_rcp_f32_e32 v13, v13
	s_nop 0
	v_fma_f32 v13, v13, -2.0, 1.0
.LBB579_21:                             ;   in Loop: Header=BB579_3 Depth=1
	s_andn2_saveexec_b64 s[20:21], s[20:21]
; %bb.22:                               ;   in Loop: Header=BB579_3 Depth=1
	v_mul_f32_e32 v13, v12, v12
	v_fmamk_f32 v14, v13, 0xbbbac73d, v18
	v_fmaak_f32 v14, v13, v14, 0xbd5c1c4e
	v_fmaak_f32 v14, v13, v14, 0x3e088382
	;; [unrolled: 1-line block ×3, first 2 shown]
	v_mul_f32_e64 v14, |v12|, v14
	v_fma_f32 v13, v13, v14, |v12|
; %bb.23:                               ;   in Loop: Header=BB579_3 Depth=1
	s_or_b64 exec, exec, s[20:21]
	v_mul_f32_e32 v14, v5, v5
	v_mul_f32_e32 v14, v5, v14
	v_fmamk_f32 v14, v14, 0x3d372713, v5
	v_mul_f32_e32 v14, 0x3f4c422a, v14
	v_cmp_nlt_f32_e64 s[20:21], |v14|, s22
                                        ; implicit-def: $vgpr15
	s_and_saveexec_b64 s[28:29], s[20:21]
	s_xor_b64 s[20:21], exec, s[28:29]
	s_cbranch_execz .LBB579_25
; %bb.24:                               ;   in Loop: Header=BB579_3 Depth=1
	v_add_f32_e64 v15, |v14|, |v14|
	v_mul_f32_e32 v21, 0x3fb8aa3b, v15
	v_rndne_f32_e32 v22, v21
	v_sub_f32_e32 v23, v21, v22
	v_fma_f32 v21, v15, s23, -v21
	v_fmac_f32_e32 v21, 0x32a5705f, v15
	v_add_f32_e32 v21, v23, v21
	v_cvt_i32_f32_e32 v22, v22
	v_exp_f32_e32 v21, v21
	v_cmp_ngt_f32_e32 vcc, s24, v15
	v_ldexp_f32 v21, v21, v22
	s_nop 0
	v_cndmask_b32_e32 v21, 0, v21, vcc
	v_cmp_nlt_f32_e32 vcc, s25, v15
	s_nop 1
	v_cndmask_b32_e32 v15, v19, v21, vcc
	v_add_f32_e32 v15, 1.0, v15
	v_rcp_f32_e32 v15, v15
	s_nop 0
	v_fma_f32 v15, v15, -2.0, 1.0
.LBB579_25:                             ;   in Loop: Header=BB579_3 Depth=1
	s_andn2_saveexec_b64 s[20:21], s[20:21]
; %bb.26:                               ;   in Loop: Header=BB579_3 Depth=1
	v_mul_f32_e32 v15, v14, v14
	v_fmamk_f32 v21, v15, 0xbbbac73d, v18
	v_fmaak_f32 v21, v15, v21, 0xbd5c1c4e
	v_fmaak_f32 v21, v15, v21, 0x3e088382
	;; [unrolled: 1-line block ×3, first 2 shown]
	v_mul_f32_e64 v21, |v14|, v21
	v_fma_f32 v15, v15, v21, |v14|
; %bb.27:                               ;   in Loop: Header=BB579_3 Depth=1
	s_or_b64 exec, exec, s[20:21]
	v_bfi_b32 v12, s26, v13, v12
	v_mul_f32_e32 v4, 0.5, v4
	v_add_f32_e32 v12, 1.0, v12
	v_mul_f32_e32 v4, v4, v12
	v_bfi_b32 v12, s26, v15, v14
	v_mul_f32_e32 v5, 0.5, v5
	v_add_f32_e32 v12, 1.0, v12
	v_mul_f32_e32 v5, v5, v12
	s_waitcnt vmcnt(0)
	;;#ASMSTART
	v_pk_mul_f32 v[0:1], v[4:5], v[0:1]
	;;#ASMEND
	v_mul_f32_e32 v4, v6, v6
	v_mul_f32_e32 v4, v6, v4
	v_fmamk_f32 v4, v4, 0x3d372713, v6
	v_mul_f32_e32 v4, 0x3f4c422a, v4
	v_cmp_nlt_f32_e64 s[20:21], |v4|, s22
                                        ; implicit-def: $vgpr5
	s_and_saveexec_b64 s[28:29], s[20:21]
	s_xor_b64 s[20:21], exec, s[28:29]
	s_cbranch_execz .LBB579_29
; %bb.28:                               ;   in Loop: Header=BB579_3 Depth=1
	v_add_f32_e64 v5, |v4|, |v4|
	v_mul_f32_e32 v12, 0x3fb8aa3b, v5
	v_rndne_f32_e32 v13, v12
	v_sub_f32_e32 v14, v12, v13
	v_fma_f32 v12, v5, s23, -v12
	v_fmac_f32_e32 v12, 0x32a5705f, v5
	v_add_f32_e32 v12, v14, v12
	v_cvt_i32_f32_e32 v13, v13
	v_exp_f32_e32 v12, v12
	v_cmp_ngt_f32_e32 vcc, s24, v5
	v_ldexp_f32 v12, v12, v13
	s_nop 0
	v_cndmask_b32_e32 v12, 0, v12, vcc
	v_cmp_nlt_f32_e32 vcc, s25, v5
	s_nop 1
	v_cndmask_b32_e32 v5, v19, v12, vcc
	v_add_f32_e32 v5, 1.0, v5
	v_rcp_f32_e32 v5, v5
	s_nop 0
	v_fma_f32 v5, v5, -2.0, 1.0
.LBB579_29:                             ;   in Loop: Header=BB579_3 Depth=1
	s_andn2_saveexec_b64 s[20:21], s[20:21]
; %bb.30:                               ;   in Loop: Header=BB579_3 Depth=1
	v_mul_f32_e32 v5, v4, v4
	v_fmamk_f32 v12, v5, 0xbbbac73d, v18
	v_fmaak_f32 v12, v5, v12, 0xbd5c1c4e
	v_fmaak_f32 v12, v5, v12, 0x3e088382
	;; [unrolled: 1-line block ×3, first 2 shown]
	v_mul_f32_e64 v12, |v4|, v12
	v_fma_f32 v5, v5, v12, |v4|
; %bb.31:                               ;   in Loop: Header=BB579_3 Depth=1
	s_or_b64 exec, exec, s[20:21]
	v_mul_f32_e32 v12, v7, v7
	v_mul_f32_e32 v12, v7, v12
	v_fmamk_f32 v12, v12, 0x3d372713, v7
	v_mul_f32_e32 v12, 0x3f4c422a, v12
	v_cmp_nlt_f32_e64 s[20:21], |v12|, s22
                                        ; implicit-def: $vgpr13
	s_and_saveexec_b64 s[28:29], s[20:21]
	s_xor_b64 s[20:21], exec, s[28:29]
	s_cbranch_execz .LBB579_33
; %bb.32:                               ;   in Loop: Header=BB579_3 Depth=1
	v_add_f32_e64 v13, |v12|, |v12|
	v_mul_f32_e32 v14, 0x3fb8aa3b, v13
	v_rndne_f32_e32 v15, v14
	v_sub_f32_e32 v21, v14, v15
	v_fma_f32 v14, v13, s23, -v14
	v_fmac_f32_e32 v14, 0x32a5705f, v13
	v_add_f32_e32 v14, v21, v14
	v_cvt_i32_f32_e32 v15, v15
	v_exp_f32_e32 v14, v14
	v_cmp_ngt_f32_e32 vcc, s24, v13
	v_ldexp_f32 v14, v14, v15
	s_nop 0
	v_cndmask_b32_e32 v14, 0, v14, vcc
	v_cmp_nlt_f32_e32 vcc, s25, v13
	s_nop 1
	v_cndmask_b32_e32 v13, v19, v14, vcc
	v_add_f32_e32 v13, 1.0, v13
	v_rcp_f32_e32 v13, v13
	s_nop 0
	v_fma_f32 v13, v13, -2.0, 1.0
.LBB579_33:                             ;   in Loop: Header=BB579_3 Depth=1
	s_andn2_saveexec_b64 s[20:21], s[20:21]
	s_cbranch_execz .LBB579_2
; %bb.34:                               ;   in Loop: Header=BB579_3 Depth=1
	v_mul_f32_e32 v13, v12, v12
	v_fmamk_f32 v14, v13, 0xbbbac73d, v18
	v_fmaak_f32 v14, v13, v14, 0xbd5c1c4e
	v_fmaak_f32 v14, v13, v14, 0x3e088382
	;; [unrolled: 1-line block ×3, first 2 shown]
	v_mul_f32_e64 v14, |v12|, v14
	v_fma_f32 v13, v13, v14, |v12|
	s_branch .LBB579_2
.LBB579_35:
	s_endpgm
	.section	.rodata,"a",@progbits
	.p2align	6, 0x0
	.amdhsa_kernel _ZN5aiter18act_and_mul_kernelIffTnPFfRKT_EXadL_ZNS_16gelu_tanh_kernelIfEEfS3_EELi8ELb0ELi0EEEvPT0_PS2_if
		.amdhsa_group_segment_fixed_size 0
		.amdhsa_private_segment_fixed_size 0
		.amdhsa_kernarg_size 280
		.amdhsa_user_sgpr_count 2
		.amdhsa_user_sgpr_dispatch_ptr 0
		.amdhsa_user_sgpr_queue_ptr 0
		.amdhsa_user_sgpr_kernarg_segment_ptr 1
		.amdhsa_user_sgpr_dispatch_id 0
		.amdhsa_user_sgpr_kernarg_preload_length 0
		.amdhsa_user_sgpr_kernarg_preload_offset 0
		.amdhsa_user_sgpr_private_segment_size 0
		.amdhsa_uses_dynamic_stack 0
		.amdhsa_enable_private_segment 0
		.amdhsa_system_sgpr_workgroup_id_x 1
		.amdhsa_system_sgpr_workgroup_id_y 0
		.amdhsa_system_sgpr_workgroup_id_z 0
		.amdhsa_system_sgpr_workgroup_info 0
		.amdhsa_system_vgpr_workitem_id 0
		.amdhsa_next_free_vgpr 28
		.amdhsa_next_free_sgpr 30
		.amdhsa_accum_offset 28
		.amdhsa_reserve_vcc 1
		.amdhsa_float_round_mode_32 0
		.amdhsa_float_round_mode_16_64 0
		.amdhsa_float_denorm_mode_32 3
		.amdhsa_float_denorm_mode_16_64 3
		.amdhsa_dx10_clamp 1
		.amdhsa_ieee_mode 1
		.amdhsa_fp16_overflow 0
		.amdhsa_tg_split 0
		.amdhsa_exception_fp_ieee_invalid_op 0
		.amdhsa_exception_fp_denorm_src 0
		.amdhsa_exception_fp_ieee_div_zero 0
		.amdhsa_exception_fp_ieee_overflow 0
		.amdhsa_exception_fp_ieee_underflow 0
		.amdhsa_exception_fp_ieee_inexact 0
		.amdhsa_exception_int_div_zero 0
	.end_amdhsa_kernel
	.section	.text._ZN5aiter18act_and_mul_kernelIffTnPFfRKT_EXadL_ZNS_16gelu_tanh_kernelIfEEfS3_EELi8ELb0ELi0EEEvPT0_PS2_if,"axG",@progbits,_ZN5aiter18act_and_mul_kernelIffTnPFfRKT_EXadL_ZNS_16gelu_tanh_kernelIfEEfS3_EELi8ELb0ELi0EEEvPT0_PS2_if,comdat
.Lfunc_end579:
	.size	_ZN5aiter18act_and_mul_kernelIffTnPFfRKT_EXadL_ZNS_16gelu_tanh_kernelIfEEfS3_EELi8ELb0ELi0EEEvPT0_PS2_if, .Lfunc_end579-_ZN5aiter18act_and_mul_kernelIffTnPFfRKT_EXadL_ZNS_16gelu_tanh_kernelIfEEfS3_EELi8ELb0ELi0EEEvPT0_PS2_if
                                        ; -- End function
	.section	.AMDGPU.csdata,"",@progbits
; Kernel info:
; codeLenInByte = 2204
; NumSgprs: 36
; NumVgprs: 28
; NumAgprs: 0
; TotalNumVgprs: 28
; ScratchSize: 0
; MemoryBound: 0
; FloatMode: 240
; IeeeMode: 1
; LDSByteSize: 0 bytes/workgroup (compile time only)
; SGPRBlocks: 4
; VGPRBlocks: 3
; NumSGPRsForWavesPerEU: 36
; NumVGPRsForWavesPerEU: 28
; AccumOffset: 28
; Occupancy: 8
; WaveLimiterHint : 0
; COMPUTE_PGM_RSRC2:SCRATCH_EN: 0
; COMPUTE_PGM_RSRC2:USER_SGPR: 2
; COMPUTE_PGM_RSRC2:TRAP_HANDLER: 0
; COMPUTE_PGM_RSRC2:TGID_X_EN: 1
; COMPUTE_PGM_RSRC2:TGID_Y_EN: 0
; COMPUTE_PGM_RSRC2:TGID_Z_EN: 0
; COMPUTE_PGM_RSRC2:TIDIG_COMP_CNT: 0
; COMPUTE_PGM_RSRC3_GFX90A:ACCUM_OFFSET: 6
; COMPUTE_PGM_RSRC3_GFX90A:TG_SPLIT: 0
	.section	.text._ZN5aiter18act_and_mul_kernelIffTnPFfRKT_EXadL_ZNS_16gelu_tanh_kernelIfEEfS3_EELi4ELb0ELi0EEEvPT0_PS2_if,"axG",@progbits,_ZN5aiter18act_and_mul_kernelIffTnPFfRKT_EXadL_ZNS_16gelu_tanh_kernelIfEEfS3_EELi4ELb0ELi0EEEvPT0_PS2_if,comdat
	.protected	_ZN5aiter18act_and_mul_kernelIffTnPFfRKT_EXadL_ZNS_16gelu_tanh_kernelIfEEfS3_EELi4ELb0ELi0EEEvPT0_PS2_if ; -- Begin function _ZN5aiter18act_and_mul_kernelIffTnPFfRKT_EXadL_ZNS_16gelu_tanh_kernelIfEEfS3_EELi4ELb0ELi0EEEvPT0_PS2_if
	.globl	_ZN5aiter18act_and_mul_kernelIffTnPFfRKT_EXadL_ZNS_16gelu_tanh_kernelIfEEfS3_EELi4ELb0ELi0EEEvPT0_PS2_if
	.p2align	8
	.type	_ZN5aiter18act_and_mul_kernelIffTnPFfRKT_EXadL_ZNS_16gelu_tanh_kernelIfEEfS3_EELi4ELb0ELi0EEEvPT0_PS2_if,@function
_ZN5aiter18act_and_mul_kernelIffTnPFfRKT_EXadL_ZNS_16gelu_tanh_kernelIfEEfS3_EELi4ELb0ELi0EEEvPT0_PS2_if: ; @_ZN5aiter18act_and_mul_kernelIffTnPFfRKT_EXadL_ZNS_16gelu_tanh_kernelIfEEfS3_EELi4ELb0ELi0EEEvPT0_PS2_if
; %bb.0:
	s_load_dword s16, s[0:1], 0x10
	v_lshlrev_b32_e32 v8, 2, v0
	s_waitcnt lgkmcnt(0)
	v_cmp_gt_i32_e32 vcc, s16, v8
	s_and_saveexec_b64 s[4:5], vcc
	s_cbranch_execz .LBB580_19
; %bb.1:
	s_load_dwordx4 s[12:15], s[0:1], 0x0
	s_ashr_i32 s17, s16, 31
	s_mul_hi_u32 s3, s16, s2
	s_mul_i32 s4, s17, s2
	s_add_i32 s3, s3, s4
	s_mul_i32 s2, s16, s2
	s_lshl_b64 s[4:5], s[2:3], 3
	s_waitcnt lgkmcnt(0)
	s_add_u32 s4, s14, s4
	s_addc_u32 s5, s15, s5
	s_lshl_b64 s[6:7], s[16:17], 2
	s_add_u32 s8, s4, s6
	s_addc_u32 s9, s5, s7
	s_lshl_b32 s6, s16, 2
	s_and_b32 s5, s5, 0xffff
	s_and_b32 s9, s9, 0xffff
	s_lshl_b64 s[2:3], s[2:3], 2
	s_add_u32 s12, s12, s2
	s_addc_u32 s2, s13, s3
	s_and_b32 s13, s2, 0xffff
	s_mov_b32 s7, 0x20000
	s_add_u32 s0, s0, 24
	v_mov_b32_e32 v9, 0
	s_addc_u32 s1, s1, 0
	s_mov_b64 s[2:3], 0
	s_mov_b32 s19, 0
	s_mov_b32 s10, s6
	;; [unrolled: 1-line block ×7, first 2 shown]
	v_mov_b32_e32 v10, 0x3ca908c9
	s_brev_b32 s26, -2
	v_mov_b32_e32 v11, 0x7f800000
	s_mov_b32 s14, s6
	s_mov_b32 s15, s7
                                        ; implicit-def: $vgpr0
                                        ; implicit-def: $vgpr0
	;; [unrolled: 1-line block ×3, first 2 shown]
	s_branch .LBB580_3
.LBB580_2:                              ;   in Loop: Header=BB580_3 Depth=1
	s_or_b64 exec, exec, s[20:21]
	v_bfi_b32 v4, s26, v5, v4
	v_mul_f32_e32 v6, 0.5, v6
	v_add_f32_e32 v4, 1.0, v4
	v_mul_f32_e32 v4, v6, v4
	v_bfi_b32 v6, s26, v14, v13
	v_mul_f32_e32 v5, 0.5, v7
	v_add_f32_e32 v6, 1.0, v6
	v_mul_f32_e32 v5, v5, v6
	;;#ASMSTART
	v_pk_mul_f32 v[2:3], v[4:5], v[2:3]
	;;#ASMEND
	s_load_dword s18, s[0:1], 0xc
	buffer_store_dwordx4 v[0:3], v12, s[12:15], 0 offen
	s_waitcnt lgkmcnt(0)
	s_and_b32 s18, s18, 0xffff
	s_lshl_b32 s18, s18, 2
	v_lshl_add_u64 v[8:9], s[18:19], 0, v[8:9]
	v_cmp_le_i64_e32 vcc, s[16:17], v[8:9]
	s_or_b64 s[2:3], vcc, s[2:3]
	s_andn2_b64 exec, exec, s[2:3]
	s_cbranch_execz .LBB580_19
.LBB580_3:                              ; =>This Inner Loop Header: Depth=1
	v_lshlrev_b32_e32 v12, 2, v8
	buffer_load_dwordx4 v[4:7], v12, s[4:7], 0 offen
	buffer_load_dwordx4 v[0:3], v12, s[8:11], 0 offen
                                        ; implicit-def: $vgpr14
	s_waitcnt vmcnt(1)
	v_mul_f32_e32 v13, v4, v4
	v_mul_f32_e32 v13, v4, v13
	v_fmamk_f32 v13, v13, 0x3d372713, v4
	v_mul_f32_e32 v13, 0x3f4c422a, v13
	v_cmp_nlt_f32_e64 s[20:21], |v13|, s22
	s_and_saveexec_b64 s[28:29], s[20:21]
	s_xor_b64 s[20:21], exec, s[28:29]
	s_cbranch_execz .LBB580_5
; %bb.4:                                ;   in Loop: Header=BB580_3 Depth=1
	v_add_f32_e64 v14, |v13|, |v13|
	v_mul_f32_e32 v15, 0x3fb8aa3b, v14
	v_rndne_f32_e32 v16, v15
	v_sub_f32_e32 v17, v15, v16
	v_fma_f32 v15, v14, s23, -v15
	v_fmac_f32_e32 v15, 0x32a5705f, v14
	v_add_f32_e32 v15, v17, v15
	v_cvt_i32_f32_e32 v16, v16
	v_exp_f32_e32 v15, v15
	v_cmp_ngt_f32_e32 vcc, s24, v14
	v_ldexp_f32 v15, v15, v16
	s_nop 0
	v_cndmask_b32_e32 v15, 0, v15, vcc
	v_cmp_nlt_f32_e32 vcc, s25, v14
	s_nop 1
	v_cndmask_b32_e32 v14, v11, v15, vcc
	v_add_f32_e32 v14, 1.0, v14
	v_rcp_f32_e32 v14, v14
	s_nop 0
	v_fma_f32 v14, v14, -2.0, 1.0
.LBB580_5:                              ;   in Loop: Header=BB580_3 Depth=1
	s_andn2_saveexec_b64 s[20:21], s[20:21]
; %bb.6:                                ;   in Loop: Header=BB580_3 Depth=1
	v_mul_f32_e32 v14, v13, v13
	v_fmamk_f32 v15, v14, 0xbbbac73d, v10
	v_fmaak_f32 v15, v14, v15, 0xbd5c1c4e
	v_fmaak_f32 v15, v14, v15, 0x3e088382
	;; [unrolled: 1-line block ×3, first 2 shown]
	v_mul_f32_e64 v15, |v13|, v15
	v_fma_f32 v14, v14, v15, |v13|
; %bb.7:                                ;   in Loop: Header=BB580_3 Depth=1
	s_or_b64 exec, exec, s[20:21]
	v_mul_f32_e32 v15, v5, v5
	v_mul_f32_e32 v15, v5, v15
	v_fmamk_f32 v15, v15, 0x3d372713, v5
	v_mul_f32_e32 v15, 0x3f4c422a, v15
	v_cmp_nlt_f32_e64 s[20:21], |v15|, s22
                                        ; implicit-def: $vgpr16
	s_and_saveexec_b64 s[28:29], s[20:21]
	s_xor_b64 s[20:21], exec, s[28:29]
	s_cbranch_execz .LBB580_9
; %bb.8:                                ;   in Loop: Header=BB580_3 Depth=1
	v_add_f32_e64 v16, |v15|, |v15|
	v_mul_f32_e32 v17, 0x3fb8aa3b, v16
	v_rndne_f32_e32 v18, v17
	v_sub_f32_e32 v19, v17, v18
	v_fma_f32 v17, v16, s23, -v17
	v_fmac_f32_e32 v17, 0x32a5705f, v16
	v_add_f32_e32 v17, v19, v17
	v_cvt_i32_f32_e32 v18, v18
	v_exp_f32_e32 v17, v17
	v_cmp_ngt_f32_e32 vcc, s24, v16
	v_ldexp_f32 v17, v17, v18
	s_nop 0
	v_cndmask_b32_e32 v17, 0, v17, vcc
	v_cmp_nlt_f32_e32 vcc, s25, v16
	s_nop 1
	v_cndmask_b32_e32 v16, v11, v17, vcc
	v_add_f32_e32 v16, 1.0, v16
	v_rcp_f32_e32 v16, v16
	s_nop 0
	v_fma_f32 v16, v16, -2.0, 1.0
.LBB580_9:                              ;   in Loop: Header=BB580_3 Depth=1
	s_andn2_saveexec_b64 s[20:21], s[20:21]
; %bb.10:                               ;   in Loop: Header=BB580_3 Depth=1
	v_mul_f32_e32 v16, v15, v15
	v_fmamk_f32 v17, v16, 0xbbbac73d, v10
	v_fmaak_f32 v17, v16, v17, 0xbd5c1c4e
	v_fmaak_f32 v17, v16, v17, 0x3e088382
	;; [unrolled: 1-line block ×3, first 2 shown]
	v_mul_f32_e64 v17, |v15|, v17
	v_fma_f32 v16, v16, v17, |v15|
; %bb.11:                               ;   in Loop: Header=BB580_3 Depth=1
	s_or_b64 exec, exec, s[20:21]
	v_bfi_b32 v13, s26, v14, v13
	v_mul_f32_e32 v4, 0.5, v4
	v_add_f32_e32 v13, 1.0, v13
	v_mul_f32_e32 v4, v4, v13
	v_bfi_b32 v13, s26, v16, v15
	v_mul_f32_e32 v5, 0.5, v5
	v_add_f32_e32 v13, 1.0, v13
	v_mul_f32_e32 v5, v5, v13
	s_waitcnt vmcnt(0)
	;;#ASMSTART
	v_pk_mul_f32 v[0:1], v[4:5], v[0:1]
	;;#ASMEND
	v_mul_f32_e32 v4, v6, v6
	v_mul_f32_e32 v4, v6, v4
	v_fmamk_f32 v4, v4, 0x3d372713, v6
	v_mul_f32_e32 v4, 0x3f4c422a, v4
	v_cmp_nlt_f32_e64 s[20:21], |v4|, s22
                                        ; implicit-def: $vgpr5
	s_and_saveexec_b64 s[28:29], s[20:21]
	s_xor_b64 s[20:21], exec, s[28:29]
	s_cbranch_execz .LBB580_13
; %bb.12:                               ;   in Loop: Header=BB580_3 Depth=1
	v_add_f32_e64 v5, |v4|, |v4|
	v_mul_f32_e32 v13, 0x3fb8aa3b, v5
	v_rndne_f32_e32 v14, v13
	v_sub_f32_e32 v15, v13, v14
	v_fma_f32 v13, v5, s23, -v13
	v_fmac_f32_e32 v13, 0x32a5705f, v5
	v_add_f32_e32 v13, v15, v13
	v_cvt_i32_f32_e32 v14, v14
	v_exp_f32_e32 v13, v13
	v_cmp_ngt_f32_e32 vcc, s24, v5
	v_ldexp_f32 v13, v13, v14
	s_nop 0
	v_cndmask_b32_e32 v13, 0, v13, vcc
	v_cmp_nlt_f32_e32 vcc, s25, v5
	s_nop 1
	v_cndmask_b32_e32 v5, v11, v13, vcc
	v_add_f32_e32 v5, 1.0, v5
	v_rcp_f32_e32 v5, v5
	s_nop 0
	v_fma_f32 v5, v5, -2.0, 1.0
.LBB580_13:                             ;   in Loop: Header=BB580_3 Depth=1
	s_andn2_saveexec_b64 s[20:21], s[20:21]
; %bb.14:                               ;   in Loop: Header=BB580_3 Depth=1
	v_mul_f32_e32 v5, v4, v4
	v_fmamk_f32 v13, v5, 0xbbbac73d, v10
	v_fmaak_f32 v13, v5, v13, 0xbd5c1c4e
	v_fmaak_f32 v13, v5, v13, 0x3e088382
	;; [unrolled: 1-line block ×3, first 2 shown]
	v_mul_f32_e64 v13, |v4|, v13
	v_fma_f32 v5, v5, v13, |v4|
; %bb.15:                               ;   in Loop: Header=BB580_3 Depth=1
	s_or_b64 exec, exec, s[20:21]
	v_mul_f32_e32 v13, v7, v7
	v_mul_f32_e32 v13, v7, v13
	v_fmamk_f32 v13, v13, 0x3d372713, v7
	v_mul_f32_e32 v13, 0x3f4c422a, v13
	v_cmp_nlt_f32_e64 s[20:21], |v13|, s22
                                        ; implicit-def: $vgpr14
	s_and_saveexec_b64 s[28:29], s[20:21]
	s_xor_b64 s[20:21], exec, s[28:29]
	s_cbranch_execz .LBB580_17
; %bb.16:                               ;   in Loop: Header=BB580_3 Depth=1
	v_add_f32_e64 v14, |v13|, |v13|
	v_mul_f32_e32 v15, 0x3fb8aa3b, v14
	v_rndne_f32_e32 v16, v15
	v_sub_f32_e32 v17, v15, v16
	v_fma_f32 v15, v14, s23, -v15
	v_fmac_f32_e32 v15, 0x32a5705f, v14
	v_add_f32_e32 v15, v17, v15
	v_cvt_i32_f32_e32 v16, v16
	v_exp_f32_e32 v15, v15
	v_cmp_ngt_f32_e32 vcc, s24, v14
	v_ldexp_f32 v15, v15, v16
	s_nop 0
	v_cndmask_b32_e32 v15, 0, v15, vcc
	v_cmp_nlt_f32_e32 vcc, s25, v14
	s_nop 1
	v_cndmask_b32_e32 v14, v11, v15, vcc
	v_add_f32_e32 v14, 1.0, v14
	v_rcp_f32_e32 v14, v14
	s_nop 0
	v_fma_f32 v14, v14, -2.0, 1.0
.LBB580_17:                             ;   in Loop: Header=BB580_3 Depth=1
	s_andn2_saveexec_b64 s[20:21], s[20:21]
	s_cbranch_execz .LBB580_2
; %bb.18:                               ;   in Loop: Header=BB580_3 Depth=1
	v_mul_f32_e32 v14, v13, v13
	v_fmamk_f32 v15, v14, 0xbbbac73d, v10
	v_fmaak_f32 v15, v14, v15, 0xbd5c1c4e
	v_fmaak_f32 v15, v14, v15, 0x3e088382
	;; [unrolled: 1-line block ×3, first 2 shown]
	v_mul_f32_e64 v15, |v13|, v15
	v_fma_f32 v14, v14, v15, |v13|
	s_branch .LBB580_2
.LBB580_19:
	s_endpgm
	.section	.rodata,"a",@progbits
	.p2align	6, 0x0
	.amdhsa_kernel _ZN5aiter18act_and_mul_kernelIffTnPFfRKT_EXadL_ZNS_16gelu_tanh_kernelIfEEfS3_EELi4ELb0ELi0EEEvPT0_PS2_if
		.amdhsa_group_segment_fixed_size 0
		.amdhsa_private_segment_fixed_size 0
		.amdhsa_kernarg_size 280
		.amdhsa_user_sgpr_count 2
		.amdhsa_user_sgpr_dispatch_ptr 0
		.amdhsa_user_sgpr_queue_ptr 0
		.amdhsa_user_sgpr_kernarg_segment_ptr 1
		.amdhsa_user_sgpr_dispatch_id 0
		.amdhsa_user_sgpr_kernarg_preload_length 0
		.amdhsa_user_sgpr_kernarg_preload_offset 0
		.amdhsa_user_sgpr_private_segment_size 0
		.amdhsa_uses_dynamic_stack 0
		.amdhsa_enable_private_segment 0
		.amdhsa_system_sgpr_workgroup_id_x 1
		.amdhsa_system_sgpr_workgroup_id_y 0
		.amdhsa_system_sgpr_workgroup_id_z 0
		.amdhsa_system_sgpr_workgroup_info 0
		.amdhsa_system_vgpr_workitem_id 0
		.amdhsa_next_free_vgpr 20
		.amdhsa_next_free_sgpr 30
		.amdhsa_accum_offset 20
		.amdhsa_reserve_vcc 1
		.amdhsa_float_round_mode_32 0
		.amdhsa_float_round_mode_16_64 0
		.amdhsa_float_denorm_mode_32 3
		.amdhsa_float_denorm_mode_16_64 3
		.amdhsa_dx10_clamp 1
		.amdhsa_ieee_mode 1
		.amdhsa_fp16_overflow 0
		.amdhsa_tg_split 0
		.amdhsa_exception_fp_ieee_invalid_op 0
		.amdhsa_exception_fp_denorm_src 0
		.amdhsa_exception_fp_ieee_div_zero 0
		.amdhsa_exception_fp_ieee_overflow 0
		.amdhsa_exception_fp_ieee_underflow 0
		.amdhsa_exception_fp_ieee_inexact 0
		.amdhsa_exception_int_div_zero 0
	.end_amdhsa_kernel
	.section	.text._ZN5aiter18act_and_mul_kernelIffTnPFfRKT_EXadL_ZNS_16gelu_tanh_kernelIfEEfS3_EELi4ELb0ELi0EEEvPT0_PS2_if,"axG",@progbits,_ZN5aiter18act_and_mul_kernelIffTnPFfRKT_EXadL_ZNS_16gelu_tanh_kernelIfEEfS3_EELi4ELb0ELi0EEEvPT0_PS2_if,comdat
.Lfunc_end580:
	.size	_ZN5aiter18act_and_mul_kernelIffTnPFfRKT_EXadL_ZNS_16gelu_tanh_kernelIfEEfS3_EELi4ELb0ELi0EEEvPT0_PS2_if, .Lfunc_end580-_ZN5aiter18act_and_mul_kernelIffTnPFfRKT_EXadL_ZNS_16gelu_tanh_kernelIfEEfS3_EELi4ELb0ELi0EEEvPT0_PS2_if
                                        ; -- End function
	.section	.AMDGPU.csdata,"",@progbits
; Kernel info:
; codeLenInByte = 1248
; NumSgprs: 36
; NumVgprs: 20
; NumAgprs: 0
; TotalNumVgprs: 20
; ScratchSize: 0
; MemoryBound: 0
; FloatMode: 240
; IeeeMode: 1
; LDSByteSize: 0 bytes/workgroup (compile time only)
; SGPRBlocks: 4
; VGPRBlocks: 2
; NumSGPRsForWavesPerEU: 36
; NumVGPRsForWavesPerEU: 20
; AccumOffset: 20
; Occupancy: 8
; WaveLimiterHint : 0
; COMPUTE_PGM_RSRC2:SCRATCH_EN: 0
; COMPUTE_PGM_RSRC2:USER_SGPR: 2
; COMPUTE_PGM_RSRC2:TRAP_HANDLER: 0
; COMPUTE_PGM_RSRC2:TGID_X_EN: 1
; COMPUTE_PGM_RSRC2:TGID_Y_EN: 0
; COMPUTE_PGM_RSRC2:TGID_Z_EN: 0
; COMPUTE_PGM_RSRC2:TIDIG_COMP_CNT: 0
; COMPUTE_PGM_RSRC3_GFX90A:ACCUM_OFFSET: 4
; COMPUTE_PGM_RSRC3_GFX90A:TG_SPLIT: 0
	.section	.text._ZN5aiter18act_and_mul_kernelIffTnPFfRKT_EXadL_ZNS_16gelu_tanh_kernelIfEEfS3_EELi2ELb0ELi0EEEvPT0_PS2_if,"axG",@progbits,_ZN5aiter18act_and_mul_kernelIffTnPFfRKT_EXadL_ZNS_16gelu_tanh_kernelIfEEfS3_EELi2ELb0ELi0EEEvPT0_PS2_if,comdat
	.protected	_ZN5aiter18act_and_mul_kernelIffTnPFfRKT_EXadL_ZNS_16gelu_tanh_kernelIfEEfS3_EELi2ELb0ELi0EEEvPT0_PS2_if ; -- Begin function _ZN5aiter18act_and_mul_kernelIffTnPFfRKT_EXadL_ZNS_16gelu_tanh_kernelIfEEfS3_EELi2ELb0ELi0EEEvPT0_PS2_if
	.globl	_ZN5aiter18act_and_mul_kernelIffTnPFfRKT_EXadL_ZNS_16gelu_tanh_kernelIfEEfS3_EELi2ELb0ELi0EEEvPT0_PS2_if
	.p2align	8
	.type	_ZN5aiter18act_and_mul_kernelIffTnPFfRKT_EXadL_ZNS_16gelu_tanh_kernelIfEEfS3_EELi2ELb0ELi0EEEvPT0_PS2_if,@function
_ZN5aiter18act_and_mul_kernelIffTnPFfRKT_EXadL_ZNS_16gelu_tanh_kernelIfEEfS3_EELi2ELb0ELi0EEEvPT0_PS2_if: ; @_ZN5aiter18act_and_mul_kernelIffTnPFfRKT_EXadL_ZNS_16gelu_tanh_kernelIfEEfS3_EELi2ELb0ELi0EEEvPT0_PS2_if
; %bb.0:
	s_load_dword s16, s[0:1], 0x10
	v_lshlrev_b32_e32 v0, 1, v0
	s_waitcnt lgkmcnt(0)
	v_cmp_gt_i32_e32 vcc, s16, v0
	s_and_saveexec_b64 s[4:5], vcc
	s_cbranch_execz .LBB581_7
; %bb.1:
	s_load_dwordx4 s[12:15], s[0:1], 0x0
	s_ashr_i32 s17, s16, 31
	s_mul_hi_u32 s3, s16, s2
	s_mul_i32 s4, s17, s2
	s_add_i32 s3, s3, s4
	s_mul_i32 s2, s16, s2
	s_lshl_b64 s[4:5], s[2:3], 3
	s_waitcnt lgkmcnt(0)
	s_add_u32 s4, s14, s4
	s_addc_u32 s5, s15, s5
	s_lshl_b64 s[6:7], s[16:17], 2
	s_add_u32 s8, s4, s6
	s_addc_u32 s9, s5, s7
	s_lshl_b32 s6, s16, 2
	s_and_b32 s5, s5, 0xffff
	s_and_b32 s9, s9, 0xffff
	s_lshl_b64 s[2:3], s[2:3], 2
	s_add_u32 s12, s12, s2
	s_addc_u32 s2, s13, s3
	s_and_b32 s13, s2, 0xffff
	s_mov_b32 s7, 0x20000
	s_add_u32 s0, s0, 24
	v_mov_b32_e32 v1, 0
	s_addc_u32 s1, s1, 0
	s_mov_b64 s[2:3], 0
	s_mov_b32 s19, 0
	s_mov_b32 s10, s6
	;; [unrolled: 1-line block ×9, first 2 shown]
	v_mov_b32_e32 v10, 0x3ca908c9
	v_mov_b32_e32 v11, 0x7f800000
	s_brev_b32 s28, -2
	s_mov_b32 s14, s6
	s_mov_b32 s15, s7
                                        ; implicit-def: $vgpr2
                                        ; implicit-def: $vgpr2
	;; [unrolled: 1-line block ×3, first 2 shown]
	s_branch .LBB581_3
.LBB581_2:                              ;   in Loop: Header=BB581_3 Depth=1
	s_or_b64 exec, exec, s[24:25]
	v_add_f32_e64 v8, |v7|, |v7|
	v_mul_f32_e32 v14, 0x3fb8aa3b, v8
	v_rndne_f32_e32 v15, v14
	v_sub_f32_e32 v16, v14, v15
	v_fma_f32 v14, v8, s23, -v14
	v_fmac_f32_e32 v14, 0x32a5705f, v8
	v_add_f32_e32 v14, v16, v14
	v_cvt_i32_f32_e32 v15, v15
	v_exp_f32_e32 v14, v14
	v_cmp_ngt_f32_e32 vcc, s26, v8
	v_bfi_b32 v6, s28, v13, v6
	v_mul_f32_e32 v5, 0.5, v5
	v_ldexp_f32 v14, v14, v15
	v_cndmask_b32_e32 v14, 0, v14, vcc
	v_cmp_nlt_f32_e32 vcc, s27, v8
	v_mul_f32_e32 v4, 0.5, v4
	s_nop 0
	v_cndmask_b32_e32 v8, v11, v14, vcc
	v_add_f32_e32 v8, 1.0, v8
	v_fmamk_f32 v14, v9, 0xbbbac73d, v10
	v_rcp_f32_e32 v8, v8
	v_fmaak_f32 v14, v9, v14, 0xbd5c1c4e
	v_fmaak_f32 v14, v9, v14, 0x3e088382
	;; [unrolled: 1-line block ×3, first 2 shown]
	v_mul_f32_e64 v14, |v7|, v14
	v_fma_f32 v8, v8, -2.0, 1.0
	v_fma_f32 v9, v9, v14, |v7|
	v_cmp_lt_f32_e64 vcc, |v7|, s21
	s_nop 1
	v_cndmask_b32_e32 v8, v8, v9, vcc
	v_bfi_b32 v7, s28, v8, v7
	v_pk_add_f32 v[6:7], v[6:7], 1.0 op_sel_hi:[1,0]
	s_nop 0
	v_pk_mul_f32 v[4:5], v[4:5], v[6:7]
	s_waitcnt vmcnt(0)
	;;#ASMSTART
	v_pk_mul_f32 v[2:3], v[4:5], v[2:3]
	;;#ASMEND
	s_load_dword s18, s[0:1], 0xc
	buffer_store_dwordx2 v[2:3], v12, s[12:15], 0 offen
	s_waitcnt lgkmcnt(0)
	s_and_b32 s18, s18, 0xffff
	s_lshl_b32 s18, s18, 1
	v_lshl_add_u64 v[0:1], s[18:19], 0, v[0:1]
	v_cmp_le_i64_e32 vcc, s[16:17], v[0:1]
	s_or_b64 s[2:3], vcc, s[2:3]
	s_andn2_b64 exec, exec, s[2:3]
	s_cbranch_execz .LBB581_7
.LBB581_3:                              ; =>This Inner Loop Header: Depth=1
	v_lshlrev_b32_e32 v12, 2, v0
	buffer_load_dwordx2 v[4:5], v12, s[4:7], 0 offen
	buffer_load_dwordx2 v[2:3], v12, s[8:11], 0 offen
                                        ; implicit-def: $vgpr13
	s_waitcnt vmcnt(1)
	v_pk_mul_f32 v[6:7], v[4:5], v[4:5]
	s_nop 0
	v_pk_mul_f32 v[6:7], v[6:7], v[4:5]
	s_nop 0
	v_pk_fma_f32 v[6:7], v[6:7], s[20:21], v[4:5] op_sel_hi:[1,0,1]
	s_nop 0
	v_pk_mul_f32 v[6:7], v[6:7], s[22:23] op_sel_hi:[1,0]
	s_nop 0
	v_cmp_nlt_f32_e64 s[24:25], |v6|, s21
	s_and_saveexec_b64 s[30:31], s[24:25]
	s_xor_b64 s[24:25], exec, s[30:31]
	s_cbranch_execz .LBB581_5
; %bb.4:                                ;   in Loop: Header=BB581_3 Depth=1
	v_add_f32_e64 v8, |v6|, |v6|
	v_mul_f32_e32 v9, 0x3fb8aa3b, v8
	v_rndne_f32_e32 v13, v9
	v_sub_f32_e32 v14, v9, v13
	v_fma_f32 v9, v8, s23, -v9
	v_fmac_f32_e32 v9, 0x32a5705f, v8
	v_add_f32_e32 v9, v14, v9
	v_cvt_i32_f32_e32 v13, v13
	v_exp_f32_e32 v9, v9
	v_cmp_ngt_f32_e32 vcc, s26, v8
	v_ldexp_f32 v9, v9, v13
	s_nop 0
	v_cndmask_b32_e32 v9, 0, v9, vcc
	v_cmp_nlt_f32_e32 vcc, s27, v8
	s_nop 1
	v_cndmask_b32_e32 v8, v11, v9, vcc
	v_add_f32_e32 v8, 1.0, v8
	v_rcp_f32_e32 v8, v8
	s_nop 0
	v_fma_f32 v13, v8, -2.0, 1.0
.LBB581_5:                              ;   in Loop: Header=BB581_3 Depth=1
	s_or_saveexec_b64 s[24:25], s[24:25]
	v_pk_mul_f32 v[8:9], v[6:7], v[6:7]
	s_xor_b64 exec, exec, s[24:25]
	s_cbranch_execz .LBB581_2
; %bb.6:                                ;   in Loop: Header=BB581_3 Depth=1
	v_fmamk_f32 v13, v8, 0xbbbac73d, v10
	v_fmaak_f32 v13, v8, v13, 0xbd5c1c4e
	v_fmaak_f32 v13, v8, v13, 0x3e088382
	;; [unrolled: 1-line block ×3, first 2 shown]
	v_mul_f32_e64 v13, |v6|, v13
	v_fma_f32 v13, v8, v13, |v6|
	s_branch .LBB581_2
.LBB581_7:
	s_endpgm
	.section	.rodata,"a",@progbits
	.p2align	6, 0x0
	.amdhsa_kernel _ZN5aiter18act_and_mul_kernelIffTnPFfRKT_EXadL_ZNS_16gelu_tanh_kernelIfEEfS3_EELi2ELb0ELi0EEEvPT0_PS2_if
		.amdhsa_group_segment_fixed_size 0
		.amdhsa_private_segment_fixed_size 0
		.amdhsa_kernarg_size 280
		.amdhsa_user_sgpr_count 2
		.amdhsa_user_sgpr_dispatch_ptr 0
		.amdhsa_user_sgpr_queue_ptr 0
		.amdhsa_user_sgpr_kernarg_segment_ptr 1
		.amdhsa_user_sgpr_dispatch_id 0
		.amdhsa_user_sgpr_kernarg_preload_length 0
		.amdhsa_user_sgpr_kernarg_preload_offset 0
		.amdhsa_user_sgpr_private_segment_size 0
		.amdhsa_uses_dynamic_stack 0
		.amdhsa_enable_private_segment 0
		.amdhsa_system_sgpr_workgroup_id_x 1
		.amdhsa_system_sgpr_workgroup_id_y 0
		.amdhsa_system_sgpr_workgroup_id_z 0
		.amdhsa_system_sgpr_workgroup_info 0
		.amdhsa_system_vgpr_workitem_id 0
		.amdhsa_next_free_vgpr 17
		.amdhsa_next_free_sgpr 32
		.amdhsa_accum_offset 20
		.amdhsa_reserve_vcc 1
		.amdhsa_float_round_mode_32 0
		.amdhsa_float_round_mode_16_64 0
		.amdhsa_float_denorm_mode_32 3
		.amdhsa_float_denorm_mode_16_64 3
		.amdhsa_dx10_clamp 1
		.amdhsa_ieee_mode 1
		.amdhsa_fp16_overflow 0
		.amdhsa_tg_split 0
		.amdhsa_exception_fp_ieee_invalid_op 0
		.amdhsa_exception_fp_denorm_src 0
		.amdhsa_exception_fp_ieee_div_zero 0
		.amdhsa_exception_fp_ieee_overflow 0
		.amdhsa_exception_fp_ieee_underflow 0
		.amdhsa_exception_fp_ieee_inexact 0
		.amdhsa_exception_int_div_zero 0
	.end_amdhsa_kernel
	.section	.text._ZN5aiter18act_and_mul_kernelIffTnPFfRKT_EXadL_ZNS_16gelu_tanh_kernelIfEEfS3_EELi2ELb0ELi0EEEvPT0_PS2_if,"axG",@progbits,_ZN5aiter18act_and_mul_kernelIffTnPFfRKT_EXadL_ZNS_16gelu_tanh_kernelIfEEfS3_EELi2ELb0ELi0EEEvPT0_PS2_if,comdat
.Lfunc_end581:
	.size	_ZN5aiter18act_and_mul_kernelIffTnPFfRKT_EXadL_ZNS_16gelu_tanh_kernelIfEEfS3_EELi2ELb0ELi0EEEvPT0_PS2_if, .Lfunc_end581-_ZN5aiter18act_and_mul_kernelIffTnPFfRKT_EXadL_ZNS_16gelu_tanh_kernelIfEEfS3_EELi2ELb0ELi0EEEvPT0_PS2_if
                                        ; -- End function
	.section	.AMDGPU.csdata,"",@progbits
; Kernel info:
; codeLenInByte = 788
; NumSgprs: 38
; NumVgprs: 17
; NumAgprs: 0
; TotalNumVgprs: 17
; ScratchSize: 0
; MemoryBound: 0
; FloatMode: 240
; IeeeMode: 1
; LDSByteSize: 0 bytes/workgroup (compile time only)
; SGPRBlocks: 4
; VGPRBlocks: 2
; NumSGPRsForWavesPerEU: 38
; NumVGPRsForWavesPerEU: 17
; AccumOffset: 20
; Occupancy: 8
; WaveLimiterHint : 0
; COMPUTE_PGM_RSRC2:SCRATCH_EN: 0
; COMPUTE_PGM_RSRC2:USER_SGPR: 2
; COMPUTE_PGM_RSRC2:TRAP_HANDLER: 0
; COMPUTE_PGM_RSRC2:TGID_X_EN: 1
; COMPUTE_PGM_RSRC2:TGID_Y_EN: 0
; COMPUTE_PGM_RSRC2:TGID_Z_EN: 0
; COMPUTE_PGM_RSRC2:TIDIG_COMP_CNT: 0
; COMPUTE_PGM_RSRC3_GFX90A:ACCUM_OFFSET: 4
; COMPUTE_PGM_RSRC3_GFX90A:TG_SPLIT: 0
	.section	.text._ZN5aiter18act_and_mul_kernelIffTnPFfRKT_EXadL_ZNS_16gelu_tanh_kernelIfEEfS3_EELi1ELb0ELi0EEEvPT0_PS2_if,"axG",@progbits,_ZN5aiter18act_and_mul_kernelIffTnPFfRKT_EXadL_ZNS_16gelu_tanh_kernelIfEEfS3_EELi1ELb0ELi0EEEvPT0_PS2_if,comdat
	.protected	_ZN5aiter18act_and_mul_kernelIffTnPFfRKT_EXadL_ZNS_16gelu_tanh_kernelIfEEfS3_EELi1ELb0ELi0EEEvPT0_PS2_if ; -- Begin function _ZN5aiter18act_and_mul_kernelIffTnPFfRKT_EXadL_ZNS_16gelu_tanh_kernelIfEEfS3_EELi1ELb0ELi0EEEvPT0_PS2_if
	.globl	_ZN5aiter18act_and_mul_kernelIffTnPFfRKT_EXadL_ZNS_16gelu_tanh_kernelIfEEfS3_EELi1ELb0ELi0EEEvPT0_PS2_if
	.p2align	8
	.type	_ZN5aiter18act_and_mul_kernelIffTnPFfRKT_EXadL_ZNS_16gelu_tanh_kernelIfEEfS3_EELi1ELb0ELi0EEEvPT0_PS2_if,@function
_ZN5aiter18act_and_mul_kernelIffTnPFfRKT_EXadL_ZNS_16gelu_tanh_kernelIfEEfS3_EELi1ELb0ELi0EEEvPT0_PS2_if: ; @_ZN5aiter18act_and_mul_kernelIffTnPFfRKT_EXadL_ZNS_16gelu_tanh_kernelIfEEfS3_EELi1ELb0ELi0EEEvPT0_PS2_if
; %bb.0:
	s_load_dword s12, s[0:1], 0x10
	s_waitcnt lgkmcnt(0)
	v_cmp_gt_i32_e32 vcc, s12, v0
	s_and_saveexec_b64 s[4:5], vcc
	s_cbranch_execz .LBB582_7
; %bb.1:
	s_load_dwordx4 s[8:11], s[0:1], 0x0
	s_load_dword s14, s[0:1], 0x24
	s_ashr_i32 s13, s12, 31
	s_mul_hi_u32 s3, s12, s2
	s_mul_i32 s4, s13, s2
	s_add_i32 s7, s3, s4
	s_mul_i32 s6, s12, s2
	s_lshl_b64 s[2:3], s[6:7], 3
	s_waitcnt lgkmcnt(0)
	s_add_u32 s0, s10, s2
	s_addc_u32 s1, s11, s3
	s_lshl_b64 s[2:3], s[12:13], 2
	s_add_u32 s4, s0, s2
	s_addc_u32 s5, s1, s3
	s_lshl_b32 s2, s12, 2
	s_and_b32 s1, s1, 0xffff
	s_and_b32 s5, s5, 0xffff
	s_lshl_b64 s[6:7], s[6:7], 2
	s_add_u32 s8, s8, s6
	s_mov_b32 s3, 0x20000
	s_addc_u32 s6, s9, s7
	s_and_b32 s14, s14, 0xffff
                                        ; implicit-def: $vgpr4
                                        ; implicit-def: $vgpr4
	;; [unrolled: 1-line block ×3, first 2 shown]
	s_and_b32 s9, s6, 0xffff
	s_mov_b32 s15, 0
	v_mov_b32_e32 v1, 0
	v_lshlrev_b32_e32 v2, 2, v0
	s_lshl_b32 s20, s14, 2
	s_mov_b64 s[16:17], 0
	s_mov_b32 s6, s2
	s_mov_b32 s7, s3
	s_mov_b32 s21, 0x3f200000
	s_mov_b32 s22, 0x3fb8aa3b
	s_mov_b32 s23, 0xc2ce8ed0
	s_mov_b32 s24, 0x42b17218
	v_mov_b32_e32 v3, 0x3ca908c9
	s_brev_b32 s25, -2
	v_mov_b32_e32 v4, 0x7f800000
	s_mov_b32 s10, s2
	s_mov_b32 s11, s3
	s_branch .LBB582_3
.LBB582_2:                              ;   in Loop: Header=BB582_3 Depth=1
	s_or_b64 exec, exec, s[18:19]
	v_bfi_b32 v7, s25, v8, v7
	v_mul_f32_e32 v6, 0.5, v6
	v_add_f32_e32 v7, 1.0, v7
	v_mul_f32_e32 v6, v6, v7
	v_lshl_add_u64 v[0:1], v[0:1], 0, s[14:15]
	s_waitcnt vmcnt(0)
	v_mul_f32_e32 v5, v6, v5
	v_cmp_le_i64_e32 vcc, s[12:13], v[0:1]
	buffer_store_dword v5, v2, s[8:11], 0 offen
	s_or_b64 s[16:17], vcc, s[16:17]
	v_add_u32_e32 v2, s20, v2
	s_andn2_b64 exec, exec, s[16:17]
	s_cbranch_execz .LBB582_7
.LBB582_3:                              ; =>This Inner Loop Header: Depth=1
	buffer_load_dword v6, v2, s[0:3], 0 offen
	buffer_load_dword v5, v2, s[4:7], 0 offen
                                        ; implicit-def: $vgpr8
	s_waitcnt vmcnt(1)
	v_mul_f32_e32 v7, v6, v6
	v_mul_f32_e32 v7, v7, v6
	v_fmamk_f32 v7, v7, 0x3d372713, v6
	v_mul_f32_e32 v7, 0x3f4c422a, v7
	v_cmp_nlt_f32_e64 s[18:19], |v7|, s21
	s_and_saveexec_b64 s[26:27], s[18:19]
	s_xor_b64 s[18:19], exec, s[26:27]
	s_cbranch_execz .LBB582_5
; %bb.4:                                ;   in Loop: Header=BB582_3 Depth=1
	v_add_f32_e64 v8, |v7|, |v7|
	v_mul_f32_e32 v9, 0x3fb8aa3b, v8
	v_rndne_f32_e32 v10, v9
	v_sub_f32_e32 v11, v9, v10
	v_fma_f32 v9, v8, s22, -v9
	v_fmac_f32_e32 v9, 0x32a5705f, v8
	v_add_f32_e32 v9, v11, v9
	v_cvt_i32_f32_e32 v10, v10
	v_exp_f32_e32 v9, v9
	v_cmp_ngt_f32_e32 vcc, s23, v8
	v_ldexp_f32 v9, v9, v10
	s_nop 0
	v_cndmask_b32_e32 v9, 0, v9, vcc
	v_cmp_nlt_f32_e32 vcc, s24, v8
	s_nop 1
	v_cndmask_b32_e32 v8, v4, v9, vcc
	v_add_f32_e32 v8, 1.0, v8
	v_rcp_f32_e32 v8, v8
	s_nop 0
	v_fma_f32 v8, v8, -2.0, 1.0
.LBB582_5:                              ;   in Loop: Header=BB582_3 Depth=1
	s_andn2_saveexec_b64 s[18:19], s[18:19]
	s_cbranch_execz .LBB582_2
; %bb.6:                                ;   in Loop: Header=BB582_3 Depth=1
	v_mul_f32_e32 v8, v7, v7
	v_fmamk_f32 v9, v8, 0xbbbac73d, v3
	v_fmaak_f32 v9, v8, v9, 0xbd5c1c4e
	v_fmaak_f32 v9, v8, v9, 0x3e088382
	v_fmaak_f32 v9, v8, v9, 0xbeaaaa99
	v_mul_f32_e64 v9, |v7|, v9
	v_fma_f32 v8, v8, v9, |v7|
	s_branch .LBB582_2
.LBB582_7:
	s_endpgm
	.section	.rodata,"a",@progbits
	.p2align	6, 0x0
	.amdhsa_kernel _ZN5aiter18act_and_mul_kernelIffTnPFfRKT_EXadL_ZNS_16gelu_tanh_kernelIfEEfS3_EELi1ELb0ELi0EEEvPT0_PS2_if
		.amdhsa_group_segment_fixed_size 0
		.amdhsa_private_segment_fixed_size 0
		.amdhsa_kernarg_size 280
		.amdhsa_user_sgpr_count 2
		.amdhsa_user_sgpr_dispatch_ptr 0
		.amdhsa_user_sgpr_queue_ptr 0
		.amdhsa_user_sgpr_kernarg_segment_ptr 1
		.amdhsa_user_sgpr_dispatch_id 0
		.amdhsa_user_sgpr_kernarg_preload_length 0
		.amdhsa_user_sgpr_kernarg_preload_offset 0
		.amdhsa_user_sgpr_private_segment_size 0
		.amdhsa_uses_dynamic_stack 0
		.amdhsa_enable_private_segment 0
		.amdhsa_system_sgpr_workgroup_id_x 1
		.amdhsa_system_sgpr_workgroup_id_y 0
		.amdhsa_system_sgpr_workgroup_id_z 0
		.amdhsa_system_sgpr_workgroup_info 0
		.amdhsa_system_vgpr_workitem_id 0
		.amdhsa_next_free_vgpr 12
		.amdhsa_next_free_sgpr 28
		.amdhsa_accum_offset 12
		.amdhsa_reserve_vcc 1
		.amdhsa_float_round_mode_32 0
		.amdhsa_float_round_mode_16_64 0
		.amdhsa_float_denorm_mode_32 3
		.amdhsa_float_denorm_mode_16_64 3
		.amdhsa_dx10_clamp 1
		.amdhsa_ieee_mode 1
		.amdhsa_fp16_overflow 0
		.amdhsa_tg_split 0
		.amdhsa_exception_fp_ieee_invalid_op 0
		.amdhsa_exception_fp_denorm_src 0
		.amdhsa_exception_fp_ieee_div_zero 0
		.amdhsa_exception_fp_ieee_overflow 0
		.amdhsa_exception_fp_ieee_underflow 0
		.amdhsa_exception_fp_ieee_inexact 0
		.amdhsa_exception_int_div_zero 0
	.end_amdhsa_kernel
	.section	.text._ZN5aiter18act_and_mul_kernelIffTnPFfRKT_EXadL_ZNS_16gelu_tanh_kernelIfEEfS3_EELi1ELb0ELi0EEEvPT0_PS2_if,"axG",@progbits,_ZN5aiter18act_and_mul_kernelIffTnPFfRKT_EXadL_ZNS_16gelu_tanh_kernelIfEEfS3_EELi1ELb0ELi0EEEvPT0_PS2_if,comdat
.Lfunc_end582:
	.size	_ZN5aiter18act_and_mul_kernelIffTnPFfRKT_EXadL_ZNS_16gelu_tanh_kernelIfEEfS3_EELi1ELb0ELi0EEEvPT0_PS2_if, .Lfunc_end582-_ZN5aiter18act_and_mul_kernelIffTnPFfRKT_EXadL_ZNS_16gelu_tanh_kernelIfEEfS3_EELi1ELb0ELi0EEEvPT0_PS2_if
                                        ; -- End function
	.section	.AMDGPU.csdata,"",@progbits
; Kernel info:
; codeLenInByte = 540
; NumSgprs: 34
; NumVgprs: 12
; NumAgprs: 0
; TotalNumVgprs: 12
; ScratchSize: 0
; MemoryBound: 0
; FloatMode: 240
; IeeeMode: 1
; LDSByteSize: 0 bytes/workgroup (compile time only)
; SGPRBlocks: 4
; VGPRBlocks: 1
; NumSGPRsForWavesPerEU: 34
; NumVGPRsForWavesPerEU: 12
; AccumOffset: 12
; Occupancy: 8
; WaveLimiterHint : 0
; COMPUTE_PGM_RSRC2:SCRATCH_EN: 0
; COMPUTE_PGM_RSRC2:USER_SGPR: 2
; COMPUTE_PGM_RSRC2:TRAP_HANDLER: 0
; COMPUTE_PGM_RSRC2:TGID_X_EN: 1
; COMPUTE_PGM_RSRC2:TGID_Y_EN: 0
; COMPUTE_PGM_RSRC2:TGID_Z_EN: 0
; COMPUTE_PGM_RSRC2:TIDIG_COMP_CNT: 0
; COMPUTE_PGM_RSRC3_GFX90A:ACCUM_OFFSET: 2
; COMPUTE_PGM_RSRC3_GFX90A:TG_SPLIT: 0
	.section	.text._ZN5aiter18act_and_mul_kernelIDF16_DF16_TnPFfRKT_EXadL_ZNS_16gelu_tanh_kernelIDF16_EEfS3_EELi32ELb0ELi3EEEvPT0_PS2_if,"axG",@progbits,_ZN5aiter18act_and_mul_kernelIDF16_DF16_TnPFfRKT_EXadL_ZNS_16gelu_tanh_kernelIDF16_EEfS3_EELi32ELb0ELi3EEEvPT0_PS2_if,comdat
	.protected	_ZN5aiter18act_and_mul_kernelIDF16_DF16_TnPFfRKT_EXadL_ZNS_16gelu_tanh_kernelIDF16_EEfS3_EELi32ELb0ELi3EEEvPT0_PS2_if ; -- Begin function _ZN5aiter18act_and_mul_kernelIDF16_DF16_TnPFfRKT_EXadL_ZNS_16gelu_tanh_kernelIDF16_EEfS3_EELi32ELb0ELi3EEEvPT0_PS2_if
	.globl	_ZN5aiter18act_and_mul_kernelIDF16_DF16_TnPFfRKT_EXadL_ZNS_16gelu_tanh_kernelIDF16_EEfS3_EELi32ELb0ELi3EEEvPT0_PS2_if
	.p2align	8
	.type	_ZN5aiter18act_and_mul_kernelIDF16_DF16_TnPFfRKT_EXadL_ZNS_16gelu_tanh_kernelIDF16_EEfS3_EELi32ELb0ELi3EEEvPT0_PS2_if,@function
_ZN5aiter18act_and_mul_kernelIDF16_DF16_TnPFfRKT_EXadL_ZNS_16gelu_tanh_kernelIDF16_EEfS3_EELi32ELb0ELi3EEEvPT0_PS2_if: ; @_ZN5aiter18act_and_mul_kernelIDF16_DF16_TnPFfRKT_EXadL_ZNS_16gelu_tanh_kernelIDF16_EEfS3_EELi32ELb0ELi3EEEvPT0_PS2_if
; %bb.0:
	s_load_dword s16, s[0:1], 0x10
	v_lshlrev_b32_e32 v32, 5, v0
	s_waitcnt lgkmcnt(0)
	v_cmp_gt_i32_e32 vcc, s16, v32
	s_and_saveexec_b64 s[4:5], vcc
	s_cbranch_execz .LBB583_131
; %bb.1:
	s_load_dwordx4 s[12:15], s[0:1], 0x0
	s_ashr_i32 s17, s16, 31
	s_mul_hi_u32 s3, s16, s2
	s_mul_i32 s4, s17, s2
	s_add_i32 s3, s3, s4
	s_mul_i32 s2, s16, s2
	s_lshl_b64 s[10:11], s[2:3], 1
	s_lshl_b64 s[2:3], s[2:3], 2
	s_waitcnt lgkmcnt(0)
	s_add_u32 s4, s14, s2
	s_addc_u32 s5, s15, s3
	s_lshl_b64 s[2:3], s[16:17], 1
	s_add_u32 s8, s4, s2
	s_addc_u32 s2, s5, s3
	s_add_i32 s3, s16, 1
	s_lshr_b32 s6, s3, 31
	s_add_i32 s3, s3, s6
	s_lshl_b32 s3, s3, 1
	s_and_b32 s6, s3, -4
	s_and_b32 s5, s5, 0xffff
	s_and_b32 s9, s2, 0xffff
	s_add_u32 s12, s12, s10
	s_addc_u32 s2, s13, s11
	s_and_b32 s13, s2, 0xffff
	s_mov_b32 s7, 0x20000
	s_add_u32 s0, s0, 24
	v_mov_b32_e32 v33, 0
	s_addc_u32 s1, s1, 0
	s_mov_b64 s[2:3], 0
	s_mov_b32 s19, 0
	s_mov_b32 s22, 0x3d372713
	;; [unrolled: 1-line block ×6, first 2 shown]
	v_mov_b32_e32 v36, 0x3ca908c9
	s_brev_b32 s27, -2
	s_mov_b32 s10, s6
	s_mov_b32 s11, s7
	v_mov_b32_e32 v37, 0x7f800000
	s_mov_b32 s14, s6
	s_mov_b32 s15, s7
                                        ; implicit-def: $vgpr0
                                        ; implicit-def: $vgpr0
	;; [unrolled: 1-line block ×3, first 2 shown]
	s_branch .LBB583_3
.LBB583_2:                              ;   in Loop: Header=BB583_3 Depth=1
	s_or_b64 exec, exec, s[20:21]
	v_bfi_b32 v6, s27, v40, v6
	v_mul_f32_e32 v2, 0.5, v2
	v_add_f32_e32 v6, 1.0, v6
	v_cvt_f16_f32_e32 v40, v1
	v_bfi_b32 v1, s27, v41, v7
	v_mul_f32_e32 v2, v2, v6
	v_cvt_f16_f32_e32 v6, v14
	v_cvt_f16_f32_e32 v14, v15
	;; [unrolled: 1-line block ×3, first 2 shown]
	v_mul_f32_e32 v0, 0.5, v39
	v_add_f32_e32 v1, 1.0, v1
	v_cvt_f32_f16_sdwa v43, v3 dst_sel:DWORD dst_unused:UNUSED_PAD src0_sel:WORD_1
	v_cvt_f32_f16_e32 v42, v3
	v_mul_f32_e32 v3, v0, v1
	;;#ASMSTART
	v_pk_mul_f32 v[0:1], v[2:3], v[42:43]
	;;#ASMEND
	s_load_dword s18, s[0:1], 0xc
	v_cvt_f16_f32_e32 v34, v34
	v_cvt_f16_f32_e32 v35, v35
	;; [unrolled: 1-line block ×28, first 2 shown]
	s_waitcnt lgkmcnt(0)
	s_and_b32 s18, s18, 0xffff
	v_pack_b32_f16 v3, v26, v27
	v_pack_b32_f16 v2, v28, v29
	v_pack_b32_f16 v1, v24, v25
	v_pack_b32_f16 v0, v34, v35
	s_lshl_b32 s18, s18, 5
	buffer_store_dwordx4 v[0:3], v38, s[12:15], 0 offen
	v_lshl_add_u64 v[32:33], s[18:19], 0, v[32:33]
	v_cmp_le_i64_e32 vcc, s[16:17], v[32:33]
	v_pack_b32_f16 v3, v18, v19
	v_pack_b32_f16 v2, v20, v21
	;; [unrolled: 1-line block ×4, first 2 shown]
	buffer_store_dwordx4 v[0:3], v38, s[12:15], 16 offen
	s_or_b64 s[2:3], vcc, s[2:3]
	s_nop 0
	v_pack_b32_f16 v3, v10, v11
	v_pack_b32_f16 v2, v12, v13
	;; [unrolled: 1-line block ×4, first 2 shown]
	buffer_store_dwordx4 v[0:3], v38, s[12:15], 32 offen
	s_nop 1
	v_pack_b32_f16 v3, v7, v39
	v_pack_b32_f16 v2, v4, v5
	;; [unrolled: 1-line block ×4, first 2 shown]
	buffer_store_dwordx4 v[0:3], v38, s[12:15], 48 offen
	s_andn2_b64 exec, exec, s[2:3]
	s_cbranch_execz .LBB583_131
.LBB583_3:                              ; =>This Inner Loop Header: Depth=1
	v_lshlrev_b32_e32 v38, 1, v32
	buffer_load_dwordx4 v[28:31], v38, s[4:7], 0 offen sc0 nt
	buffer_load_dwordx4 v[20:23], v38, s[4:7], 16 offen sc0 nt
	;; [unrolled: 1-line block ×8, first 2 shown]
                                        ; implicit-def: $vgpr39
	s_waitcnt vmcnt(7)
	v_cvt_f32_f16_e32 v34, v28
	v_mul_f32_e32 v35, v34, v34
	v_mul_f32_e32 v35, v35, v34
	v_fma_mix_f32 v35, v35, s22, v28 op_sel_hi:[0,0,1]
	v_mul_f32_e32 v35, 0x3f4c422a, v35
	v_cmp_nlt_f32_e64 s[20:21], |v35|, s23
	s_and_saveexec_b64 s[28:29], s[20:21]
	s_xor_b64 s[20:21], exec, s[28:29]
	s_cbranch_execz .LBB583_5
; %bb.4:                                ;   in Loop: Header=BB583_3 Depth=1
	v_add_f32_e64 v39, |v35|, |v35|
	v_mul_f32_e32 v40, 0x3fb8aa3b, v39
	v_rndne_f32_e32 v41, v40
	v_sub_f32_e32 v42, v40, v41
	v_fma_f32 v40, v39, s24, -v40
	v_fmac_f32_e32 v40, 0x32a5705f, v39
	v_add_f32_e32 v40, v42, v40
	v_cvt_i32_f32_e32 v41, v41
	v_exp_f32_e32 v40, v40
	v_cmp_ngt_f32_e32 vcc, s25, v39
	v_ldexp_f32 v40, v40, v41
	s_nop 0
	v_cndmask_b32_e32 v40, 0, v40, vcc
	v_cmp_nlt_f32_e32 vcc, s26, v39
	s_nop 1
	v_cndmask_b32_e32 v39, v37, v40, vcc
	v_add_f32_e32 v39, 1.0, v39
	v_rcp_f32_e32 v39, v39
	s_nop 0
	v_fma_f32 v39, v39, -2.0, 1.0
.LBB583_5:                              ;   in Loop: Header=BB583_3 Depth=1
	s_andn2_saveexec_b64 s[20:21], s[20:21]
; %bb.6:                                ;   in Loop: Header=BB583_3 Depth=1
	v_mul_f32_e32 v39, v35, v35
	v_fmamk_f32 v40, v39, 0xbbbac73d, v36
	v_fmaak_f32 v40, v39, v40, 0xbd5c1c4e
	v_fmaak_f32 v40, v39, v40, 0x3e088382
	;; [unrolled: 1-line block ×3, first 2 shown]
	v_mul_f32_e64 v40, |v35|, v40
	v_fma_f32 v39, v39, v40, |v35|
; %bb.7:                                ;   in Loop: Header=BB583_3 Depth=1
	s_or_b64 exec, exec, s[20:21]
	v_cvt_f32_f16_sdwa v40, v28 dst_sel:DWORD dst_unused:UNUSED_PAD src0_sel:WORD_1
	v_mul_f32_e32 v41, v40, v40
	v_mul_f32_e32 v41, v41, v40
	v_fma_mix_f32 v28, v41, s22, v28 op_sel:[0,0,1] op_sel_hi:[0,0,1]
	v_mul_f32_e32 v28, 0x3f4c422a, v28
	v_cmp_nlt_f32_e64 s[20:21], |v28|, s23
                                        ; implicit-def: $vgpr41
	s_and_saveexec_b64 s[28:29], s[20:21]
	s_xor_b64 s[20:21], exec, s[28:29]
	s_cbranch_execz .LBB583_9
; %bb.8:                                ;   in Loop: Header=BB583_3 Depth=1
	v_add_f32_e64 v41, |v28|, |v28|
	v_mul_f32_e32 v42, 0x3fb8aa3b, v41
	v_rndne_f32_e32 v43, v42
	v_sub_f32_e32 v44, v42, v43
	v_fma_f32 v42, v41, s24, -v42
	v_fmac_f32_e32 v42, 0x32a5705f, v41
	v_add_f32_e32 v42, v44, v42
	v_cvt_i32_f32_e32 v43, v43
	v_exp_f32_e32 v42, v42
	v_cmp_ngt_f32_e32 vcc, s25, v41
	v_ldexp_f32 v42, v42, v43
	s_nop 0
	v_cndmask_b32_e32 v42, 0, v42, vcc
	v_cmp_nlt_f32_e32 vcc, s26, v41
	s_nop 1
	v_cndmask_b32_e32 v41, v37, v42, vcc
	v_add_f32_e32 v41, 1.0, v41
	v_rcp_f32_e32 v41, v41
	s_nop 0
	v_fma_f32 v41, v41, -2.0, 1.0
.LBB583_9:                              ;   in Loop: Header=BB583_3 Depth=1
	s_andn2_saveexec_b64 s[20:21], s[20:21]
; %bb.10:                               ;   in Loop: Header=BB583_3 Depth=1
	v_mul_f32_e32 v41, v28, v28
	v_fmamk_f32 v42, v41, 0xbbbac73d, v36
	v_fmaak_f32 v42, v41, v42, 0xbd5c1c4e
	v_fmaak_f32 v42, v41, v42, 0x3e088382
	;; [unrolled: 1-line block ×3, first 2 shown]
	v_mul_f32_e64 v42, |v28|, v42
	v_fma_f32 v41, v41, v42, |v28|
; %bb.11:                               ;   in Loop: Header=BB583_3 Depth=1
	s_or_b64 exec, exec, s[20:21]
	s_waitcnt vmcnt(3)
	v_cvt_f32_f16_sdwa v43, v24 dst_sel:DWORD dst_unused:UNUSED_PAD src0_sel:WORD_1
	v_cvt_f32_f16_e32 v42, v24
	v_cvt_f32_f16_e32 v24, v29
	v_bfi_b32 v35, s27, v39, v35
	v_mul_f32_e32 v34, 0.5, v34
	v_add_f32_e32 v35, 1.0, v35
	v_bfi_b32 v28, s27, v41, v28
	v_mul_f32_e32 v34, v34, v35
	v_mul_f32_e32 v35, 0.5, v40
	v_add_f32_e32 v28, 1.0, v28
	v_mul_f32_e32 v35, v35, v28
	v_mul_f32_e32 v28, v24, v24
	;; [unrolled: 1-line block ×3, first 2 shown]
	v_fma_mix_f32 v28, v28, s22, v29 op_sel_hi:[0,0,1]
	v_mul_f32_e32 v28, 0x3f4c422a, v28
	v_cmp_nlt_f32_e64 s[20:21], |v28|, s23
	;;#ASMSTART
	v_pk_mul_f32 v[34:35], v[34:35], v[42:43]
	;;#ASMEND
                                        ; implicit-def: $vgpr39
	s_and_saveexec_b64 s[28:29], s[20:21]
	s_xor_b64 s[20:21], exec, s[28:29]
	s_cbranch_execz .LBB583_13
; %bb.12:                               ;   in Loop: Header=BB583_3 Depth=1
	v_add_f32_e64 v39, |v28|, |v28|
	v_mul_f32_e32 v40, 0x3fb8aa3b, v39
	v_rndne_f32_e32 v41, v40
	v_sub_f32_e32 v42, v40, v41
	v_fma_f32 v40, v39, s24, -v40
	v_fmac_f32_e32 v40, 0x32a5705f, v39
	v_add_f32_e32 v40, v42, v40
	v_cvt_i32_f32_e32 v41, v41
	v_exp_f32_e32 v40, v40
	v_cmp_ngt_f32_e32 vcc, s25, v39
	v_ldexp_f32 v40, v40, v41
	s_nop 0
	v_cndmask_b32_e32 v40, 0, v40, vcc
	v_cmp_nlt_f32_e32 vcc, s26, v39
	s_nop 1
	v_cndmask_b32_e32 v39, v37, v40, vcc
	v_add_f32_e32 v39, 1.0, v39
	v_rcp_f32_e32 v39, v39
	s_nop 0
	v_fma_f32 v39, v39, -2.0, 1.0
.LBB583_13:                             ;   in Loop: Header=BB583_3 Depth=1
	s_andn2_saveexec_b64 s[20:21], s[20:21]
; %bb.14:                               ;   in Loop: Header=BB583_3 Depth=1
	v_mul_f32_e32 v39, v28, v28
	v_fmamk_f32 v40, v39, 0xbbbac73d, v36
	v_fmaak_f32 v40, v39, v40, 0xbd5c1c4e
	v_fmaak_f32 v40, v39, v40, 0x3e088382
	;; [unrolled: 1-line block ×3, first 2 shown]
	v_mul_f32_e64 v40, |v28|, v40
	v_fma_f32 v39, v39, v40, |v28|
; %bb.15:                               ;   in Loop: Header=BB583_3 Depth=1
	s_or_b64 exec, exec, s[20:21]
	v_cvt_f32_f16_sdwa v40, v29 dst_sel:DWORD dst_unused:UNUSED_PAD src0_sel:WORD_1
	v_mul_f32_e32 v41, v40, v40
	v_mul_f32_e32 v41, v41, v40
	v_fma_mix_f32 v29, v41, s22, v29 op_sel:[0,0,1] op_sel_hi:[0,0,1]
	v_mul_f32_e32 v29, 0x3f4c422a, v29
	v_cmp_nlt_f32_e64 s[20:21], |v29|, s23
                                        ; implicit-def: $vgpr41
	s_and_saveexec_b64 s[28:29], s[20:21]
	s_xor_b64 s[20:21], exec, s[28:29]
	s_cbranch_execz .LBB583_17
; %bb.16:                               ;   in Loop: Header=BB583_3 Depth=1
	v_add_f32_e64 v41, |v29|, |v29|
	v_mul_f32_e32 v42, 0x3fb8aa3b, v41
	v_rndne_f32_e32 v43, v42
	v_sub_f32_e32 v44, v42, v43
	v_fma_f32 v42, v41, s24, -v42
	v_fmac_f32_e32 v42, 0x32a5705f, v41
	v_add_f32_e32 v42, v44, v42
	v_cvt_i32_f32_e32 v43, v43
	v_exp_f32_e32 v42, v42
	v_cmp_ngt_f32_e32 vcc, s25, v41
	v_ldexp_f32 v42, v42, v43
	s_nop 0
	v_cndmask_b32_e32 v42, 0, v42, vcc
	v_cmp_nlt_f32_e32 vcc, s26, v41
	s_nop 1
	v_cndmask_b32_e32 v41, v37, v42, vcc
	v_add_f32_e32 v41, 1.0, v41
	v_rcp_f32_e32 v41, v41
	s_nop 0
	v_fma_f32 v41, v41, -2.0, 1.0
.LBB583_17:                             ;   in Loop: Header=BB583_3 Depth=1
	s_andn2_saveexec_b64 s[20:21], s[20:21]
; %bb.18:                               ;   in Loop: Header=BB583_3 Depth=1
	v_mul_f32_e32 v41, v29, v29
	v_fmamk_f32 v42, v41, 0xbbbac73d, v36
	v_fmaak_f32 v42, v41, v42, 0xbd5c1c4e
	v_fmaak_f32 v42, v41, v42, 0x3e088382
	;; [unrolled: 1-line block ×3, first 2 shown]
	v_mul_f32_e64 v42, |v29|, v42
	v_fma_f32 v41, v41, v42, |v29|
; %bb.19:                               ;   in Loop: Header=BB583_3 Depth=1
	s_or_b64 exec, exec, s[20:21]
	v_bfi_b32 v28, s27, v39, v28
	v_mul_f32_e32 v24, 0.5, v24
	v_add_f32_e32 v28, 1.0, v28
	v_mul_f32_e32 v24, v24, v28
	v_cvt_f32_f16_e32 v28, v30
	v_bfi_b32 v29, s27, v41, v29
	v_cvt_f32_f16_sdwa v43, v25 dst_sel:DWORD dst_unused:UNUSED_PAD src0_sel:WORD_1
	v_cvt_f32_f16_e32 v42, v25
	v_mul_f32_e32 v25, 0.5, v40
	v_add_f32_e32 v29, 1.0, v29
	v_mul_f32_e32 v25, v25, v29
	v_mul_f32_e32 v29, v28, v28
	;; [unrolled: 1-line block ×3, first 2 shown]
	v_fma_mix_f32 v29, v29, s22, v30 op_sel_hi:[0,0,1]
	v_mul_f32_e32 v29, 0x3f4c422a, v29
	v_cmp_nlt_f32_e64 s[20:21], |v29|, s23
	;;#ASMSTART
	v_pk_mul_f32 v[24:25], v[24:25], v[42:43]
	;;#ASMEND
                                        ; implicit-def: $vgpr39
	s_and_saveexec_b64 s[28:29], s[20:21]
	s_xor_b64 s[20:21], exec, s[28:29]
	s_cbranch_execz .LBB583_21
; %bb.20:                               ;   in Loop: Header=BB583_3 Depth=1
	v_add_f32_e64 v39, |v29|, |v29|
	v_mul_f32_e32 v40, 0x3fb8aa3b, v39
	v_rndne_f32_e32 v41, v40
	v_sub_f32_e32 v42, v40, v41
	v_fma_f32 v40, v39, s24, -v40
	v_fmac_f32_e32 v40, 0x32a5705f, v39
	v_add_f32_e32 v40, v42, v40
	v_cvt_i32_f32_e32 v41, v41
	v_exp_f32_e32 v40, v40
	v_cmp_ngt_f32_e32 vcc, s25, v39
	v_ldexp_f32 v40, v40, v41
	s_nop 0
	v_cndmask_b32_e32 v40, 0, v40, vcc
	v_cmp_nlt_f32_e32 vcc, s26, v39
	s_nop 1
	v_cndmask_b32_e32 v39, v37, v40, vcc
	v_add_f32_e32 v39, 1.0, v39
	v_rcp_f32_e32 v39, v39
	s_nop 0
	v_fma_f32 v39, v39, -2.0, 1.0
.LBB583_21:                             ;   in Loop: Header=BB583_3 Depth=1
	s_andn2_saveexec_b64 s[20:21], s[20:21]
; %bb.22:                               ;   in Loop: Header=BB583_3 Depth=1
	v_mul_f32_e32 v39, v29, v29
	v_fmamk_f32 v40, v39, 0xbbbac73d, v36
	v_fmaak_f32 v40, v39, v40, 0xbd5c1c4e
	v_fmaak_f32 v40, v39, v40, 0x3e088382
	;; [unrolled: 1-line block ×3, first 2 shown]
	v_mul_f32_e64 v40, |v29|, v40
	v_fma_f32 v39, v39, v40, |v29|
; %bb.23:                               ;   in Loop: Header=BB583_3 Depth=1
	s_or_b64 exec, exec, s[20:21]
	v_cvt_f32_f16_sdwa v40, v30 dst_sel:DWORD dst_unused:UNUSED_PAD src0_sel:WORD_1
	v_mul_f32_e32 v41, v40, v40
	v_mul_f32_e32 v41, v41, v40
	v_fma_mix_f32 v30, v41, s22, v30 op_sel:[0,0,1] op_sel_hi:[0,0,1]
	v_mul_f32_e32 v30, 0x3f4c422a, v30
	v_cmp_nlt_f32_e64 s[20:21], |v30|, s23
                                        ; implicit-def: $vgpr41
	s_and_saveexec_b64 s[28:29], s[20:21]
	s_xor_b64 s[20:21], exec, s[28:29]
	s_cbranch_execz .LBB583_25
; %bb.24:                               ;   in Loop: Header=BB583_3 Depth=1
	v_add_f32_e64 v41, |v30|, |v30|
	v_mul_f32_e32 v42, 0x3fb8aa3b, v41
	v_rndne_f32_e32 v43, v42
	v_sub_f32_e32 v44, v42, v43
	v_fma_f32 v42, v41, s24, -v42
	v_fmac_f32_e32 v42, 0x32a5705f, v41
	v_add_f32_e32 v42, v44, v42
	v_cvt_i32_f32_e32 v43, v43
	v_exp_f32_e32 v42, v42
	v_cmp_ngt_f32_e32 vcc, s25, v41
	v_ldexp_f32 v42, v42, v43
	s_nop 0
	v_cndmask_b32_e32 v42, 0, v42, vcc
	v_cmp_nlt_f32_e32 vcc, s26, v41
	s_nop 1
	v_cndmask_b32_e32 v41, v37, v42, vcc
	v_add_f32_e32 v41, 1.0, v41
	v_rcp_f32_e32 v41, v41
	s_nop 0
	v_fma_f32 v41, v41, -2.0, 1.0
.LBB583_25:                             ;   in Loop: Header=BB583_3 Depth=1
	s_andn2_saveexec_b64 s[20:21], s[20:21]
; %bb.26:                               ;   in Loop: Header=BB583_3 Depth=1
	v_mul_f32_e32 v41, v30, v30
	v_fmamk_f32 v42, v41, 0xbbbac73d, v36
	v_fmaak_f32 v42, v41, v42, 0xbd5c1c4e
	v_fmaak_f32 v42, v41, v42, 0x3e088382
	v_fmaak_f32 v42, v41, v42, 0xbeaaaa99
	v_mul_f32_e64 v42, |v30|, v42
	v_fma_f32 v41, v41, v42, |v30|
; %bb.27:                               ;   in Loop: Header=BB583_3 Depth=1
	s_or_b64 exec, exec, s[20:21]
	v_cvt_f32_f16_sdwa v43, v26 dst_sel:DWORD dst_unused:UNUSED_PAD src0_sel:WORD_1
	v_cvt_f32_f16_e32 v42, v26
	v_cvt_f32_f16_e32 v26, v31
	v_bfi_b32 v29, s27, v39, v29
	v_mul_f32_e32 v28, 0.5, v28
	v_add_f32_e32 v29, 1.0, v29
	v_bfi_b32 v30, s27, v41, v30
	v_mul_f32_e32 v28, v28, v29
	v_mul_f32_e32 v29, 0.5, v40
	v_add_f32_e32 v30, 1.0, v30
	v_mul_f32_e32 v29, v29, v30
	v_mul_f32_e32 v30, v26, v26
	;; [unrolled: 1-line block ×3, first 2 shown]
	v_fma_mix_f32 v30, v30, s22, v31 op_sel_hi:[0,0,1]
	v_mul_f32_e32 v30, 0x3f4c422a, v30
	v_cmp_nlt_f32_e64 s[20:21], |v30|, s23
	;;#ASMSTART
	v_pk_mul_f32 v[28:29], v[28:29], v[42:43]
	;;#ASMEND
                                        ; implicit-def: $vgpr39
	s_and_saveexec_b64 s[28:29], s[20:21]
	s_xor_b64 s[20:21], exec, s[28:29]
	s_cbranch_execz .LBB583_29
; %bb.28:                               ;   in Loop: Header=BB583_3 Depth=1
	v_add_f32_e64 v39, |v30|, |v30|
	v_mul_f32_e32 v40, 0x3fb8aa3b, v39
	v_rndne_f32_e32 v41, v40
	v_sub_f32_e32 v42, v40, v41
	v_fma_f32 v40, v39, s24, -v40
	v_fmac_f32_e32 v40, 0x32a5705f, v39
	v_add_f32_e32 v40, v42, v40
	v_cvt_i32_f32_e32 v41, v41
	v_exp_f32_e32 v40, v40
	v_cmp_ngt_f32_e32 vcc, s25, v39
	v_ldexp_f32 v40, v40, v41
	s_nop 0
	v_cndmask_b32_e32 v40, 0, v40, vcc
	v_cmp_nlt_f32_e32 vcc, s26, v39
	s_nop 1
	v_cndmask_b32_e32 v39, v37, v40, vcc
	v_add_f32_e32 v39, 1.0, v39
	v_rcp_f32_e32 v39, v39
	s_nop 0
	v_fma_f32 v39, v39, -2.0, 1.0
.LBB583_29:                             ;   in Loop: Header=BB583_3 Depth=1
	s_andn2_saveexec_b64 s[20:21], s[20:21]
; %bb.30:                               ;   in Loop: Header=BB583_3 Depth=1
	v_mul_f32_e32 v39, v30, v30
	v_fmamk_f32 v40, v39, 0xbbbac73d, v36
	v_fmaak_f32 v40, v39, v40, 0xbd5c1c4e
	v_fmaak_f32 v40, v39, v40, 0x3e088382
	;; [unrolled: 1-line block ×3, first 2 shown]
	v_mul_f32_e64 v40, |v30|, v40
	v_fma_f32 v39, v39, v40, |v30|
; %bb.31:                               ;   in Loop: Header=BB583_3 Depth=1
	s_or_b64 exec, exec, s[20:21]
	v_cvt_f32_f16_sdwa v40, v31 dst_sel:DWORD dst_unused:UNUSED_PAD src0_sel:WORD_1
	v_mul_f32_e32 v41, v40, v40
	v_mul_f32_e32 v41, v41, v40
	v_fma_mix_f32 v31, v41, s22, v31 op_sel:[0,0,1] op_sel_hi:[0,0,1]
	v_mul_f32_e32 v31, 0x3f4c422a, v31
	v_cmp_nlt_f32_e64 s[20:21], |v31|, s23
                                        ; implicit-def: $vgpr41
	s_and_saveexec_b64 s[28:29], s[20:21]
	s_xor_b64 s[20:21], exec, s[28:29]
	s_cbranch_execz .LBB583_33
; %bb.32:                               ;   in Loop: Header=BB583_3 Depth=1
	v_add_f32_e64 v41, |v31|, |v31|
	v_mul_f32_e32 v42, 0x3fb8aa3b, v41
	v_rndne_f32_e32 v43, v42
	v_sub_f32_e32 v44, v42, v43
	v_fma_f32 v42, v41, s24, -v42
	v_fmac_f32_e32 v42, 0x32a5705f, v41
	v_add_f32_e32 v42, v44, v42
	v_cvt_i32_f32_e32 v43, v43
	v_exp_f32_e32 v42, v42
	v_cmp_ngt_f32_e32 vcc, s25, v41
	v_ldexp_f32 v42, v42, v43
	s_nop 0
	v_cndmask_b32_e32 v42, 0, v42, vcc
	v_cmp_nlt_f32_e32 vcc, s26, v41
	s_nop 1
	v_cndmask_b32_e32 v41, v37, v42, vcc
	v_add_f32_e32 v41, 1.0, v41
	v_rcp_f32_e32 v41, v41
	s_nop 0
	v_fma_f32 v41, v41, -2.0, 1.0
.LBB583_33:                             ;   in Loop: Header=BB583_3 Depth=1
	s_andn2_saveexec_b64 s[20:21], s[20:21]
; %bb.34:                               ;   in Loop: Header=BB583_3 Depth=1
	v_mul_f32_e32 v41, v31, v31
	v_fmamk_f32 v42, v41, 0xbbbac73d, v36
	v_fmaak_f32 v42, v41, v42, 0xbd5c1c4e
	v_fmaak_f32 v42, v41, v42, 0x3e088382
	;; [unrolled: 1-line block ×3, first 2 shown]
	v_mul_f32_e64 v42, |v31|, v42
	v_fma_f32 v41, v41, v42, |v31|
; %bb.35:                               ;   in Loop: Header=BB583_3 Depth=1
	s_or_b64 exec, exec, s[20:21]
	v_bfi_b32 v30, s27, v39, v30
	v_mul_f32_e32 v26, 0.5, v26
	v_add_f32_e32 v30, 1.0, v30
	v_mul_f32_e32 v26, v26, v30
	v_cvt_f32_f16_e32 v30, v20
	v_bfi_b32 v31, s27, v41, v31
	v_cvt_f32_f16_sdwa v43, v27 dst_sel:DWORD dst_unused:UNUSED_PAD src0_sel:WORD_1
	v_cvt_f32_f16_e32 v42, v27
	v_mul_f32_e32 v27, 0.5, v40
	v_add_f32_e32 v31, 1.0, v31
	v_mul_f32_e32 v27, v27, v31
	v_mul_f32_e32 v31, v30, v30
	;; [unrolled: 1-line block ×3, first 2 shown]
	v_fma_mix_f32 v31, v31, s22, v20 op_sel_hi:[0,0,1]
	v_mul_f32_e32 v31, 0x3f4c422a, v31
	v_cmp_nlt_f32_e64 s[20:21], |v31|, s23
	;;#ASMSTART
	v_pk_mul_f32 v[26:27], v[26:27], v[42:43]
	;;#ASMEND
                                        ; implicit-def: $vgpr39
	s_and_saveexec_b64 s[28:29], s[20:21]
	s_xor_b64 s[20:21], exec, s[28:29]
	s_cbranch_execz .LBB583_37
; %bb.36:                               ;   in Loop: Header=BB583_3 Depth=1
	v_add_f32_e64 v39, |v31|, |v31|
	v_mul_f32_e32 v40, 0x3fb8aa3b, v39
	v_rndne_f32_e32 v41, v40
	v_sub_f32_e32 v42, v40, v41
	v_fma_f32 v40, v39, s24, -v40
	v_fmac_f32_e32 v40, 0x32a5705f, v39
	v_add_f32_e32 v40, v42, v40
	v_cvt_i32_f32_e32 v41, v41
	v_exp_f32_e32 v40, v40
	v_cmp_ngt_f32_e32 vcc, s25, v39
	v_ldexp_f32 v40, v40, v41
	s_nop 0
	v_cndmask_b32_e32 v40, 0, v40, vcc
	v_cmp_nlt_f32_e32 vcc, s26, v39
	s_nop 1
	v_cndmask_b32_e32 v39, v37, v40, vcc
	v_add_f32_e32 v39, 1.0, v39
	v_rcp_f32_e32 v39, v39
	s_nop 0
	v_fma_f32 v39, v39, -2.0, 1.0
.LBB583_37:                             ;   in Loop: Header=BB583_3 Depth=1
	s_andn2_saveexec_b64 s[20:21], s[20:21]
; %bb.38:                               ;   in Loop: Header=BB583_3 Depth=1
	v_mul_f32_e32 v39, v31, v31
	v_fmamk_f32 v40, v39, 0xbbbac73d, v36
	v_fmaak_f32 v40, v39, v40, 0xbd5c1c4e
	v_fmaak_f32 v40, v39, v40, 0x3e088382
	;; [unrolled: 1-line block ×3, first 2 shown]
	v_mul_f32_e64 v40, |v31|, v40
	v_fma_f32 v39, v39, v40, |v31|
; %bb.39:                               ;   in Loop: Header=BB583_3 Depth=1
	s_or_b64 exec, exec, s[20:21]
	v_cvt_f32_f16_sdwa v40, v20 dst_sel:DWORD dst_unused:UNUSED_PAD src0_sel:WORD_1
	v_mul_f32_e32 v41, v40, v40
	v_mul_f32_e32 v41, v41, v40
	v_fma_mix_f32 v20, v41, s22, v20 op_sel:[0,0,1] op_sel_hi:[0,0,1]
	v_mul_f32_e32 v20, 0x3f4c422a, v20
	v_cmp_nlt_f32_e64 s[20:21], |v20|, s23
                                        ; implicit-def: $vgpr41
	s_and_saveexec_b64 s[28:29], s[20:21]
	s_xor_b64 s[20:21], exec, s[28:29]
	s_cbranch_execz .LBB583_41
; %bb.40:                               ;   in Loop: Header=BB583_3 Depth=1
	v_add_f32_e64 v41, |v20|, |v20|
	v_mul_f32_e32 v42, 0x3fb8aa3b, v41
	v_rndne_f32_e32 v43, v42
	v_sub_f32_e32 v44, v42, v43
	v_fma_f32 v42, v41, s24, -v42
	v_fmac_f32_e32 v42, 0x32a5705f, v41
	v_add_f32_e32 v42, v44, v42
	v_cvt_i32_f32_e32 v43, v43
	v_exp_f32_e32 v42, v42
	v_cmp_ngt_f32_e32 vcc, s25, v41
	v_ldexp_f32 v42, v42, v43
	s_nop 0
	v_cndmask_b32_e32 v42, 0, v42, vcc
	v_cmp_nlt_f32_e32 vcc, s26, v41
	s_nop 1
	v_cndmask_b32_e32 v41, v37, v42, vcc
	v_add_f32_e32 v41, 1.0, v41
	v_rcp_f32_e32 v41, v41
	s_nop 0
	v_fma_f32 v41, v41, -2.0, 1.0
.LBB583_41:                             ;   in Loop: Header=BB583_3 Depth=1
	s_andn2_saveexec_b64 s[20:21], s[20:21]
; %bb.42:                               ;   in Loop: Header=BB583_3 Depth=1
	v_mul_f32_e32 v41, v20, v20
	v_fmamk_f32 v42, v41, 0xbbbac73d, v36
	v_fmaak_f32 v42, v41, v42, 0xbd5c1c4e
	v_fmaak_f32 v42, v41, v42, 0x3e088382
	;; [unrolled: 1-line block ×3, first 2 shown]
	v_mul_f32_e64 v42, |v20|, v42
	v_fma_f32 v41, v41, v42, |v20|
; %bb.43:                               ;   in Loop: Header=BB583_3 Depth=1
	s_or_b64 exec, exec, s[20:21]
	s_waitcnt vmcnt(2)
	v_cvt_f32_f16_sdwa v43, v16 dst_sel:DWORD dst_unused:UNUSED_PAD src0_sel:WORD_1
	v_cvt_f32_f16_e32 v42, v16
	v_cvt_f32_f16_e32 v16, v21
	v_bfi_b32 v31, s27, v39, v31
	v_mul_f32_e32 v30, 0.5, v30
	v_add_f32_e32 v31, 1.0, v31
	v_bfi_b32 v20, s27, v41, v20
	v_mul_f32_e32 v30, v30, v31
	v_mul_f32_e32 v31, 0.5, v40
	v_add_f32_e32 v20, 1.0, v20
	v_mul_f32_e32 v31, v31, v20
	v_mul_f32_e32 v20, v16, v16
	;; [unrolled: 1-line block ×3, first 2 shown]
	v_fma_mix_f32 v20, v20, s22, v21 op_sel_hi:[0,0,1]
	v_mul_f32_e32 v20, 0x3f4c422a, v20
	v_cmp_nlt_f32_e64 s[20:21], |v20|, s23
	;;#ASMSTART
	v_pk_mul_f32 v[30:31], v[30:31], v[42:43]
	;;#ASMEND
                                        ; implicit-def: $vgpr39
	s_and_saveexec_b64 s[28:29], s[20:21]
	s_xor_b64 s[20:21], exec, s[28:29]
	s_cbranch_execz .LBB583_45
; %bb.44:                               ;   in Loop: Header=BB583_3 Depth=1
	v_add_f32_e64 v39, |v20|, |v20|
	v_mul_f32_e32 v40, 0x3fb8aa3b, v39
	v_rndne_f32_e32 v41, v40
	v_sub_f32_e32 v42, v40, v41
	v_fma_f32 v40, v39, s24, -v40
	v_fmac_f32_e32 v40, 0x32a5705f, v39
	v_add_f32_e32 v40, v42, v40
	v_cvt_i32_f32_e32 v41, v41
	v_exp_f32_e32 v40, v40
	v_cmp_ngt_f32_e32 vcc, s25, v39
	v_ldexp_f32 v40, v40, v41
	s_nop 0
	v_cndmask_b32_e32 v40, 0, v40, vcc
	v_cmp_nlt_f32_e32 vcc, s26, v39
	s_nop 1
	v_cndmask_b32_e32 v39, v37, v40, vcc
	v_add_f32_e32 v39, 1.0, v39
	v_rcp_f32_e32 v39, v39
	s_nop 0
	v_fma_f32 v39, v39, -2.0, 1.0
.LBB583_45:                             ;   in Loop: Header=BB583_3 Depth=1
	s_andn2_saveexec_b64 s[20:21], s[20:21]
; %bb.46:                               ;   in Loop: Header=BB583_3 Depth=1
	v_mul_f32_e32 v39, v20, v20
	v_fmamk_f32 v40, v39, 0xbbbac73d, v36
	v_fmaak_f32 v40, v39, v40, 0xbd5c1c4e
	v_fmaak_f32 v40, v39, v40, 0x3e088382
	;; [unrolled: 1-line block ×3, first 2 shown]
	v_mul_f32_e64 v40, |v20|, v40
	v_fma_f32 v39, v39, v40, |v20|
; %bb.47:                               ;   in Loop: Header=BB583_3 Depth=1
	s_or_b64 exec, exec, s[20:21]
	v_cvt_f32_f16_sdwa v40, v21 dst_sel:DWORD dst_unused:UNUSED_PAD src0_sel:WORD_1
	v_mul_f32_e32 v41, v40, v40
	v_mul_f32_e32 v41, v41, v40
	v_fma_mix_f32 v21, v41, s22, v21 op_sel:[0,0,1] op_sel_hi:[0,0,1]
	v_mul_f32_e32 v21, 0x3f4c422a, v21
	v_cmp_nlt_f32_e64 s[20:21], |v21|, s23
                                        ; implicit-def: $vgpr41
	s_and_saveexec_b64 s[28:29], s[20:21]
	s_xor_b64 s[20:21], exec, s[28:29]
	s_cbranch_execz .LBB583_49
; %bb.48:                               ;   in Loop: Header=BB583_3 Depth=1
	v_add_f32_e64 v41, |v21|, |v21|
	v_mul_f32_e32 v42, 0x3fb8aa3b, v41
	v_rndne_f32_e32 v43, v42
	v_sub_f32_e32 v44, v42, v43
	v_fma_f32 v42, v41, s24, -v42
	v_fmac_f32_e32 v42, 0x32a5705f, v41
	v_add_f32_e32 v42, v44, v42
	v_cvt_i32_f32_e32 v43, v43
	v_exp_f32_e32 v42, v42
	v_cmp_ngt_f32_e32 vcc, s25, v41
	v_ldexp_f32 v42, v42, v43
	s_nop 0
	v_cndmask_b32_e32 v42, 0, v42, vcc
	v_cmp_nlt_f32_e32 vcc, s26, v41
	s_nop 1
	v_cndmask_b32_e32 v41, v37, v42, vcc
	v_add_f32_e32 v41, 1.0, v41
	v_rcp_f32_e32 v41, v41
	s_nop 0
	v_fma_f32 v41, v41, -2.0, 1.0
.LBB583_49:                             ;   in Loop: Header=BB583_3 Depth=1
	s_andn2_saveexec_b64 s[20:21], s[20:21]
; %bb.50:                               ;   in Loop: Header=BB583_3 Depth=1
	v_mul_f32_e32 v41, v21, v21
	v_fmamk_f32 v42, v41, 0xbbbac73d, v36
	v_fmaak_f32 v42, v41, v42, 0xbd5c1c4e
	v_fmaak_f32 v42, v41, v42, 0x3e088382
	;; [unrolled: 1-line block ×3, first 2 shown]
	v_mul_f32_e64 v42, |v21|, v42
	v_fma_f32 v41, v41, v42, |v21|
; %bb.51:                               ;   in Loop: Header=BB583_3 Depth=1
	s_or_b64 exec, exec, s[20:21]
	v_bfi_b32 v20, s27, v39, v20
	v_mul_f32_e32 v16, 0.5, v16
	v_add_f32_e32 v20, 1.0, v20
	v_mul_f32_e32 v16, v16, v20
	v_cvt_f32_f16_e32 v20, v22
	v_bfi_b32 v21, s27, v41, v21
	v_cvt_f32_f16_sdwa v43, v17 dst_sel:DWORD dst_unused:UNUSED_PAD src0_sel:WORD_1
	v_cvt_f32_f16_e32 v42, v17
	v_mul_f32_e32 v17, 0.5, v40
	v_add_f32_e32 v21, 1.0, v21
	v_mul_f32_e32 v17, v17, v21
	v_mul_f32_e32 v21, v20, v20
	;; [unrolled: 1-line block ×3, first 2 shown]
	v_fma_mix_f32 v21, v21, s22, v22 op_sel_hi:[0,0,1]
	v_mul_f32_e32 v21, 0x3f4c422a, v21
	v_cmp_nlt_f32_e64 s[20:21], |v21|, s23
	;;#ASMSTART
	v_pk_mul_f32 v[16:17], v[16:17], v[42:43]
	;;#ASMEND
                                        ; implicit-def: $vgpr39
	s_and_saveexec_b64 s[28:29], s[20:21]
	s_xor_b64 s[20:21], exec, s[28:29]
	s_cbranch_execz .LBB583_53
; %bb.52:                               ;   in Loop: Header=BB583_3 Depth=1
	v_add_f32_e64 v39, |v21|, |v21|
	v_mul_f32_e32 v40, 0x3fb8aa3b, v39
	v_rndne_f32_e32 v41, v40
	v_sub_f32_e32 v42, v40, v41
	v_fma_f32 v40, v39, s24, -v40
	v_fmac_f32_e32 v40, 0x32a5705f, v39
	v_add_f32_e32 v40, v42, v40
	v_cvt_i32_f32_e32 v41, v41
	v_exp_f32_e32 v40, v40
	v_cmp_ngt_f32_e32 vcc, s25, v39
	v_ldexp_f32 v40, v40, v41
	s_nop 0
	v_cndmask_b32_e32 v40, 0, v40, vcc
	v_cmp_nlt_f32_e32 vcc, s26, v39
	s_nop 1
	v_cndmask_b32_e32 v39, v37, v40, vcc
	v_add_f32_e32 v39, 1.0, v39
	v_rcp_f32_e32 v39, v39
	s_nop 0
	v_fma_f32 v39, v39, -2.0, 1.0
.LBB583_53:                             ;   in Loop: Header=BB583_3 Depth=1
	s_andn2_saveexec_b64 s[20:21], s[20:21]
; %bb.54:                               ;   in Loop: Header=BB583_3 Depth=1
	v_mul_f32_e32 v39, v21, v21
	v_fmamk_f32 v40, v39, 0xbbbac73d, v36
	v_fmaak_f32 v40, v39, v40, 0xbd5c1c4e
	v_fmaak_f32 v40, v39, v40, 0x3e088382
	;; [unrolled: 1-line block ×3, first 2 shown]
	v_mul_f32_e64 v40, |v21|, v40
	v_fma_f32 v39, v39, v40, |v21|
; %bb.55:                               ;   in Loop: Header=BB583_3 Depth=1
	s_or_b64 exec, exec, s[20:21]
	v_cvt_f32_f16_sdwa v40, v22 dst_sel:DWORD dst_unused:UNUSED_PAD src0_sel:WORD_1
	v_mul_f32_e32 v41, v40, v40
	v_mul_f32_e32 v41, v41, v40
	v_fma_mix_f32 v22, v41, s22, v22 op_sel:[0,0,1] op_sel_hi:[0,0,1]
	v_mul_f32_e32 v22, 0x3f4c422a, v22
	v_cmp_nlt_f32_e64 s[20:21], |v22|, s23
                                        ; implicit-def: $vgpr41
	s_and_saveexec_b64 s[28:29], s[20:21]
	s_xor_b64 s[20:21], exec, s[28:29]
	s_cbranch_execz .LBB583_57
; %bb.56:                               ;   in Loop: Header=BB583_3 Depth=1
	v_add_f32_e64 v41, |v22|, |v22|
	v_mul_f32_e32 v42, 0x3fb8aa3b, v41
	v_rndne_f32_e32 v43, v42
	v_sub_f32_e32 v44, v42, v43
	v_fma_f32 v42, v41, s24, -v42
	v_fmac_f32_e32 v42, 0x32a5705f, v41
	v_add_f32_e32 v42, v44, v42
	v_cvt_i32_f32_e32 v43, v43
	v_exp_f32_e32 v42, v42
	v_cmp_ngt_f32_e32 vcc, s25, v41
	v_ldexp_f32 v42, v42, v43
	s_nop 0
	v_cndmask_b32_e32 v42, 0, v42, vcc
	v_cmp_nlt_f32_e32 vcc, s26, v41
	s_nop 1
	v_cndmask_b32_e32 v41, v37, v42, vcc
	v_add_f32_e32 v41, 1.0, v41
	v_rcp_f32_e32 v41, v41
	s_nop 0
	v_fma_f32 v41, v41, -2.0, 1.0
.LBB583_57:                             ;   in Loop: Header=BB583_3 Depth=1
	s_andn2_saveexec_b64 s[20:21], s[20:21]
; %bb.58:                               ;   in Loop: Header=BB583_3 Depth=1
	v_mul_f32_e32 v41, v22, v22
	v_fmamk_f32 v42, v41, 0xbbbac73d, v36
	v_fmaak_f32 v42, v41, v42, 0xbd5c1c4e
	v_fmaak_f32 v42, v41, v42, 0x3e088382
	;; [unrolled: 1-line block ×3, first 2 shown]
	v_mul_f32_e64 v42, |v22|, v42
	v_fma_f32 v41, v41, v42, |v22|
; %bb.59:                               ;   in Loop: Header=BB583_3 Depth=1
	s_or_b64 exec, exec, s[20:21]
	v_cvt_f32_f16_sdwa v43, v18 dst_sel:DWORD dst_unused:UNUSED_PAD src0_sel:WORD_1
	v_cvt_f32_f16_e32 v42, v18
	v_cvt_f32_f16_e32 v18, v23
	v_bfi_b32 v21, s27, v39, v21
	v_mul_f32_e32 v20, 0.5, v20
	v_add_f32_e32 v21, 1.0, v21
	v_bfi_b32 v22, s27, v41, v22
	v_mul_f32_e32 v20, v20, v21
	v_mul_f32_e32 v21, 0.5, v40
	v_add_f32_e32 v22, 1.0, v22
	v_mul_f32_e32 v21, v21, v22
	v_mul_f32_e32 v22, v18, v18
	;; [unrolled: 1-line block ×3, first 2 shown]
	v_fma_mix_f32 v22, v22, s22, v23 op_sel_hi:[0,0,1]
	v_mul_f32_e32 v22, 0x3f4c422a, v22
	v_cmp_nlt_f32_e64 s[20:21], |v22|, s23
	;;#ASMSTART
	v_pk_mul_f32 v[20:21], v[20:21], v[42:43]
	;;#ASMEND
                                        ; implicit-def: $vgpr39
	s_and_saveexec_b64 s[28:29], s[20:21]
	s_xor_b64 s[20:21], exec, s[28:29]
	s_cbranch_execz .LBB583_61
; %bb.60:                               ;   in Loop: Header=BB583_3 Depth=1
	v_add_f32_e64 v39, |v22|, |v22|
	v_mul_f32_e32 v40, 0x3fb8aa3b, v39
	v_rndne_f32_e32 v41, v40
	v_sub_f32_e32 v42, v40, v41
	v_fma_f32 v40, v39, s24, -v40
	v_fmac_f32_e32 v40, 0x32a5705f, v39
	v_add_f32_e32 v40, v42, v40
	v_cvt_i32_f32_e32 v41, v41
	v_exp_f32_e32 v40, v40
	v_cmp_ngt_f32_e32 vcc, s25, v39
	v_ldexp_f32 v40, v40, v41
	s_nop 0
	v_cndmask_b32_e32 v40, 0, v40, vcc
	v_cmp_nlt_f32_e32 vcc, s26, v39
	s_nop 1
	v_cndmask_b32_e32 v39, v37, v40, vcc
	v_add_f32_e32 v39, 1.0, v39
	v_rcp_f32_e32 v39, v39
	s_nop 0
	v_fma_f32 v39, v39, -2.0, 1.0
.LBB583_61:                             ;   in Loop: Header=BB583_3 Depth=1
	s_andn2_saveexec_b64 s[20:21], s[20:21]
; %bb.62:                               ;   in Loop: Header=BB583_3 Depth=1
	v_mul_f32_e32 v39, v22, v22
	v_fmamk_f32 v40, v39, 0xbbbac73d, v36
	v_fmaak_f32 v40, v39, v40, 0xbd5c1c4e
	v_fmaak_f32 v40, v39, v40, 0x3e088382
	;; [unrolled: 1-line block ×3, first 2 shown]
	v_mul_f32_e64 v40, |v22|, v40
	v_fma_f32 v39, v39, v40, |v22|
; %bb.63:                               ;   in Loop: Header=BB583_3 Depth=1
	s_or_b64 exec, exec, s[20:21]
	v_cvt_f32_f16_sdwa v40, v23 dst_sel:DWORD dst_unused:UNUSED_PAD src0_sel:WORD_1
	v_mul_f32_e32 v41, v40, v40
	v_mul_f32_e32 v41, v41, v40
	v_fma_mix_f32 v23, v41, s22, v23 op_sel:[0,0,1] op_sel_hi:[0,0,1]
	v_mul_f32_e32 v23, 0x3f4c422a, v23
	v_cmp_nlt_f32_e64 s[20:21], |v23|, s23
                                        ; implicit-def: $vgpr41
	s_and_saveexec_b64 s[28:29], s[20:21]
	s_xor_b64 s[20:21], exec, s[28:29]
	s_cbranch_execz .LBB583_65
; %bb.64:                               ;   in Loop: Header=BB583_3 Depth=1
	v_add_f32_e64 v41, |v23|, |v23|
	v_mul_f32_e32 v42, 0x3fb8aa3b, v41
	v_rndne_f32_e32 v43, v42
	v_sub_f32_e32 v44, v42, v43
	v_fma_f32 v42, v41, s24, -v42
	v_fmac_f32_e32 v42, 0x32a5705f, v41
	v_add_f32_e32 v42, v44, v42
	v_cvt_i32_f32_e32 v43, v43
	v_exp_f32_e32 v42, v42
	v_cmp_ngt_f32_e32 vcc, s25, v41
	v_ldexp_f32 v42, v42, v43
	s_nop 0
	v_cndmask_b32_e32 v42, 0, v42, vcc
	v_cmp_nlt_f32_e32 vcc, s26, v41
	s_nop 1
	v_cndmask_b32_e32 v41, v37, v42, vcc
	v_add_f32_e32 v41, 1.0, v41
	v_rcp_f32_e32 v41, v41
	s_nop 0
	v_fma_f32 v41, v41, -2.0, 1.0
.LBB583_65:                             ;   in Loop: Header=BB583_3 Depth=1
	s_andn2_saveexec_b64 s[20:21], s[20:21]
; %bb.66:                               ;   in Loop: Header=BB583_3 Depth=1
	v_mul_f32_e32 v41, v23, v23
	v_fmamk_f32 v42, v41, 0xbbbac73d, v36
	v_fmaak_f32 v42, v41, v42, 0xbd5c1c4e
	v_fmaak_f32 v42, v41, v42, 0x3e088382
	;; [unrolled: 1-line block ×3, first 2 shown]
	v_mul_f32_e64 v42, |v23|, v42
	v_fma_f32 v41, v41, v42, |v23|
; %bb.67:                               ;   in Loop: Header=BB583_3 Depth=1
	s_or_b64 exec, exec, s[20:21]
	v_bfi_b32 v22, s27, v39, v22
	v_mul_f32_e32 v18, 0.5, v18
	v_add_f32_e32 v22, 1.0, v22
	v_mul_f32_e32 v18, v18, v22
	v_cvt_f32_f16_e32 v22, v12
	v_bfi_b32 v23, s27, v41, v23
	v_cvt_f32_f16_sdwa v43, v19 dst_sel:DWORD dst_unused:UNUSED_PAD src0_sel:WORD_1
	v_cvt_f32_f16_e32 v42, v19
	v_mul_f32_e32 v19, 0.5, v40
	v_add_f32_e32 v23, 1.0, v23
	v_mul_f32_e32 v19, v19, v23
	v_mul_f32_e32 v23, v22, v22
	;; [unrolled: 1-line block ×3, first 2 shown]
	v_fma_mix_f32 v23, v23, s22, v12 op_sel_hi:[0,0,1]
	v_mul_f32_e32 v23, 0x3f4c422a, v23
	v_cmp_nlt_f32_e64 s[20:21], |v23|, s23
	;;#ASMSTART
	v_pk_mul_f32 v[18:19], v[18:19], v[42:43]
	;;#ASMEND
                                        ; implicit-def: $vgpr39
	s_and_saveexec_b64 s[28:29], s[20:21]
	s_xor_b64 s[20:21], exec, s[28:29]
	s_cbranch_execz .LBB583_69
; %bb.68:                               ;   in Loop: Header=BB583_3 Depth=1
	v_add_f32_e64 v39, |v23|, |v23|
	v_mul_f32_e32 v40, 0x3fb8aa3b, v39
	v_rndne_f32_e32 v41, v40
	v_sub_f32_e32 v42, v40, v41
	v_fma_f32 v40, v39, s24, -v40
	v_fmac_f32_e32 v40, 0x32a5705f, v39
	v_add_f32_e32 v40, v42, v40
	v_cvt_i32_f32_e32 v41, v41
	v_exp_f32_e32 v40, v40
	v_cmp_ngt_f32_e32 vcc, s25, v39
	v_ldexp_f32 v40, v40, v41
	s_nop 0
	v_cndmask_b32_e32 v40, 0, v40, vcc
	v_cmp_nlt_f32_e32 vcc, s26, v39
	s_nop 1
	v_cndmask_b32_e32 v39, v37, v40, vcc
	v_add_f32_e32 v39, 1.0, v39
	v_rcp_f32_e32 v39, v39
	s_nop 0
	v_fma_f32 v39, v39, -2.0, 1.0
.LBB583_69:                             ;   in Loop: Header=BB583_3 Depth=1
	s_andn2_saveexec_b64 s[20:21], s[20:21]
; %bb.70:                               ;   in Loop: Header=BB583_3 Depth=1
	v_mul_f32_e32 v39, v23, v23
	v_fmamk_f32 v40, v39, 0xbbbac73d, v36
	v_fmaak_f32 v40, v39, v40, 0xbd5c1c4e
	v_fmaak_f32 v40, v39, v40, 0x3e088382
	;; [unrolled: 1-line block ×3, first 2 shown]
	v_mul_f32_e64 v40, |v23|, v40
	v_fma_f32 v39, v39, v40, |v23|
; %bb.71:                               ;   in Loop: Header=BB583_3 Depth=1
	s_or_b64 exec, exec, s[20:21]
	v_cvt_f32_f16_sdwa v40, v12 dst_sel:DWORD dst_unused:UNUSED_PAD src0_sel:WORD_1
	v_mul_f32_e32 v41, v40, v40
	v_mul_f32_e32 v41, v41, v40
	v_fma_mix_f32 v12, v41, s22, v12 op_sel:[0,0,1] op_sel_hi:[0,0,1]
	v_mul_f32_e32 v12, 0x3f4c422a, v12
	v_cmp_nlt_f32_e64 s[20:21], |v12|, s23
                                        ; implicit-def: $vgpr41
	s_and_saveexec_b64 s[28:29], s[20:21]
	s_xor_b64 s[20:21], exec, s[28:29]
	s_cbranch_execz .LBB583_73
; %bb.72:                               ;   in Loop: Header=BB583_3 Depth=1
	v_add_f32_e64 v41, |v12|, |v12|
	v_mul_f32_e32 v42, 0x3fb8aa3b, v41
	v_rndne_f32_e32 v43, v42
	v_sub_f32_e32 v44, v42, v43
	v_fma_f32 v42, v41, s24, -v42
	v_fmac_f32_e32 v42, 0x32a5705f, v41
	v_add_f32_e32 v42, v44, v42
	v_cvt_i32_f32_e32 v43, v43
	v_exp_f32_e32 v42, v42
	v_cmp_ngt_f32_e32 vcc, s25, v41
	v_ldexp_f32 v42, v42, v43
	s_nop 0
	v_cndmask_b32_e32 v42, 0, v42, vcc
	v_cmp_nlt_f32_e32 vcc, s26, v41
	s_nop 1
	v_cndmask_b32_e32 v41, v37, v42, vcc
	v_add_f32_e32 v41, 1.0, v41
	v_rcp_f32_e32 v41, v41
	s_nop 0
	v_fma_f32 v41, v41, -2.0, 1.0
.LBB583_73:                             ;   in Loop: Header=BB583_3 Depth=1
	s_andn2_saveexec_b64 s[20:21], s[20:21]
; %bb.74:                               ;   in Loop: Header=BB583_3 Depth=1
	v_mul_f32_e32 v41, v12, v12
	v_fmamk_f32 v42, v41, 0xbbbac73d, v36
	v_fmaak_f32 v42, v41, v42, 0xbd5c1c4e
	v_fmaak_f32 v42, v41, v42, 0x3e088382
	;; [unrolled: 1-line block ×3, first 2 shown]
	v_mul_f32_e64 v42, |v12|, v42
	v_fma_f32 v41, v41, v42, |v12|
; %bb.75:                               ;   in Loop: Header=BB583_3 Depth=1
	s_or_b64 exec, exec, s[20:21]
	s_waitcnt vmcnt(1)
	v_cvt_f32_f16_sdwa v43, v8 dst_sel:DWORD dst_unused:UNUSED_PAD src0_sel:WORD_1
	v_cvt_f32_f16_e32 v42, v8
	v_cvt_f32_f16_e32 v8, v13
	v_bfi_b32 v23, s27, v39, v23
	v_mul_f32_e32 v22, 0.5, v22
	v_add_f32_e32 v23, 1.0, v23
	v_bfi_b32 v12, s27, v41, v12
	v_mul_f32_e32 v22, v22, v23
	v_mul_f32_e32 v23, 0.5, v40
	v_add_f32_e32 v12, 1.0, v12
	v_mul_f32_e32 v23, v23, v12
	v_mul_f32_e32 v12, v8, v8
	;; [unrolled: 1-line block ×3, first 2 shown]
	v_fma_mix_f32 v12, v12, s22, v13 op_sel_hi:[0,0,1]
	v_mul_f32_e32 v12, 0x3f4c422a, v12
	v_cmp_nlt_f32_e64 s[20:21], |v12|, s23
	;;#ASMSTART
	v_pk_mul_f32 v[22:23], v[22:23], v[42:43]
	;;#ASMEND
                                        ; implicit-def: $vgpr39
	s_and_saveexec_b64 s[28:29], s[20:21]
	s_xor_b64 s[20:21], exec, s[28:29]
	s_cbranch_execz .LBB583_77
; %bb.76:                               ;   in Loop: Header=BB583_3 Depth=1
	v_add_f32_e64 v39, |v12|, |v12|
	v_mul_f32_e32 v40, 0x3fb8aa3b, v39
	v_rndne_f32_e32 v41, v40
	v_sub_f32_e32 v42, v40, v41
	v_fma_f32 v40, v39, s24, -v40
	v_fmac_f32_e32 v40, 0x32a5705f, v39
	v_add_f32_e32 v40, v42, v40
	v_cvt_i32_f32_e32 v41, v41
	v_exp_f32_e32 v40, v40
	v_cmp_ngt_f32_e32 vcc, s25, v39
	v_ldexp_f32 v40, v40, v41
	s_nop 0
	v_cndmask_b32_e32 v40, 0, v40, vcc
	v_cmp_nlt_f32_e32 vcc, s26, v39
	s_nop 1
	v_cndmask_b32_e32 v39, v37, v40, vcc
	v_add_f32_e32 v39, 1.0, v39
	v_rcp_f32_e32 v39, v39
	s_nop 0
	v_fma_f32 v39, v39, -2.0, 1.0
.LBB583_77:                             ;   in Loop: Header=BB583_3 Depth=1
	s_andn2_saveexec_b64 s[20:21], s[20:21]
; %bb.78:                               ;   in Loop: Header=BB583_3 Depth=1
	v_mul_f32_e32 v39, v12, v12
	v_fmamk_f32 v40, v39, 0xbbbac73d, v36
	v_fmaak_f32 v40, v39, v40, 0xbd5c1c4e
	v_fmaak_f32 v40, v39, v40, 0x3e088382
	;; [unrolled: 1-line block ×3, first 2 shown]
	v_mul_f32_e64 v40, |v12|, v40
	v_fma_f32 v39, v39, v40, |v12|
; %bb.79:                               ;   in Loop: Header=BB583_3 Depth=1
	s_or_b64 exec, exec, s[20:21]
	v_cvt_f32_f16_sdwa v40, v13 dst_sel:DWORD dst_unused:UNUSED_PAD src0_sel:WORD_1
	v_mul_f32_e32 v41, v40, v40
	v_mul_f32_e32 v41, v41, v40
	v_fma_mix_f32 v13, v41, s22, v13 op_sel:[0,0,1] op_sel_hi:[0,0,1]
	v_mul_f32_e32 v13, 0x3f4c422a, v13
	v_cmp_nlt_f32_e64 s[20:21], |v13|, s23
                                        ; implicit-def: $vgpr41
	s_and_saveexec_b64 s[28:29], s[20:21]
	s_xor_b64 s[20:21], exec, s[28:29]
	s_cbranch_execz .LBB583_81
; %bb.80:                               ;   in Loop: Header=BB583_3 Depth=1
	v_add_f32_e64 v41, |v13|, |v13|
	v_mul_f32_e32 v42, 0x3fb8aa3b, v41
	v_rndne_f32_e32 v43, v42
	v_sub_f32_e32 v44, v42, v43
	v_fma_f32 v42, v41, s24, -v42
	v_fmac_f32_e32 v42, 0x32a5705f, v41
	v_add_f32_e32 v42, v44, v42
	v_cvt_i32_f32_e32 v43, v43
	v_exp_f32_e32 v42, v42
	v_cmp_ngt_f32_e32 vcc, s25, v41
	v_ldexp_f32 v42, v42, v43
	s_nop 0
	v_cndmask_b32_e32 v42, 0, v42, vcc
	v_cmp_nlt_f32_e32 vcc, s26, v41
	s_nop 1
	v_cndmask_b32_e32 v41, v37, v42, vcc
	v_add_f32_e32 v41, 1.0, v41
	v_rcp_f32_e32 v41, v41
	s_nop 0
	v_fma_f32 v41, v41, -2.0, 1.0
.LBB583_81:                             ;   in Loop: Header=BB583_3 Depth=1
	s_andn2_saveexec_b64 s[20:21], s[20:21]
; %bb.82:                               ;   in Loop: Header=BB583_3 Depth=1
	v_mul_f32_e32 v41, v13, v13
	v_fmamk_f32 v42, v41, 0xbbbac73d, v36
	v_fmaak_f32 v42, v41, v42, 0xbd5c1c4e
	v_fmaak_f32 v42, v41, v42, 0x3e088382
	;; [unrolled: 1-line block ×3, first 2 shown]
	v_mul_f32_e64 v42, |v13|, v42
	v_fma_f32 v41, v41, v42, |v13|
; %bb.83:                               ;   in Loop: Header=BB583_3 Depth=1
	s_or_b64 exec, exec, s[20:21]
	v_bfi_b32 v12, s27, v39, v12
	v_mul_f32_e32 v8, 0.5, v8
	v_add_f32_e32 v12, 1.0, v12
	v_mul_f32_e32 v8, v8, v12
	v_cvt_f32_f16_e32 v12, v14
	v_bfi_b32 v13, s27, v41, v13
	v_cvt_f32_f16_sdwa v43, v9 dst_sel:DWORD dst_unused:UNUSED_PAD src0_sel:WORD_1
	v_cvt_f32_f16_e32 v42, v9
	v_mul_f32_e32 v9, 0.5, v40
	v_add_f32_e32 v13, 1.0, v13
	v_mul_f32_e32 v9, v9, v13
	v_mul_f32_e32 v13, v12, v12
	;; [unrolled: 1-line block ×3, first 2 shown]
	v_fma_mix_f32 v13, v13, s22, v14 op_sel_hi:[0,0,1]
	v_mul_f32_e32 v13, 0x3f4c422a, v13
	v_cmp_nlt_f32_e64 s[20:21], |v13|, s23
	;;#ASMSTART
	v_pk_mul_f32 v[8:9], v[8:9], v[42:43]
	;;#ASMEND
                                        ; implicit-def: $vgpr39
	s_and_saveexec_b64 s[28:29], s[20:21]
	s_xor_b64 s[20:21], exec, s[28:29]
	s_cbranch_execz .LBB583_85
; %bb.84:                               ;   in Loop: Header=BB583_3 Depth=1
	v_add_f32_e64 v39, |v13|, |v13|
	v_mul_f32_e32 v40, 0x3fb8aa3b, v39
	v_rndne_f32_e32 v41, v40
	v_sub_f32_e32 v42, v40, v41
	v_fma_f32 v40, v39, s24, -v40
	v_fmac_f32_e32 v40, 0x32a5705f, v39
	v_add_f32_e32 v40, v42, v40
	v_cvt_i32_f32_e32 v41, v41
	v_exp_f32_e32 v40, v40
	v_cmp_ngt_f32_e32 vcc, s25, v39
	v_ldexp_f32 v40, v40, v41
	s_nop 0
	v_cndmask_b32_e32 v40, 0, v40, vcc
	v_cmp_nlt_f32_e32 vcc, s26, v39
	s_nop 1
	v_cndmask_b32_e32 v39, v37, v40, vcc
	v_add_f32_e32 v39, 1.0, v39
	v_rcp_f32_e32 v39, v39
	s_nop 0
	v_fma_f32 v39, v39, -2.0, 1.0
.LBB583_85:                             ;   in Loop: Header=BB583_3 Depth=1
	s_andn2_saveexec_b64 s[20:21], s[20:21]
; %bb.86:                               ;   in Loop: Header=BB583_3 Depth=1
	v_mul_f32_e32 v39, v13, v13
	v_fmamk_f32 v40, v39, 0xbbbac73d, v36
	v_fmaak_f32 v40, v39, v40, 0xbd5c1c4e
	v_fmaak_f32 v40, v39, v40, 0x3e088382
	;; [unrolled: 1-line block ×3, first 2 shown]
	v_mul_f32_e64 v40, |v13|, v40
	v_fma_f32 v39, v39, v40, |v13|
; %bb.87:                               ;   in Loop: Header=BB583_3 Depth=1
	s_or_b64 exec, exec, s[20:21]
	v_cvt_f32_f16_sdwa v40, v14 dst_sel:DWORD dst_unused:UNUSED_PAD src0_sel:WORD_1
	v_mul_f32_e32 v41, v40, v40
	v_mul_f32_e32 v41, v41, v40
	v_fma_mix_f32 v14, v41, s22, v14 op_sel:[0,0,1] op_sel_hi:[0,0,1]
	v_mul_f32_e32 v14, 0x3f4c422a, v14
	v_cmp_nlt_f32_e64 s[20:21], |v14|, s23
                                        ; implicit-def: $vgpr41
	s_and_saveexec_b64 s[28:29], s[20:21]
	s_xor_b64 s[20:21], exec, s[28:29]
	s_cbranch_execz .LBB583_89
; %bb.88:                               ;   in Loop: Header=BB583_3 Depth=1
	v_add_f32_e64 v41, |v14|, |v14|
	v_mul_f32_e32 v42, 0x3fb8aa3b, v41
	v_rndne_f32_e32 v43, v42
	v_sub_f32_e32 v44, v42, v43
	v_fma_f32 v42, v41, s24, -v42
	v_fmac_f32_e32 v42, 0x32a5705f, v41
	v_add_f32_e32 v42, v44, v42
	v_cvt_i32_f32_e32 v43, v43
	v_exp_f32_e32 v42, v42
	v_cmp_ngt_f32_e32 vcc, s25, v41
	v_ldexp_f32 v42, v42, v43
	s_nop 0
	v_cndmask_b32_e32 v42, 0, v42, vcc
	v_cmp_nlt_f32_e32 vcc, s26, v41
	s_nop 1
	v_cndmask_b32_e32 v41, v37, v42, vcc
	v_add_f32_e32 v41, 1.0, v41
	v_rcp_f32_e32 v41, v41
	s_nop 0
	v_fma_f32 v41, v41, -2.0, 1.0
.LBB583_89:                             ;   in Loop: Header=BB583_3 Depth=1
	s_andn2_saveexec_b64 s[20:21], s[20:21]
; %bb.90:                               ;   in Loop: Header=BB583_3 Depth=1
	v_mul_f32_e32 v41, v14, v14
	v_fmamk_f32 v42, v41, 0xbbbac73d, v36
	v_fmaak_f32 v42, v41, v42, 0xbd5c1c4e
	v_fmaak_f32 v42, v41, v42, 0x3e088382
	;; [unrolled: 1-line block ×3, first 2 shown]
	v_mul_f32_e64 v42, |v14|, v42
	v_fma_f32 v41, v41, v42, |v14|
; %bb.91:                               ;   in Loop: Header=BB583_3 Depth=1
	s_or_b64 exec, exec, s[20:21]
	v_cvt_f32_f16_sdwa v43, v10 dst_sel:DWORD dst_unused:UNUSED_PAD src0_sel:WORD_1
	v_cvt_f32_f16_e32 v42, v10
	v_cvt_f32_f16_e32 v10, v15
	v_bfi_b32 v13, s27, v39, v13
	v_mul_f32_e32 v12, 0.5, v12
	v_add_f32_e32 v13, 1.0, v13
	v_bfi_b32 v14, s27, v41, v14
	v_mul_f32_e32 v12, v12, v13
	v_mul_f32_e32 v13, 0.5, v40
	v_add_f32_e32 v14, 1.0, v14
	v_mul_f32_e32 v13, v13, v14
	v_mul_f32_e32 v14, v10, v10
	;; [unrolled: 1-line block ×3, first 2 shown]
	v_fma_mix_f32 v14, v14, s22, v15 op_sel_hi:[0,0,1]
	v_mul_f32_e32 v14, 0x3f4c422a, v14
	v_cmp_nlt_f32_e64 s[20:21], |v14|, s23
	;;#ASMSTART
	v_pk_mul_f32 v[12:13], v[12:13], v[42:43]
	;;#ASMEND
                                        ; implicit-def: $vgpr39
	s_and_saveexec_b64 s[28:29], s[20:21]
	s_xor_b64 s[20:21], exec, s[28:29]
	s_cbranch_execz .LBB583_93
; %bb.92:                               ;   in Loop: Header=BB583_3 Depth=1
	v_add_f32_e64 v39, |v14|, |v14|
	v_mul_f32_e32 v40, 0x3fb8aa3b, v39
	v_rndne_f32_e32 v41, v40
	v_sub_f32_e32 v42, v40, v41
	v_fma_f32 v40, v39, s24, -v40
	v_fmac_f32_e32 v40, 0x32a5705f, v39
	v_add_f32_e32 v40, v42, v40
	v_cvt_i32_f32_e32 v41, v41
	v_exp_f32_e32 v40, v40
	v_cmp_ngt_f32_e32 vcc, s25, v39
	v_ldexp_f32 v40, v40, v41
	s_nop 0
	v_cndmask_b32_e32 v40, 0, v40, vcc
	v_cmp_nlt_f32_e32 vcc, s26, v39
	s_nop 1
	v_cndmask_b32_e32 v39, v37, v40, vcc
	v_add_f32_e32 v39, 1.0, v39
	v_rcp_f32_e32 v39, v39
	s_nop 0
	v_fma_f32 v39, v39, -2.0, 1.0
.LBB583_93:                             ;   in Loop: Header=BB583_3 Depth=1
	s_andn2_saveexec_b64 s[20:21], s[20:21]
; %bb.94:                               ;   in Loop: Header=BB583_3 Depth=1
	v_mul_f32_e32 v39, v14, v14
	v_fmamk_f32 v40, v39, 0xbbbac73d, v36
	v_fmaak_f32 v40, v39, v40, 0xbd5c1c4e
	v_fmaak_f32 v40, v39, v40, 0x3e088382
	;; [unrolled: 1-line block ×3, first 2 shown]
	v_mul_f32_e64 v40, |v14|, v40
	v_fma_f32 v39, v39, v40, |v14|
; %bb.95:                               ;   in Loop: Header=BB583_3 Depth=1
	s_or_b64 exec, exec, s[20:21]
	v_cvt_f32_f16_sdwa v40, v15 dst_sel:DWORD dst_unused:UNUSED_PAD src0_sel:WORD_1
	v_mul_f32_e32 v41, v40, v40
	v_mul_f32_e32 v41, v41, v40
	v_fma_mix_f32 v15, v41, s22, v15 op_sel:[0,0,1] op_sel_hi:[0,0,1]
	v_mul_f32_e32 v15, 0x3f4c422a, v15
	v_cmp_nlt_f32_e64 s[20:21], |v15|, s23
                                        ; implicit-def: $vgpr41
	s_and_saveexec_b64 s[28:29], s[20:21]
	s_xor_b64 s[20:21], exec, s[28:29]
	s_cbranch_execz .LBB583_97
; %bb.96:                               ;   in Loop: Header=BB583_3 Depth=1
	v_add_f32_e64 v41, |v15|, |v15|
	v_mul_f32_e32 v42, 0x3fb8aa3b, v41
	v_rndne_f32_e32 v43, v42
	v_sub_f32_e32 v44, v42, v43
	v_fma_f32 v42, v41, s24, -v42
	v_fmac_f32_e32 v42, 0x32a5705f, v41
	v_add_f32_e32 v42, v44, v42
	v_cvt_i32_f32_e32 v43, v43
	v_exp_f32_e32 v42, v42
	v_cmp_ngt_f32_e32 vcc, s25, v41
	v_ldexp_f32 v42, v42, v43
	s_nop 0
	v_cndmask_b32_e32 v42, 0, v42, vcc
	v_cmp_nlt_f32_e32 vcc, s26, v41
	s_nop 1
	v_cndmask_b32_e32 v41, v37, v42, vcc
	v_add_f32_e32 v41, 1.0, v41
	v_rcp_f32_e32 v41, v41
	s_nop 0
	v_fma_f32 v41, v41, -2.0, 1.0
.LBB583_97:                             ;   in Loop: Header=BB583_3 Depth=1
	s_andn2_saveexec_b64 s[20:21], s[20:21]
; %bb.98:                               ;   in Loop: Header=BB583_3 Depth=1
	v_mul_f32_e32 v41, v15, v15
	v_fmamk_f32 v42, v41, 0xbbbac73d, v36
	v_fmaak_f32 v42, v41, v42, 0xbd5c1c4e
	v_fmaak_f32 v42, v41, v42, 0x3e088382
	v_fmaak_f32 v42, v41, v42, 0xbeaaaa99
	v_mul_f32_e64 v42, |v15|, v42
	v_fma_f32 v41, v41, v42, |v15|
; %bb.99:                               ;   in Loop: Header=BB583_3 Depth=1
	s_or_b64 exec, exec, s[20:21]
	v_bfi_b32 v14, s27, v39, v14
	v_mul_f32_e32 v10, 0.5, v10
	v_add_f32_e32 v14, 1.0, v14
	v_mul_f32_e32 v10, v10, v14
	v_cvt_f32_f16_e32 v14, v4
	v_bfi_b32 v15, s27, v41, v15
	v_cvt_f32_f16_sdwa v43, v11 dst_sel:DWORD dst_unused:UNUSED_PAD src0_sel:WORD_1
	v_cvt_f32_f16_e32 v42, v11
	v_mul_f32_e32 v11, 0.5, v40
	v_add_f32_e32 v15, 1.0, v15
	v_mul_f32_e32 v11, v11, v15
	v_mul_f32_e32 v15, v14, v14
	;; [unrolled: 1-line block ×3, first 2 shown]
	v_fma_mix_f32 v15, v15, s22, v4 op_sel_hi:[0,0,1]
	v_mul_f32_e32 v15, 0x3f4c422a, v15
	v_cmp_nlt_f32_e64 s[20:21], |v15|, s23
	;;#ASMSTART
	v_pk_mul_f32 v[10:11], v[10:11], v[42:43]
	;;#ASMEND
                                        ; implicit-def: $vgpr39
	s_and_saveexec_b64 s[28:29], s[20:21]
	s_xor_b64 s[20:21], exec, s[28:29]
	s_cbranch_execz .LBB583_101
; %bb.100:                              ;   in Loop: Header=BB583_3 Depth=1
	v_add_f32_e64 v39, |v15|, |v15|
	v_mul_f32_e32 v40, 0x3fb8aa3b, v39
	v_rndne_f32_e32 v41, v40
	v_sub_f32_e32 v42, v40, v41
	v_fma_f32 v40, v39, s24, -v40
	v_fmac_f32_e32 v40, 0x32a5705f, v39
	v_add_f32_e32 v40, v42, v40
	v_cvt_i32_f32_e32 v41, v41
	v_exp_f32_e32 v40, v40
	v_cmp_ngt_f32_e32 vcc, s25, v39
	v_ldexp_f32 v40, v40, v41
	s_nop 0
	v_cndmask_b32_e32 v40, 0, v40, vcc
	v_cmp_nlt_f32_e32 vcc, s26, v39
	s_nop 1
	v_cndmask_b32_e32 v39, v37, v40, vcc
	v_add_f32_e32 v39, 1.0, v39
	v_rcp_f32_e32 v39, v39
	s_nop 0
	v_fma_f32 v39, v39, -2.0, 1.0
.LBB583_101:                            ;   in Loop: Header=BB583_3 Depth=1
	s_andn2_saveexec_b64 s[20:21], s[20:21]
; %bb.102:                              ;   in Loop: Header=BB583_3 Depth=1
	v_mul_f32_e32 v39, v15, v15
	v_fmamk_f32 v40, v39, 0xbbbac73d, v36
	v_fmaak_f32 v40, v39, v40, 0xbd5c1c4e
	v_fmaak_f32 v40, v39, v40, 0x3e088382
	;; [unrolled: 1-line block ×3, first 2 shown]
	v_mul_f32_e64 v40, |v15|, v40
	v_fma_f32 v39, v39, v40, |v15|
; %bb.103:                              ;   in Loop: Header=BB583_3 Depth=1
	s_or_b64 exec, exec, s[20:21]
	v_cvt_f32_f16_sdwa v40, v4 dst_sel:DWORD dst_unused:UNUSED_PAD src0_sel:WORD_1
	v_mul_f32_e32 v41, v40, v40
	v_mul_f32_e32 v41, v41, v40
	v_fma_mix_f32 v4, v41, s22, v4 op_sel:[0,0,1] op_sel_hi:[0,0,1]
	v_mul_f32_e32 v4, 0x3f4c422a, v4
	v_cmp_nlt_f32_e64 s[20:21], |v4|, s23
                                        ; implicit-def: $vgpr41
	s_and_saveexec_b64 s[28:29], s[20:21]
	s_xor_b64 s[20:21], exec, s[28:29]
	s_cbranch_execz .LBB583_105
; %bb.104:                              ;   in Loop: Header=BB583_3 Depth=1
	v_add_f32_e64 v41, |v4|, |v4|
	v_mul_f32_e32 v42, 0x3fb8aa3b, v41
	v_rndne_f32_e32 v43, v42
	v_sub_f32_e32 v44, v42, v43
	v_fma_f32 v42, v41, s24, -v42
	v_fmac_f32_e32 v42, 0x32a5705f, v41
	v_add_f32_e32 v42, v44, v42
	v_cvt_i32_f32_e32 v43, v43
	v_exp_f32_e32 v42, v42
	v_cmp_ngt_f32_e32 vcc, s25, v41
	v_ldexp_f32 v42, v42, v43
	s_nop 0
	v_cndmask_b32_e32 v42, 0, v42, vcc
	v_cmp_nlt_f32_e32 vcc, s26, v41
	s_nop 1
	v_cndmask_b32_e32 v41, v37, v42, vcc
	v_add_f32_e32 v41, 1.0, v41
	v_rcp_f32_e32 v41, v41
	s_nop 0
	v_fma_f32 v41, v41, -2.0, 1.0
.LBB583_105:                            ;   in Loop: Header=BB583_3 Depth=1
	s_andn2_saveexec_b64 s[20:21], s[20:21]
; %bb.106:                              ;   in Loop: Header=BB583_3 Depth=1
	v_mul_f32_e32 v41, v4, v4
	v_fmamk_f32 v42, v41, 0xbbbac73d, v36
	v_fmaak_f32 v42, v41, v42, 0xbd5c1c4e
	v_fmaak_f32 v42, v41, v42, 0x3e088382
	;; [unrolled: 1-line block ×3, first 2 shown]
	v_mul_f32_e64 v42, |v4|, v42
	v_fma_f32 v41, v41, v42, |v4|
; %bb.107:                              ;   in Loop: Header=BB583_3 Depth=1
	s_or_b64 exec, exec, s[20:21]
	s_waitcnt vmcnt(0)
	v_cvt_f32_f16_sdwa v43, v0 dst_sel:DWORD dst_unused:UNUSED_PAD src0_sel:WORD_1
	v_cvt_f32_f16_e32 v42, v0
	v_cvt_f32_f16_e32 v0, v5
	v_bfi_b32 v15, s27, v39, v15
	v_mul_f32_e32 v14, 0.5, v14
	v_add_f32_e32 v15, 1.0, v15
	v_bfi_b32 v4, s27, v41, v4
	v_mul_f32_e32 v14, v14, v15
	v_mul_f32_e32 v15, 0.5, v40
	v_add_f32_e32 v4, 1.0, v4
	v_mul_f32_e32 v15, v15, v4
	v_mul_f32_e32 v4, v0, v0
	;; [unrolled: 1-line block ×3, first 2 shown]
	v_fma_mix_f32 v4, v4, s22, v5 op_sel_hi:[0,0,1]
	v_mul_f32_e32 v4, 0x3f4c422a, v4
	v_cmp_nlt_f32_e64 s[20:21], |v4|, s23
	;;#ASMSTART
	v_pk_mul_f32 v[14:15], v[14:15], v[42:43]
	;;#ASMEND
                                        ; implicit-def: $vgpr39
	s_and_saveexec_b64 s[28:29], s[20:21]
	s_xor_b64 s[20:21], exec, s[28:29]
	s_cbranch_execz .LBB583_109
; %bb.108:                              ;   in Loop: Header=BB583_3 Depth=1
	v_add_f32_e64 v39, |v4|, |v4|
	v_mul_f32_e32 v40, 0x3fb8aa3b, v39
	v_rndne_f32_e32 v41, v40
	v_sub_f32_e32 v42, v40, v41
	v_fma_f32 v40, v39, s24, -v40
	v_fmac_f32_e32 v40, 0x32a5705f, v39
	v_add_f32_e32 v40, v42, v40
	v_cvt_i32_f32_e32 v41, v41
	v_exp_f32_e32 v40, v40
	v_cmp_ngt_f32_e32 vcc, s25, v39
	v_ldexp_f32 v40, v40, v41
	s_nop 0
	v_cndmask_b32_e32 v40, 0, v40, vcc
	v_cmp_nlt_f32_e32 vcc, s26, v39
	s_nop 1
	v_cndmask_b32_e32 v39, v37, v40, vcc
	v_add_f32_e32 v39, 1.0, v39
	v_rcp_f32_e32 v39, v39
	s_nop 0
	v_fma_f32 v39, v39, -2.0, 1.0
.LBB583_109:                            ;   in Loop: Header=BB583_3 Depth=1
	s_andn2_saveexec_b64 s[20:21], s[20:21]
; %bb.110:                              ;   in Loop: Header=BB583_3 Depth=1
	v_mul_f32_e32 v39, v4, v4
	v_fmamk_f32 v40, v39, 0xbbbac73d, v36
	v_fmaak_f32 v40, v39, v40, 0xbd5c1c4e
	v_fmaak_f32 v40, v39, v40, 0x3e088382
	;; [unrolled: 1-line block ×3, first 2 shown]
	v_mul_f32_e64 v40, |v4|, v40
	v_fma_f32 v39, v39, v40, |v4|
; %bb.111:                              ;   in Loop: Header=BB583_3 Depth=1
	s_or_b64 exec, exec, s[20:21]
	v_cvt_f32_f16_sdwa v40, v5 dst_sel:DWORD dst_unused:UNUSED_PAD src0_sel:WORD_1
	v_mul_f32_e32 v41, v40, v40
	v_mul_f32_e32 v41, v41, v40
	v_fma_mix_f32 v5, v41, s22, v5 op_sel:[0,0,1] op_sel_hi:[0,0,1]
	v_mul_f32_e32 v5, 0x3f4c422a, v5
	v_cmp_nlt_f32_e64 s[20:21], |v5|, s23
                                        ; implicit-def: $vgpr41
	s_and_saveexec_b64 s[28:29], s[20:21]
	s_xor_b64 s[20:21], exec, s[28:29]
	s_cbranch_execz .LBB583_113
; %bb.112:                              ;   in Loop: Header=BB583_3 Depth=1
	v_add_f32_e64 v41, |v5|, |v5|
	v_mul_f32_e32 v42, 0x3fb8aa3b, v41
	v_rndne_f32_e32 v43, v42
	v_sub_f32_e32 v44, v42, v43
	v_fma_f32 v42, v41, s24, -v42
	v_fmac_f32_e32 v42, 0x32a5705f, v41
	v_add_f32_e32 v42, v44, v42
	v_cvt_i32_f32_e32 v43, v43
	v_exp_f32_e32 v42, v42
	v_cmp_ngt_f32_e32 vcc, s25, v41
	v_ldexp_f32 v42, v42, v43
	s_nop 0
	v_cndmask_b32_e32 v42, 0, v42, vcc
	v_cmp_nlt_f32_e32 vcc, s26, v41
	s_nop 1
	v_cndmask_b32_e32 v41, v37, v42, vcc
	v_add_f32_e32 v41, 1.0, v41
	v_rcp_f32_e32 v41, v41
	s_nop 0
	v_fma_f32 v41, v41, -2.0, 1.0
.LBB583_113:                            ;   in Loop: Header=BB583_3 Depth=1
	s_andn2_saveexec_b64 s[20:21], s[20:21]
; %bb.114:                              ;   in Loop: Header=BB583_3 Depth=1
	v_mul_f32_e32 v41, v5, v5
	v_fmamk_f32 v42, v41, 0xbbbac73d, v36
	v_fmaak_f32 v42, v41, v42, 0xbd5c1c4e
	v_fmaak_f32 v42, v41, v42, 0x3e088382
	;; [unrolled: 1-line block ×3, first 2 shown]
	v_mul_f32_e64 v42, |v5|, v42
	v_fma_f32 v41, v41, v42, |v5|
; %bb.115:                              ;   in Loop: Header=BB583_3 Depth=1
	s_or_b64 exec, exec, s[20:21]
	v_bfi_b32 v4, s27, v39, v4
	v_mul_f32_e32 v0, 0.5, v0
	v_add_f32_e32 v4, 1.0, v4
	v_mul_f32_e32 v0, v0, v4
	v_cvt_f32_f16_e32 v4, v6
	v_bfi_b32 v5, s27, v41, v5
	v_cvt_f32_f16_sdwa v43, v1 dst_sel:DWORD dst_unused:UNUSED_PAD src0_sel:WORD_1
	v_cvt_f32_f16_e32 v42, v1
	v_mul_f32_e32 v1, 0.5, v40
	v_add_f32_e32 v5, 1.0, v5
	v_mul_f32_e32 v1, v1, v5
	v_mul_f32_e32 v5, v4, v4
	;; [unrolled: 1-line block ×3, first 2 shown]
	v_fma_mix_f32 v5, v5, s22, v6 op_sel_hi:[0,0,1]
	v_mul_f32_e32 v5, 0x3f4c422a, v5
	v_cmp_nlt_f32_e64 s[20:21], |v5|, s23
	;;#ASMSTART
	v_pk_mul_f32 v[0:1], v[0:1], v[42:43]
	;;#ASMEND
                                        ; implicit-def: $vgpr39
	s_and_saveexec_b64 s[28:29], s[20:21]
	s_xor_b64 s[20:21], exec, s[28:29]
	s_cbranch_execz .LBB583_117
; %bb.116:                              ;   in Loop: Header=BB583_3 Depth=1
	v_add_f32_e64 v39, |v5|, |v5|
	v_mul_f32_e32 v40, 0x3fb8aa3b, v39
	v_rndne_f32_e32 v41, v40
	v_sub_f32_e32 v42, v40, v41
	v_fma_f32 v40, v39, s24, -v40
	v_fmac_f32_e32 v40, 0x32a5705f, v39
	v_add_f32_e32 v40, v42, v40
	v_cvt_i32_f32_e32 v41, v41
	v_exp_f32_e32 v40, v40
	v_cmp_ngt_f32_e32 vcc, s25, v39
	v_ldexp_f32 v40, v40, v41
	s_nop 0
	v_cndmask_b32_e32 v40, 0, v40, vcc
	v_cmp_nlt_f32_e32 vcc, s26, v39
	s_nop 1
	v_cndmask_b32_e32 v39, v37, v40, vcc
	v_add_f32_e32 v39, 1.0, v39
	v_rcp_f32_e32 v39, v39
	s_nop 0
	v_fma_f32 v39, v39, -2.0, 1.0
.LBB583_117:                            ;   in Loop: Header=BB583_3 Depth=1
	s_andn2_saveexec_b64 s[20:21], s[20:21]
; %bb.118:                              ;   in Loop: Header=BB583_3 Depth=1
	v_mul_f32_e32 v39, v5, v5
	v_fmamk_f32 v40, v39, 0xbbbac73d, v36
	v_fmaak_f32 v40, v39, v40, 0xbd5c1c4e
	v_fmaak_f32 v40, v39, v40, 0x3e088382
	;; [unrolled: 1-line block ×3, first 2 shown]
	v_mul_f32_e64 v40, |v5|, v40
	v_fma_f32 v39, v39, v40, |v5|
; %bb.119:                              ;   in Loop: Header=BB583_3 Depth=1
	s_or_b64 exec, exec, s[20:21]
	v_cvt_f32_f16_sdwa v40, v6 dst_sel:DWORD dst_unused:UNUSED_PAD src0_sel:WORD_1
	v_mul_f32_e32 v41, v40, v40
	v_mul_f32_e32 v41, v41, v40
	v_fma_mix_f32 v6, v41, s22, v6 op_sel:[0,0,1] op_sel_hi:[0,0,1]
	v_mul_f32_e32 v6, 0x3f4c422a, v6
	v_cmp_nlt_f32_e64 s[20:21], |v6|, s23
                                        ; implicit-def: $vgpr41
	s_and_saveexec_b64 s[28:29], s[20:21]
	s_xor_b64 s[20:21], exec, s[28:29]
	s_cbranch_execz .LBB583_121
; %bb.120:                              ;   in Loop: Header=BB583_3 Depth=1
	v_add_f32_e64 v41, |v6|, |v6|
	v_mul_f32_e32 v42, 0x3fb8aa3b, v41
	v_rndne_f32_e32 v43, v42
	v_sub_f32_e32 v44, v42, v43
	v_fma_f32 v42, v41, s24, -v42
	v_fmac_f32_e32 v42, 0x32a5705f, v41
	v_add_f32_e32 v42, v44, v42
	v_cvt_i32_f32_e32 v43, v43
	v_exp_f32_e32 v42, v42
	v_cmp_ngt_f32_e32 vcc, s25, v41
	v_ldexp_f32 v42, v42, v43
	s_nop 0
	v_cndmask_b32_e32 v42, 0, v42, vcc
	v_cmp_nlt_f32_e32 vcc, s26, v41
	s_nop 1
	v_cndmask_b32_e32 v41, v37, v42, vcc
	v_add_f32_e32 v41, 1.0, v41
	v_rcp_f32_e32 v41, v41
	s_nop 0
	v_fma_f32 v41, v41, -2.0, 1.0
.LBB583_121:                            ;   in Loop: Header=BB583_3 Depth=1
	s_andn2_saveexec_b64 s[20:21], s[20:21]
; %bb.122:                              ;   in Loop: Header=BB583_3 Depth=1
	v_mul_f32_e32 v41, v6, v6
	v_fmamk_f32 v42, v41, 0xbbbac73d, v36
	v_fmaak_f32 v42, v41, v42, 0xbd5c1c4e
	v_fmaak_f32 v42, v41, v42, 0x3e088382
	;; [unrolled: 1-line block ×3, first 2 shown]
	v_mul_f32_e64 v42, |v6|, v42
	v_fma_f32 v41, v41, v42, |v6|
; %bb.123:                              ;   in Loop: Header=BB583_3 Depth=1
	s_or_b64 exec, exec, s[20:21]
	v_cvt_f32_f16_sdwa v43, v2 dst_sel:DWORD dst_unused:UNUSED_PAD src0_sel:WORD_1
	v_cvt_f32_f16_e32 v42, v2
	v_cvt_f32_f16_e32 v2, v7
	v_bfi_b32 v5, s27, v39, v5
	v_mul_f32_e32 v4, 0.5, v4
	v_add_f32_e32 v5, 1.0, v5
	v_bfi_b32 v6, s27, v41, v6
	v_mul_f32_e32 v4, v4, v5
	v_mul_f32_e32 v5, 0.5, v40
	v_add_f32_e32 v6, 1.0, v6
	v_mul_f32_e32 v5, v5, v6
	v_mul_f32_e32 v6, v2, v2
	;; [unrolled: 1-line block ×3, first 2 shown]
	v_fma_mix_f32 v6, v6, s22, v7 op_sel_hi:[0,0,1]
	v_mul_f32_e32 v6, 0x3f4c422a, v6
	v_cmp_nlt_f32_e64 s[20:21], |v6|, s23
	;;#ASMSTART
	v_pk_mul_f32 v[4:5], v[4:5], v[42:43]
	;;#ASMEND
                                        ; implicit-def: $vgpr40
	s_and_saveexec_b64 s[28:29], s[20:21]
	s_xor_b64 s[20:21], exec, s[28:29]
	s_cbranch_execz .LBB583_125
; %bb.124:                              ;   in Loop: Header=BB583_3 Depth=1
	v_add_f32_e64 v39, |v6|, |v6|
	v_mul_f32_e32 v40, 0x3fb8aa3b, v39
	v_rndne_f32_e32 v41, v40
	v_sub_f32_e32 v42, v40, v41
	v_fma_f32 v40, v39, s24, -v40
	v_fmac_f32_e32 v40, 0x32a5705f, v39
	v_add_f32_e32 v40, v42, v40
	v_cvt_i32_f32_e32 v41, v41
	v_exp_f32_e32 v40, v40
	v_cmp_ngt_f32_e32 vcc, s25, v39
	v_ldexp_f32 v40, v40, v41
	s_nop 0
	v_cndmask_b32_e32 v40, 0, v40, vcc
	v_cmp_nlt_f32_e32 vcc, s26, v39
	s_nop 1
	v_cndmask_b32_e32 v39, v37, v40, vcc
	v_add_f32_e32 v39, 1.0, v39
	v_rcp_f32_e32 v39, v39
	s_nop 0
	v_fma_f32 v40, v39, -2.0, 1.0
.LBB583_125:                            ;   in Loop: Header=BB583_3 Depth=1
	s_andn2_saveexec_b64 s[20:21], s[20:21]
; %bb.126:                              ;   in Loop: Header=BB583_3 Depth=1
	v_mul_f32_e32 v39, v6, v6
	v_fmamk_f32 v40, v39, 0xbbbac73d, v36
	v_fmaak_f32 v40, v39, v40, 0xbd5c1c4e
	v_fmaak_f32 v40, v39, v40, 0x3e088382
	;; [unrolled: 1-line block ×3, first 2 shown]
	v_mul_f32_e64 v40, |v6|, v40
	v_fma_f32 v40, v39, v40, |v6|
; %bb.127:                              ;   in Loop: Header=BB583_3 Depth=1
	s_or_b64 exec, exec, s[20:21]
	v_cvt_f32_f16_sdwa v39, v7 dst_sel:DWORD dst_unused:UNUSED_PAD src0_sel:WORD_1
	v_mul_f32_e32 v41, v39, v39
	v_mul_f32_e32 v41, v41, v39
	v_fma_mix_f32 v7, v41, s22, v7 op_sel:[0,0,1] op_sel_hi:[0,0,1]
	v_mul_f32_e32 v7, 0x3f4c422a, v7
	v_cmp_nlt_f32_e64 s[20:21], |v7|, s23
                                        ; implicit-def: $vgpr41
	s_and_saveexec_b64 s[28:29], s[20:21]
	s_xor_b64 s[20:21], exec, s[28:29]
	s_cbranch_execz .LBB583_129
; %bb.128:                              ;   in Loop: Header=BB583_3 Depth=1
	v_add_f32_e64 v41, |v7|, |v7|
	v_mul_f32_e32 v42, 0x3fb8aa3b, v41
	v_rndne_f32_e32 v43, v42
	v_sub_f32_e32 v44, v42, v43
	v_fma_f32 v42, v41, s24, -v42
	v_fmac_f32_e32 v42, 0x32a5705f, v41
	v_add_f32_e32 v42, v44, v42
	v_cvt_i32_f32_e32 v43, v43
	v_exp_f32_e32 v42, v42
	v_cmp_ngt_f32_e32 vcc, s25, v41
	v_ldexp_f32 v42, v42, v43
	s_nop 0
	v_cndmask_b32_e32 v42, 0, v42, vcc
	v_cmp_nlt_f32_e32 vcc, s26, v41
	s_nop 1
	v_cndmask_b32_e32 v41, v37, v42, vcc
	v_add_f32_e32 v41, 1.0, v41
	v_rcp_f32_e32 v41, v41
	s_nop 0
	v_fma_f32 v41, v41, -2.0, 1.0
.LBB583_129:                            ;   in Loop: Header=BB583_3 Depth=1
	s_andn2_saveexec_b64 s[20:21], s[20:21]
	s_cbranch_execz .LBB583_2
; %bb.130:                              ;   in Loop: Header=BB583_3 Depth=1
	v_mul_f32_e32 v41, v7, v7
	v_fmamk_f32 v42, v41, 0xbbbac73d, v36
	v_fmaak_f32 v42, v41, v42, 0xbd5c1c4e
	v_fmaak_f32 v42, v41, v42, 0x3e088382
	;; [unrolled: 1-line block ×3, first 2 shown]
	v_mul_f32_e64 v42, |v7|, v42
	v_fma_f32 v41, v41, v42, |v7|
	s_branch .LBB583_2
.LBB583_131:
	s_endpgm
	.section	.rodata,"a",@progbits
	.p2align	6, 0x0
	.amdhsa_kernel _ZN5aiter18act_and_mul_kernelIDF16_DF16_TnPFfRKT_EXadL_ZNS_16gelu_tanh_kernelIDF16_EEfS3_EELi32ELb0ELi3EEEvPT0_PS2_if
		.amdhsa_group_segment_fixed_size 0
		.amdhsa_private_segment_fixed_size 0
		.amdhsa_kernarg_size 280
		.amdhsa_user_sgpr_count 2
		.amdhsa_user_sgpr_dispatch_ptr 0
		.amdhsa_user_sgpr_queue_ptr 0
		.amdhsa_user_sgpr_kernarg_segment_ptr 1
		.amdhsa_user_sgpr_dispatch_id 0
		.amdhsa_user_sgpr_kernarg_preload_length 0
		.amdhsa_user_sgpr_kernarg_preload_offset 0
		.amdhsa_user_sgpr_private_segment_size 0
		.amdhsa_uses_dynamic_stack 0
		.amdhsa_enable_private_segment 0
		.amdhsa_system_sgpr_workgroup_id_x 1
		.amdhsa_system_sgpr_workgroup_id_y 0
		.amdhsa_system_sgpr_workgroup_id_z 0
		.amdhsa_system_sgpr_workgroup_info 0
		.amdhsa_system_vgpr_workitem_id 0
		.amdhsa_next_free_vgpr 45
		.amdhsa_next_free_sgpr 30
		.amdhsa_accum_offset 48
		.amdhsa_reserve_vcc 1
		.amdhsa_float_round_mode_32 0
		.amdhsa_float_round_mode_16_64 0
		.amdhsa_float_denorm_mode_32 3
		.amdhsa_float_denorm_mode_16_64 3
		.amdhsa_dx10_clamp 1
		.amdhsa_ieee_mode 1
		.amdhsa_fp16_overflow 0
		.amdhsa_tg_split 0
		.amdhsa_exception_fp_ieee_invalid_op 0
		.amdhsa_exception_fp_denorm_src 0
		.amdhsa_exception_fp_ieee_div_zero 0
		.amdhsa_exception_fp_ieee_overflow 0
		.amdhsa_exception_fp_ieee_underflow 0
		.amdhsa_exception_fp_ieee_inexact 0
		.amdhsa_exception_int_div_zero 0
	.end_amdhsa_kernel
	.section	.text._ZN5aiter18act_and_mul_kernelIDF16_DF16_TnPFfRKT_EXadL_ZNS_16gelu_tanh_kernelIDF16_EEfS3_EELi32ELb0ELi3EEEvPT0_PS2_if,"axG",@progbits,_ZN5aiter18act_and_mul_kernelIDF16_DF16_TnPFfRKT_EXadL_ZNS_16gelu_tanh_kernelIDF16_EEfS3_EELi32ELb0ELi3EEEvPT0_PS2_if,comdat
.Lfunc_end583:
	.size	_ZN5aiter18act_and_mul_kernelIDF16_DF16_TnPFfRKT_EXadL_ZNS_16gelu_tanh_kernelIDF16_EEfS3_EELi32ELb0ELi3EEEvPT0_PS2_if, .Lfunc_end583-_ZN5aiter18act_and_mul_kernelIDF16_DF16_TnPFfRKT_EXadL_ZNS_16gelu_tanh_kernelIDF16_EEfS3_EELi32ELb0ELi3EEEvPT0_PS2_if
                                        ; -- End function
	.section	.AMDGPU.csdata,"",@progbits
; Kernel info:
; codeLenInByte = 8500
; NumSgprs: 36
; NumVgprs: 45
; NumAgprs: 0
; TotalNumVgprs: 45
; ScratchSize: 0
; MemoryBound: 0
; FloatMode: 240
; IeeeMode: 1
; LDSByteSize: 0 bytes/workgroup (compile time only)
; SGPRBlocks: 4
; VGPRBlocks: 5
; NumSGPRsForWavesPerEU: 36
; NumVGPRsForWavesPerEU: 45
; AccumOffset: 48
; Occupancy: 8
; WaveLimiterHint : 0
; COMPUTE_PGM_RSRC2:SCRATCH_EN: 0
; COMPUTE_PGM_RSRC2:USER_SGPR: 2
; COMPUTE_PGM_RSRC2:TRAP_HANDLER: 0
; COMPUTE_PGM_RSRC2:TGID_X_EN: 1
; COMPUTE_PGM_RSRC2:TGID_Y_EN: 0
; COMPUTE_PGM_RSRC2:TGID_Z_EN: 0
; COMPUTE_PGM_RSRC2:TIDIG_COMP_CNT: 0
; COMPUTE_PGM_RSRC3_GFX90A:ACCUM_OFFSET: 11
; COMPUTE_PGM_RSRC3_GFX90A:TG_SPLIT: 0
	.section	.text._ZN5aiter18act_and_mul_kernelIDF16_DF16_TnPFfRKT_EXadL_ZNS_16gelu_tanh_kernelIDF16_EEfS3_EELi16ELb0ELi3EEEvPT0_PS2_if,"axG",@progbits,_ZN5aiter18act_and_mul_kernelIDF16_DF16_TnPFfRKT_EXadL_ZNS_16gelu_tanh_kernelIDF16_EEfS3_EELi16ELb0ELi3EEEvPT0_PS2_if,comdat
	.protected	_ZN5aiter18act_and_mul_kernelIDF16_DF16_TnPFfRKT_EXadL_ZNS_16gelu_tanh_kernelIDF16_EEfS3_EELi16ELb0ELi3EEEvPT0_PS2_if ; -- Begin function _ZN5aiter18act_and_mul_kernelIDF16_DF16_TnPFfRKT_EXadL_ZNS_16gelu_tanh_kernelIDF16_EEfS3_EELi16ELb0ELi3EEEvPT0_PS2_if
	.globl	_ZN5aiter18act_and_mul_kernelIDF16_DF16_TnPFfRKT_EXadL_ZNS_16gelu_tanh_kernelIDF16_EEfS3_EELi16ELb0ELi3EEEvPT0_PS2_if
	.p2align	8
	.type	_ZN5aiter18act_and_mul_kernelIDF16_DF16_TnPFfRKT_EXadL_ZNS_16gelu_tanh_kernelIDF16_EEfS3_EELi16ELb0ELi3EEEvPT0_PS2_if,@function
_ZN5aiter18act_and_mul_kernelIDF16_DF16_TnPFfRKT_EXadL_ZNS_16gelu_tanh_kernelIDF16_EEfS3_EELi16ELb0ELi3EEEvPT0_PS2_if: ; @_ZN5aiter18act_and_mul_kernelIDF16_DF16_TnPFfRKT_EXadL_ZNS_16gelu_tanh_kernelIDF16_EEfS3_EELi16ELb0ELi3EEEvPT0_PS2_if
; %bb.0:
	s_load_dword s16, s[0:1], 0x10
	v_lshlrev_b32_e32 v16, 4, v0
	s_waitcnt lgkmcnt(0)
	v_cmp_gt_i32_e32 vcc, s16, v16
	s_and_saveexec_b64 s[4:5], vcc
	s_cbranch_execz .LBB584_67
; %bb.1:
	s_load_dwordx4 s[12:15], s[0:1], 0x0
	s_ashr_i32 s17, s16, 31
	s_mul_hi_u32 s3, s16, s2
	s_mul_i32 s4, s17, s2
	s_add_i32 s3, s3, s4
	s_mul_i32 s2, s16, s2
	s_lshl_b64 s[10:11], s[2:3], 1
	s_lshl_b64 s[2:3], s[2:3], 2
	s_waitcnt lgkmcnt(0)
	s_add_u32 s4, s14, s2
	s_addc_u32 s5, s15, s3
	s_lshl_b64 s[2:3], s[16:17], 1
	s_add_u32 s8, s4, s2
	s_addc_u32 s2, s5, s3
	s_add_i32 s3, s16, 1
	s_lshr_b32 s6, s3, 31
	s_add_i32 s3, s3, s6
	s_lshl_b32 s3, s3, 1
	s_and_b32 s6, s3, -4
	s_and_b32 s5, s5, 0xffff
	s_and_b32 s9, s2, 0xffff
	s_add_u32 s12, s12, s10
	s_addc_u32 s2, s13, s11
	s_and_b32 s13, s2, 0xffff
	s_mov_b32 s7, 0x20000
	s_add_u32 s0, s0, 24
	v_mov_b32_e32 v17, 0
	s_addc_u32 s1, s1, 0
	s_mov_b64 s[2:3], 0
	s_mov_b32 s19, 0
	s_mov_b32 s10, s6
	;; [unrolled: 1-line block ×8, first 2 shown]
	v_mov_b32_e32 v20, 0x3ca908c9
	s_brev_b32 s27, -2
	v_mov_b32_e32 v21, 0x7f800000
	s_mov_b32 s14, s6
	s_mov_b32 s15, s7
                                        ; implicit-def: $vgpr0
                                        ; implicit-def: $vgpr0
	;; [unrolled: 1-line block ×3, first 2 shown]
	s_branch .LBB584_3
.LBB584_2:                              ;   in Loop: Header=BB584_3 Depth=1
	s_or_b64 exec, exec, s[20:21]
	v_bfi_b32 v6, s27, v23, v6
	v_mul_f32_e32 v2, 0.5, v2
	v_add_f32_e32 v6, 1.0, v6
	v_cvt_f16_f32_e32 v23, v1
	v_bfi_b32 v1, s27, v25, v7
	v_mul_f32_e32 v2, v2, v6
	v_cvt_f16_f32_e32 v6, v14
	v_cvt_f16_f32_e32 v14, v15
	;; [unrolled: 1-line block ×3, first 2 shown]
	v_mul_f32_e32 v0, 0.5, v24
	v_add_f32_e32 v1, 1.0, v1
	v_cvt_f32_f16_sdwa v27, v3 dst_sel:DWORD dst_unused:UNUSED_PAD src0_sel:WORD_1
	v_cvt_f32_f16_e32 v26, v3
	v_mul_f32_e32 v3, v0, v1
	;;#ASMSTART
	v_pk_mul_f32 v[0:1], v[2:3], v[26:27]
	;;#ASMEND
	s_load_dword s18, s[0:1], 0xc
	v_cvt_f16_f32_e32 v18, v18
	v_cvt_f16_f32_e32 v19, v19
	;; [unrolled: 1-line block ×12, first 2 shown]
	s_waitcnt lgkmcnt(0)
	s_and_b32 s18, s18, 0xffff
	s_lshl_b32 s18, s18, 4
	v_lshl_add_u64 v[16:17], s[18:19], 0, v[16:17]
	v_pack_b32_f16 v3, v10, v11
	v_pack_b32_f16 v2, v12, v13
	;; [unrolled: 1-line block ×4, first 2 shown]
	v_cmp_le_i64_e32 vcc, s[16:17], v[16:17]
	buffer_store_dwordx4 v[0:3], v22, s[12:15], 0 offen
	s_or_b64 s[2:3], vcc, s[2:3]
	s_nop 0
	v_pack_b32_f16 v3, v7, v24
	v_pack_b32_f16 v2, v4, v5
	;; [unrolled: 1-line block ×4, first 2 shown]
	buffer_store_dwordx4 v[0:3], v22, s[12:15], 16 offen
	s_andn2_b64 exec, exec, s[2:3]
	s_cbranch_execz .LBB584_67
.LBB584_3:                              ; =>This Inner Loop Header: Depth=1
	v_lshlrev_b32_e32 v22, 1, v16
	buffer_load_dwordx4 v[12:15], v22, s[4:7], 0 offen sc0 nt
	buffer_load_dwordx4 v[4:7], v22, s[4:7], 16 offen sc0 nt
	;; [unrolled: 1-line block ×4, first 2 shown]
                                        ; implicit-def: $vgpr23
	s_waitcnt vmcnt(3)
	v_cvt_f32_f16_e32 v18, v12
	v_mul_f32_e32 v19, v18, v18
	v_mul_f32_e32 v19, v19, v18
	v_fma_mix_f32 v19, v19, s22, v12 op_sel_hi:[0,0,1]
	v_mul_f32_e32 v19, 0x3f4c422a, v19
	v_cmp_nlt_f32_e64 s[20:21], |v19|, s23
	s_and_saveexec_b64 s[28:29], s[20:21]
	s_xor_b64 s[20:21], exec, s[28:29]
	s_cbranch_execz .LBB584_5
; %bb.4:                                ;   in Loop: Header=BB584_3 Depth=1
	v_add_f32_e64 v23, |v19|, |v19|
	v_mul_f32_e32 v24, 0x3fb8aa3b, v23
	v_rndne_f32_e32 v25, v24
	v_sub_f32_e32 v26, v24, v25
	v_fma_f32 v24, v23, s24, -v24
	v_fmac_f32_e32 v24, 0x32a5705f, v23
	v_add_f32_e32 v24, v26, v24
	v_cvt_i32_f32_e32 v25, v25
	v_exp_f32_e32 v24, v24
	v_cmp_ngt_f32_e32 vcc, s25, v23
	v_ldexp_f32 v24, v24, v25
	s_nop 0
	v_cndmask_b32_e32 v24, 0, v24, vcc
	v_cmp_nlt_f32_e32 vcc, s26, v23
	s_nop 1
	v_cndmask_b32_e32 v23, v21, v24, vcc
	v_add_f32_e32 v23, 1.0, v23
	v_rcp_f32_e32 v23, v23
	s_nop 0
	v_fma_f32 v23, v23, -2.0, 1.0
.LBB584_5:                              ;   in Loop: Header=BB584_3 Depth=1
	s_andn2_saveexec_b64 s[20:21], s[20:21]
; %bb.6:                                ;   in Loop: Header=BB584_3 Depth=1
	v_mul_f32_e32 v23, v19, v19
	v_fmamk_f32 v24, v23, 0xbbbac73d, v20
	v_fmaak_f32 v24, v23, v24, 0xbd5c1c4e
	v_fmaak_f32 v24, v23, v24, 0x3e088382
	;; [unrolled: 1-line block ×3, first 2 shown]
	v_mul_f32_e64 v24, |v19|, v24
	v_fma_f32 v23, v23, v24, |v19|
; %bb.7:                                ;   in Loop: Header=BB584_3 Depth=1
	s_or_b64 exec, exec, s[20:21]
	v_cvt_f32_f16_sdwa v24, v12 dst_sel:DWORD dst_unused:UNUSED_PAD src0_sel:WORD_1
	v_mul_f32_e32 v25, v24, v24
	v_mul_f32_e32 v25, v25, v24
	v_fma_mix_f32 v12, v25, s22, v12 op_sel:[0,0,1] op_sel_hi:[0,0,1]
	v_mul_f32_e32 v12, 0x3f4c422a, v12
	v_cmp_nlt_f32_e64 s[20:21], |v12|, s23
                                        ; implicit-def: $vgpr25
	s_and_saveexec_b64 s[28:29], s[20:21]
	s_xor_b64 s[20:21], exec, s[28:29]
	s_cbranch_execz .LBB584_9
; %bb.8:                                ;   in Loop: Header=BB584_3 Depth=1
	v_add_f32_e64 v25, |v12|, |v12|
	v_mul_f32_e32 v26, 0x3fb8aa3b, v25
	v_rndne_f32_e32 v27, v26
	v_sub_f32_e32 v28, v26, v27
	v_fma_f32 v26, v25, s24, -v26
	v_fmac_f32_e32 v26, 0x32a5705f, v25
	v_add_f32_e32 v26, v28, v26
	v_cvt_i32_f32_e32 v27, v27
	v_exp_f32_e32 v26, v26
	v_cmp_ngt_f32_e32 vcc, s25, v25
	v_ldexp_f32 v26, v26, v27
	s_nop 0
	v_cndmask_b32_e32 v26, 0, v26, vcc
	v_cmp_nlt_f32_e32 vcc, s26, v25
	s_nop 1
	v_cndmask_b32_e32 v25, v21, v26, vcc
	v_add_f32_e32 v25, 1.0, v25
	v_rcp_f32_e32 v25, v25
	s_nop 0
	v_fma_f32 v25, v25, -2.0, 1.0
.LBB584_9:                              ;   in Loop: Header=BB584_3 Depth=1
	s_andn2_saveexec_b64 s[20:21], s[20:21]
; %bb.10:                               ;   in Loop: Header=BB584_3 Depth=1
	v_mul_f32_e32 v25, v12, v12
	v_fmamk_f32 v26, v25, 0xbbbac73d, v20
	v_fmaak_f32 v26, v25, v26, 0xbd5c1c4e
	v_fmaak_f32 v26, v25, v26, 0x3e088382
	;; [unrolled: 1-line block ×3, first 2 shown]
	v_mul_f32_e64 v26, |v12|, v26
	v_fma_f32 v25, v25, v26, |v12|
; %bb.11:                               ;   in Loop: Header=BB584_3 Depth=1
	s_or_b64 exec, exec, s[20:21]
	s_waitcnt vmcnt(1)
	v_cvt_f32_f16_sdwa v27, v8 dst_sel:DWORD dst_unused:UNUSED_PAD src0_sel:WORD_1
	v_cvt_f32_f16_e32 v26, v8
	v_cvt_f32_f16_e32 v8, v13
	v_bfi_b32 v19, s27, v23, v19
	v_mul_f32_e32 v18, 0.5, v18
	v_add_f32_e32 v19, 1.0, v19
	v_bfi_b32 v12, s27, v25, v12
	v_mul_f32_e32 v18, v18, v19
	v_mul_f32_e32 v19, 0.5, v24
	v_add_f32_e32 v12, 1.0, v12
	v_mul_f32_e32 v19, v19, v12
	v_mul_f32_e32 v12, v8, v8
	;; [unrolled: 1-line block ×3, first 2 shown]
	v_fma_mix_f32 v12, v12, s22, v13 op_sel_hi:[0,0,1]
	v_mul_f32_e32 v12, 0x3f4c422a, v12
	v_cmp_nlt_f32_e64 s[20:21], |v12|, s23
	;;#ASMSTART
	v_pk_mul_f32 v[18:19], v[18:19], v[26:27]
	;;#ASMEND
                                        ; implicit-def: $vgpr23
	s_and_saveexec_b64 s[28:29], s[20:21]
	s_xor_b64 s[20:21], exec, s[28:29]
	s_cbranch_execz .LBB584_13
; %bb.12:                               ;   in Loop: Header=BB584_3 Depth=1
	v_add_f32_e64 v23, |v12|, |v12|
	v_mul_f32_e32 v24, 0x3fb8aa3b, v23
	v_rndne_f32_e32 v25, v24
	v_sub_f32_e32 v26, v24, v25
	v_fma_f32 v24, v23, s24, -v24
	v_fmac_f32_e32 v24, 0x32a5705f, v23
	v_add_f32_e32 v24, v26, v24
	v_cvt_i32_f32_e32 v25, v25
	v_exp_f32_e32 v24, v24
	v_cmp_ngt_f32_e32 vcc, s25, v23
	v_ldexp_f32 v24, v24, v25
	s_nop 0
	v_cndmask_b32_e32 v24, 0, v24, vcc
	v_cmp_nlt_f32_e32 vcc, s26, v23
	s_nop 1
	v_cndmask_b32_e32 v23, v21, v24, vcc
	v_add_f32_e32 v23, 1.0, v23
	v_rcp_f32_e32 v23, v23
	s_nop 0
	v_fma_f32 v23, v23, -2.0, 1.0
.LBB584_13:                             ;   in Loop: Header=BB584_3 Depth=1
	s_andn2_saveexec_b64 s[20:21], s[20:21]
; %bb.14:                               ;   in Loop: Header=BB584_3 Depth=1
	v_mul_f32_e32 v23, v12, v12
	v_fmamk_f32 v24, v23, 0xbbbac73d, v20
	v_fmaak_f32 v24, v23, v24, 0xbd5c1c4e
	v_fmaak_f32 v24, v23, v24, 0x3e088382
	;; [unrolled: 1-line block ×3, first 2 shown]
	v_mul_f32_e64 v24, |v12|, v24
	v_fma_f32 v23, v23, v24, |v12|
; %bb.15:                               ;   in Loop: Header=BB584_3 Depth=1
	s_or_b64 exec, exec, s[20:21]
	v_cvt_f32_f16_sdwa v24, v13 dst_sel:DWORD dst_unused:UNUSED_PAD src0_sel:WORD_1
	v_mul_f32_e32 v25, v24, v24
	v_mul_f32_e32 v25, v25, v24
	v_fma_mix_f32 v13, v25, s22, v13 op_sel:[0,0,1] op_sel_hi:[0,0,1]
	v_mul_f32_e32 v13, 0x3f4c422a, v13
	v_cmp_nlt_f32_e64 s[20:21], |v13|, s23
                                        ; implicit-def: $vgpr25
	s_and_saveexec_b64 s[28:29], s[20:21]
	s_xor_b64 s[20:21], exec, s[28:29]
	s_cbranch_execz .LBB584_17
; %bb.16:                               ;   in Loop: Header=BB584_3 Depth=1
	v_add_f32_e64 v25, |v13|, |v13|
	v_mul_f32_e32 v26, 0x3fb8aa3b, v25
	v_rndne_f32_e32 v27, v26
	v_sub_f32_e32 v28, v26, v27
	v_fma_f32 v26, v25, s24, -v26
	v_fmac_f32_e32 v26, 0x32a5705f, v25
	v_add_f32_e32 v26, v28, v26
	v_cvt_i32_f32_e32 v27, v27
	v_exp_f32_e32 v26, v26
	v_cmp_ngt_f32_e32 vcc, s25, v25
	v_ldexp_f32 v26, v26, v27
	s_nop 0
	v_cndmask_b32_e32 v26, 0, v26, vcc
	v_cmp_nlt_f32_e32 vcc, s26, v25
	s_nop 1
	v_cndmask_b32_e32 v25, v21, v26, vcc
	v_add_f32_e32 v25, 1.0, v25
	v_rcp_f32_e32 v25, v25
	s_nop 0
	v_fma_f32 v25, v25, -2.0, 1.0
.LBB584_17:                             ;   in Loop: Header=BB584_3 Depth=1
	s_andn2_saveexec_b64 s[20:21], s[20:21]
; %bb.18:                               ;   in Loop: Header=BB584_3 Depth=1
	v_mul_f32_e32 v25, v13, v13
	v_fmamk_f32 v26, v25, 0xbbbac73d, v20
	v_fmaak_f32 v26, v25, v26, 0xbd5c1c4e
	v_fmaak_f32 v26, v25, v26, 0x3e088382
	;; [unrolled: 1-line block ×3, first 2 shown]
	v_mul_f32_e64 v26, |v13|, v26
	v_fma_f32 v25, v25, v26, |v13|
; %bb.19:                               ;   in Loop: Header=BB584_3 Depth=1
	s_or_b64 exec, exec, s[20:21]
	v_bfi_b32 v12, s27, v23, v12
	v_mul_f32_e32 v8, 0.5, v8
	v_add_f32_e32 v12, 1.0, v12
	v_mul_f32_e32 v8, v8, v12
	v_cvt_f32_f16_e32 v12, v14
	v_bfi_b32 v13, s27, v25, v13
	v_cvt_f32_f16_sdwa v27, v9 dst_sel:DWORD dst_unused:UNUSED_PAD src0_sel:WORD_1
	v_cvt_f32_f16_e32 v26, v9
	v_mul_f32_e32 v9, 0.5, v24
	v_add_f32_e32 v13, 1.0, v13
	v_mul_f32_e32 v9, v9, v13
	v_mul_f32_e32 v13, v12, v12
	;; [unrolled: 1-line block ×3, first 2 shown]
	v_fma_mix_f32 v13, v13, s22, v14 op_sel_hi:[0,0,1]
	v_mul_f32_e32 v13, 0x3f4c422a, v13
	v_cmp_nlt_f32_e64 s[20:21], |v13|, s23
	;;#ASMSTART
	v_pk_mul_f32 v[8:9], v[8:9], v[26:27]
	;;#ASMEND
                                        ; implicit-def: $vgpr23
	s_and_saveexec_b64 s[28:29], s[20:21]
	s_xor_b64 s[20:21], exec, s[28:29]
	s_cbranch_execz .LBB584_21
; %bb.20:                               ;   in Loop: Header=BB584_3 Depth=1
	v_add_f32_e64 v23, |v13|, |v13|
	v_mul_f32_e32 v24, 0x3fb8aa3b, v23
	v_rndne_f32_e32 v25, v24
	v_sub_f32_e32 v26, v24, v25
	v_fma_f32 v24, v23, s24, -v24
	v_fmac_f32_e32 v24, 0x32a5705f, v23
	v_add_f32_e32 v24, v26, v24
	v_cvt_i32_f32_e32 v25, v25
	v_exp_f32_e32 v24, v24
	v_cmp_ngt_f32_e32 vcc, s25, v23
	v_ldexp_f32 v24, v24, v25
	s_nop 0
	v_cndmask_b32_e32 v24, 0, v24, vcc
	v_cmp_nlt_f32_e32 vcc, s26, v23
	s_nop 1
	v_cndmask_b32_e32 v23, v21, v24, vcc
	v_add_f32_e32 v23, 1.0, v23
	v_rcp_f32_e32 v23, v23
	s_nop 0
	v_fma_f32 v23, v23, -2.0, 1.0
.LBB584_21:                             ;   in Loop: Header=BB584_3 Depth=1
	s_andn2_saveexec_b64 s[20:21], s[20:21]
; %bb.22:                               ;   in Loop: Header=BB584_3 Depth=1
	v_mul_f32_e32 v23, v13, v13
	v_fmamk_f32 v24, v23, 0xbbbac73d, v20
	v_fmaak_f32 v24, v23, v24, 0xbd5c1c4e
	v_fmaak_f32 v24, v23, v24, 0x3e088382
	;; [unrolled: 1-line block ×3, first 2 shown]
	v_mul_f32_e64 v24, |v13|, v24
	v_fma_f32 v23, v23, v24, |v13|
; %bb.23:                               ;   in Loop: Header=BB584_3 Depth=1
	s_or_b64 exec, exec, s[20:21]
	v_cvt_f32_f16_sdwa v24, v14 dst_sel:DWORD dst_unused:UNUSED_PAD src0_sel:WORD_1
	v_mul_f32_e32 v25, v24, v24
	v_mul_f32_e32 v25, v25, v24
	v_fma_mix_f32 v14, v25, s22, v14 op_sel:[0,0,1] op_sel_hi:[0,0,1]
	v_mul_f32_e32 v14, 0x3f4c422a, v14
	v_cmp_nlt_f32_e64 s[20:21], |v14|, s23
                                        ; implicit-def: $vgpr25
	s_and_saveexec_b64 s[28:29], s[20:21]
	s_xor_b64 s[20:21], exec, s[28:29]
	s_cbranch_execz .LBB584_25
; %bb.24:                               ;   in Loop: Header=BB584_3 Depth=1
	v_add_f32_e64 v25, |v14|, |v14|
	v_mul_f32_e32 v26, 0x3fb8aa3b, v25
	v_rndne_f32_e32 v27, v26
	v_sub_f32_e32 v28, v26, v27
	v_fma_f32 v26, v25, s24, -v26
	v_fmac_f32_e32 v26, 0x32a5705f, v25
	v_add_f32_e32 v26, v28, v26
	v_cvt_i32_f32_e32 v27, v27
	v_exp_f32_e32 v26, v26
	v_cmp_ngt_f32_e32 vcc, s25, v25
	v_ldexp_f32 v26, v26, v27
	s_nop 0
	v_cndmask_b32_e32 v26, 0, v26, vcc
	v_cmp_nlt_f32_e32 vcc, s26, v25
	s_nop 1
	v_cndmask_b32_e32 v25, v21, v26, vcc
	v_add_f32_e32 v25, 1.0, v25
	v_rcp_f32_e32 v25, v25
	s_nop 0
	v_fma_f32 v25, v25, -2.0, 1.0
.LBB584_25:                             ;   in Loop: Header=BB584_3 Depth=1
	s_andn2_saveexec_b64 s[20:21], s[20:21]
; %bb.26:                               ;   in Loop: Header=BB584_3 Depth=1
	v_mul_f32_e32 v25, v14, v14
	v_fmamk_f32 v26, v25, 0xbbbac73d, v20
	v_fmaak_f32 v26, v25, v26, 0xbd5c1c4e
	v_fmaak_f32 v26, v25, v26, 0x3e088382
	;; [unrolled: 1-line block ×3, first 2 shown]
	v_mul_f32_e64 v26, |v14|, v26
	v_fma_f32 v25, v25, v26, |v14|
; %bb.27:                               ;   in Loop: Header=BB584_3 Depth=1
	s_or_b64 exec, exec, s[20:21]
	v_cvt_f32_f16_sdwa v27, v10 dst_sel:DWORD dst_unused:UNUSED_PAD src0_sel:WORD_1
	v_cvt_f32_f16_e32 v26, v10
	v_cvt_f32_f16_e32 v10, v15
	v_bfi_b32 v13, s27, v23, v13
	v_mul_f32_e32 v12, 0.5, v12
	v_add_f32_e32 v13, 1.0, v13
	v_bfi_b32 v14, s27, v25, v14
	v_mul_f32_e32 v12, v12, v13
	v_mul_f32_e32 v13, 0.5, v24
	v_add_f32_e32 v14, 1.0, v14
	v_mul_f32_e32 v13, v13, v14
	v_mul_f32_e32 v14, v10, v10
	;; [unrolled: 1-line block ×3, first 2 shown]
	v_fma_mix_f32 v14, v14, s22, v15 op_sel_hi:[0,0,1]
	v_mul_f32_e32 v14, 0x3f4c422a, v14
	v_cmp_nlt_f32_e64 s[20:21], |v14|, s23
	;;#ASMSTART
	v_pk_mul_f32 v[12:13], v[12:13], v[26:27]
	;;#ASMEND
                                        ; implicit-def: $vgpr23
	s_and_saveexec_b64 s[28:29], s[20:21]
	s_xor_b64 s[20:21], exec, s[28:29]
	s_cbranch_execz .LBB584_29
; %bb.28:                               ;   in Loop: Header=BB584_3 Depth=1
	v_add_f32_e64 v23, |v14|, |v14|
	v_mul_f32_e32 v24, 0x3fb8aa3b, v23
	v_rndne_f32_e32 v25, v24
	v_sub_f32_e32 v26, v24, v25
	v_fma_f32 v24, v23, s24, -v24
	v_fmac_f32_e32 v24, 0x32a5705f, v23
	v_add_f32_e32 v24, v26, v24
	v_cvt_i32_f32_e32 v25, v25
	v_exp_f32_e32 v24, v24
	v_cmp_ngt_f32_e32 vcc, s25, v23
	v_ldexp_f32 v24, v24, v25
	s_nop 0
	v_cndmask_b32_e32 v24, 0, v24, vcc
	v_cmp_nlt_f32_e32 vcc, s26, v23
	s_nop 1
	v_cndmask_b32_e32 v23, v21, v24, vcc
	v_add_f32_e32 v23, 1.0, v23
	v_rcp_f32_e32 v23, v23
	s_nop 0
	v_fma_f32 v23, v23, -2.0, 1.0
.LBB584_29:                             ;   in Loop: Header=BB584_3 Depth=1
	s_andn2_saveexec_b64 s[20:21], s[20:21]
; %bb.30:                               ;   in Loop: Header=BB584_3 Depth=1
	v_mul_f32_e32 v23, v14, v14
	v_fmamk_f32 v24, v23, 0xbbbac73d, v20
	v_fmaak_f32 v24, v23, v24, 0xbd5c1c4e
	v_fmaak_f32 v24, v23, v24, 0x3e088382
	;; [unrolled: 1-line block ×3, first 2 shown]
	v_mul_f32_e64 v24, |v14|, v24
	v_fma_f32 v23, v23, v24, |v14|
; %bb.31:                               ;   in Loop: Header=BB584_3 Depth=1
	s_or_b64 exec, exec, s[20:21]
	v_cvt_f32_f16_sdwa v24, v15 dst_sel:DWORD dst_unused:UNUSED_PAD src0_sel:WORD_1
	v_mul_f32_e32 v25, v24, v24
	v_mul_f32_e32 v25, v25, v24
	v_fma_mix_f32 v15, v25, s22, v15 op_sel:[0,0,1] op_sel_hi:[0,0,1]
	v_mul_f32_e32 v15, 0x3f4c422a, v15
	v_cmp_nlt_f32_e64 s[20:21], |v15|, s23
                                        ; implicit-def: $vgpr25
	s_and_saveexec_b64 s[28:29], s[20:21]
	s_xor_b64 s[20:21], exec, s[28:29]
	s_cbranch_execz .LBB584_33
; %bb.32:                               ;   in Loop: Header=BB584_3 Depth=1
	v_add_f32_e64 v25, |v15|, |v15|
	v_mul_f32_e32 v26, 0x3fb8aa3b, v25
	v_rndne_f32_e32 v27, v26
	v_sub_f32_e32 v28, v26, v27
	v_fma_f32 v26, v25, s24, -v26
	v_fmac_f32_e32 v26, 0x32a5705f, v25
	v_add_f32_e32 v26, v28, v26
	v_cvt_i32_f32_e32 v27, v27
	v_exp_f32_e32 v26, v26
	v_cmp_ngt_f32_e32 vcc, s25, v25
	v_ldexp_f32 v26, v26, v27
	s_nop 0
	v_cndmask_b32_e32 v26, 0, v26, vcc
	v_cmp_nlt_f32_e32 vcc, s26, v25
	s_nop 1
	v_cndmask_b32_e32 v25, v21, v26, vcc
	v_add_f32_e32 v25, 1.0, v25
	v_rcp_f32_e32 v25, v25
	s_nop 0
	v_fma_f32 v25, v25, -2.0, 1.0
.LBB584_33:                             ;   in Loop: Header=BB584_3 Depth=1
	s_andn2_saveexec_b64 s[20:21], s[20:21]
; %bb.34:                               ;   in Loop: Header=BB584_3 Depth=1
	v_mul_f32_e32 v25, v15, v15
	v_fmamk_f32 v26, v25, 0xbbbac73d, v20
	v_fmaak_f32 v26, v25, v26, 0xbd5c1c4e
	v_fmaak_f32 v26, v25, v26, 0x3e088382
	;; [unrolled: 1-line block ×3, first 2 shown]
	v_mul_f32_e64 v26, |v15|, v26
	v_fma_f32 v25, v25, v26, |v15|
; %bb.35:                               ;   in Loop: Header=BB584_3 Depth=1
	s_or_b64 exec, exec, s[20:21]
	v_bfi_b32 v14, s27, v23, v14
	v_mul_f32_e32 v10, 0.5, v10
	v_add_f32_e32 v14, 1.0, v14
	v_mul_f32_e32 v10, v10, v14
	v_cvt_f32_f16_e32 v14, v4
	v_bfi_b32 v15, s27, v25, v15
	v_cvt_f32_f16_sdwa v27, v11 dst_sel:DWORD dst_unused:UNUSED_PAD src0_sel:WORD_1
	v_cvt_f32_f16_e32 v26, v11
	v_mul_f32_e32 v11, 0.5, v24
	v_add_f32_e32 v15, 1.0, v15
	v_mul_f32_e32 v11, v11, v15
	v_mul_f32_e32 v15, v14, v14
	;; [unrolled: 1-line block ×3, first 2 shown]
	v_fma_mix_f32 v15, v15, s22, v4 op_sel_hi:[0,0,1]
	v_mul_f32_e32 v15, 0x3f4c422a, v15
	v_cmp_nlt_f32_e64 s[20:21], |v15|, s23
	;;#ASMSTART
	v_pk_mul_f32 v[10:11], v[10:11], v[26:27]
	;;#ASMEND
                                        ; implicit-def: $vgpr23
	s_and_saveexec_b64 s[28:29], s[20:21]
	s_xor_b64 s[20:21], exec, s[28:29]
	s_cbranch_execz .LBB584_37
; %bb.36:                               ;   in Loop: Header=BB584_3 Depth=1
	v_add_f32_e64 v23, |v15|, |v15|
	v_mul_f32_e32 v24, 0x3fb8aa3b, v23
	v_rndne_f32_e32 v25, v24
	v_sub_f32_e32 v26, v24, v25
	v_fma_f32 v24, v23, s24, -v24
	v_fmac_f32_e32 v24, 0x32a5705f, v23
	v_add_f32_e32 v24, v26, v24
	v_cvt_i32_f32_e32 v25, v25
	v_exp_f32_e32 v24, v24
	v_cmp_ngt_f32_e32 vcc, s25, v23
	v_ldexp_f32 v24, v24, v25
	s_nop 0
	v_cndmask_b32_e32 v24, 0, v24, vcc
	v_cmp_nlt_f32_e32 vcc, s26, v23
	s_nop 1
	v_cndmask_b32_e32 v23, v21, v24, vcc
	v_add_f32_e32 v23, 1.0, v23
	v_rcp_f32_e32 v23, v23
	s_nop 0
	v_fma_f32 v23, v23, -2.0, 1.0
.LBB584_37:                             ;   in Loop: Header=BB584_3 Depth=1
	s_andn2_saveexec_b64 s[20:21], s[20:21]
; %bb.38:                               ;   in Loop: Header=BB584_3 Depth=1
	v_mul_f32_e32 v23, v15, v15
	v_fmamk_f32 v24, v23, 0xbbbac73d, v20
	v_fmaak_f32 v24, v23, v24, 0xbd5c1c4e
	v_fmaak_f32 v24, v23, v24, 0x3e088382
	v_fmaak_f32 v24, v23, v24, 0xbeaaaa99
	v_mul_f32_e64 v24, |v15|, v24
	v_fma_f32 v23, v23, v24, |v15|
; %bb.39:                               ;   in Loop: Header=BB584_3 Depth=1
	s_or_b64 exec, exec, s[20:21]
	v_cvt_f32_f16_sdwa v24, v4 dst_sel:DWORD dst_unused:UNUSED_PAD src0_sel:WORD_1
	v_mul_f32_e32 v25, v24, v24
	v_mul_f32_e32 v25, v25, v24
	v_fma_mix_f32 v4, v25, s22, v4 op_sel:[0,0,1] op_sel_hi:[0,0,1]
	v_mul_f32_e32 v4, 0x3f4c422a, v4
	v_cmp_nlt_f32_e64 s[20:21], |v4|, s23
                                        ; implicit-def: $vgpr25
	s_and_saveexec_b64 s[28:29], s[20:21]
	s_xor_b64 s[20:21], exec, s[28:29]
	s_cbranch_execz .LBB584_41
; %bb.40:                               ;   in Loop: Header=BB584_3 Depth=1
	v_add_f32_e64 v25, |v4|, |v4|
	v_mul_f32_e32 v26, 0x3fb8aa3b, v25
	v_rndne_f32_e32 v27, v26
	v_sub_f32_e32 v28, v26, v27
	v_fma_f32 v26, v25, s24, -v26
	v_fmac_f32_e32 v26, 0x32a5705f, v25
	v_add_f32_e32 v26, v28, v26
	v_cvt_i32_f32_e32 v27, v27
	v_exp_f32_e32 v26, v26
	v_cmp_ngt_f32_e32 vcc, s25, v25
	v_ldexp_f32 v26, v26, v27
	s_nop 0
	v_cndmask_b32_e32 v26, 0, v26, vcc
	v_cmp_nlt_f32_e32 vcc, s26, v25
	s_nop 1
	v_cndmask_b32_e32 v25, v21, v26, vcc
	v_add_f32_e32 v25, 1.0, v25
	v_rcp_f32_e32 v25, v25
	s_nop 0
	v_fma_f32 v25, v25, -2.0, 1.0
.LBB584_41:                             ;   in Loop: Header=BB584_3 Depth=1
	s_andn2_saveexec_b64 s[20:21], s[20:21]
; %bb.42:                               ;   in Loop: Header=BB584_3 Depth=1
	v_mul_f32_e32 v25, v4, v4
	v_fmamk_f32 v26, v25, 0xbbbac73d, v20
	v_fmaak_f32 v26, v25, v26, 0xbd5c1c4e
	v_fmaak_f32 v26, v25, v26, 0x3e088382
	;; [unrolled: 1-line block ×3, first 2 shown]
	v_mul_f32_e64 v26, |v4|, v26
	v_fma_f32 v25, v25, v26, |v4|
; %bb.43:                               ;   in Loop: Header=BB584_3 Depth=1
	s_or_b64 exec, exec, s[20:21]
	s_waitcnt vmcnt(0)
	v_cvt_f32_f16_sdwa v27, v0 dst_sel:DWORD dst_unused:UNUSED_PAD src0_sel:WORD_1
	v_cvt_f32_f16_e32 v26, v0
	v_cvt_f32_f16_e32 v0, v5
	v_bfi_b32 v15, s27, v23, v15
	v_mul_f32_e32 v14, 0.5, v14
	v_add_f32_e32 v15, 1.0, v15
	v_bfi_b32 v4, s27, v25, v4
	v_mul_f32_e32 v14, v14, v15
	v_mul_f32_e32 v15, 0.5, v24
	v_add_f32_e32 v4, 1.0, v4
	v_mul_f32_e32 v15, v15, v4
	v_mul_f32_e32 v4, v0, v0
	;; [unrolled: 1-line block ×3, first 2 shown]
	v_fma_mix_f32 v4, v4, s22, v5 op_sel_hi:[0,0,1]
	v_mul_f32_e32 v4, 0x3f4c422a, v4
	v_cmp_nlt_f32_e64 s[20:21], |v4|, s23
	;;#ASMSTART
	v_pk_mul_f32 v[14:15], v[14:15], v[26:27]
	;;#ASMEND
                                        ; implicit-def: $vgpr23
	s_and_saveexec_b64 s[28:29], s[20:21]
	s_xor_b64 s[20:21], exec, s[28:29]
	s_cbranch_execz .LBB584_45
; %bb.44:                               ;   in Loop: Header=BB584_3 Depth=1
	v_add_f32_e64 v23, |v4|, |v4|
	v_mul_f32_e32 v24, 0x3fb8aa3b, v23
	v_rndne_f32_e32 v25, v24
	v_sub_f32_e32 v26, v24, v25
	v_fma_f32 v24, v23, s24, -v24
	v_fmac_f32_e32 v24, 0x32a5705f, v23
	v_add_f32_e32 v24, v26, v24
	v_cvt_i32_f32_e32 v25, v25
	v_exp_f32_e32 v24, v24
	v_cmp_ngt_f32_e32 vcc, s25, v23
	v_ldexp_f32 v24, v24, v25
	s_nop 0
	v_cndmask_b32_e32 v24, 0, v24, vcc
	v_cmp_nlt_f32_e32 vcc, s26, v23
	s_nop 1
	v_cndmask_b32_e32 v23, v21, v24, vcc
	v_add_f32_e32 v23, 1.0, v23
	v_rcp_f32_e32 v23, v23
	s_nop 0
	v_fma_f32 v23, v23, -2.0, 1.0
.LBB584_45:                             ;   in Loop: Header=BB584_3 Depth=1
	s_andn2_saveexec_b64 s[20:21], s[20:21]
; %bb.46:                               ;   in Loop: Header=BB584_3 Depth=1
	v_mul_f32_e32 v23, v4, v4
	v_fmamk_f32 v24, v23, 0xbbbac73d, v20
	v_fmaak_f32 v24, v23, v24, 0xbd5c1c4e
	v_fmaak_f32 v24, v23, v24, 0x3e088382
	;; [unrolled: 1-line block ×3, first 2 shown]
	v_mul_f32_e64 v24, |v4|, v24
	v_fma_f32 v23, v23, v24, |v4|
; %bb.47:                               ;   in Loop: Header=BB584_3 Depth=1
	s_or_b64 exec, exec, s[20:21]
	v_cvt_f32_f16_sdwa v24, v5 dst_sel:DWORD dst_unused:UNUSED_PAD src0_sel:WORD_1
	v_mul_f32_e32 v25, v24, v24
	v_mul_f32_e32 v25, v25, v24
	v_fma_mix_f32 v5, v25, s22, v5 op_sel:[0,0,1] op_sel_hi:[0,0,1]
	v_mul_f32_e32 v5, 0x3f4c422a, v5
	v_cmp_nlt_f32_e64 s[20:21], |v5|, s23
                                        ; implicit-def: $vgpr25
	s_and_saveexec_b64 s[28:29], s[20:21]
	s_xor_b64 s[20:21], exec, s[28:29]
	s_cbranch_execz .LBB584_49
; %bb.48:                               ;   in Loop: Header=BB584_3 Depth=1
	v_add_f32_e64 v25, |v5|, |v5|
	v_mul_f32_e32 v26, 0x3fb8aa3b, v25
	v_rndne_f32_e32 v27, v26
	v_sub_f32_e32 v28, v26, v27
	v_fma_f32 v26, v25, s24, -v26
	v_fmac_f32_e32 v26, 0x32a5705f, v25
	v_add_f32_e32 v26, v28, v26
	v_cvt_i32_f32_e32 v27, v27
	v_exp_f32_e32 v26, v26
	v_cmp_ngt_f32_e32 vcc, s25, v25
	v_ldexp_f32 v26, v26, v27
	s_nop 0
	v_cndmask_b32_e32 v26, 0, v26, vcc
	v_cmp_nlt_f32_e32 vcc, s26, v25
	s_nop 1
	v_cndmask_b32_e32 v25, v21, v26, vcc
	v_add_f32_e32 v25, 1.0, v25
	v_rcp_f32_e32 v25, v25
	s_nop 0
	v_fma_f32 v25, v25, -2.0, 1.0
.LBB584_49:                             ;   in Loop: Header=BB584_3 Depth=1
	s_andn2_saveexec_b64 s[20:21], s[20:21]
; %bb.50:                               ;   in Loop: Header=BB584_3 Depth=1
	v_mul_f32_e32 v25, v5, v5
	v_fmamk_f32 v26, v25, 0xbbbac73d, v20
	v_fmaak_f32 v26, v25, v26, 0xbd5c1c4e
	v_fmaak_f32 v26, v25, v26, 0x3e088382
	;; [unrolled: 1-line block ×3, first 2 shown]
	v_mul_f32_e64 v26, |v5|, v26
	v_fma_f32 v25, v25, v26, |v5|
; %bb.51:                               ;   in Loop: Header=BB584_3 Depth=1
	s_or_b64 exec, exec, s[20:21]
	v_bfi_b32 v4, s27, v23, v4
	v_mul_f32_e32 v0, 0.5, v0
	v_add_f32_e32 v4, 1.0, v4
	v_mul_f32_e32 v0, v0, v4
	v_cvt_f32_f16_e32 v4, v6
	v_bfi_b32 v5, s27, v25, v5
	v_cvt_f32_f16_sdwa v27, v1 dst_sel:DWORD dst_unused:UNUSED_PAD src0_sel:WORD_1
	v_cvt_f32_f16_e32 v26, v1
	v_mul_f32_e32 v1, 0.5, v24
	v_add_f32_e32 v5, 1.0, v5
	v_mul_f32_e32 v1, v1, v5
	v_mul_f32_e32 v5, v4, v4
	;; [unrolled: 1-line block ×3, first 2 shown]
	v_fma_mix_f32 v5, v5, s22, v6 op_sel_hi:[0,0,1]
	v_mul_f32_e32 v5, 0x3f4c422a, v5
	v_cmp_nlt_f32_e64 s[20:21], |v5|, s23
	;;#ASMSTART
	v_pk_mul_f32 v[0:1], v[0:1], v[26:27]
	;;#ASMEND
                                        ; implicit-def: $vgpr23
	s_and_saveexec_b64 s[28:29], s[20:21]
	s_xor_b64 s[20:21], exec, s[28:29]
	s_cbranch_execz .LBB584_53
; %bb.52:                               ;   in Loop: Header=BB584_3 Depth=1
	v_add_f32_e64 v23, |v5|, |v5|
	v_mul_f32_e32 v24, 0x3fb8aa3b, v23
	v_rndne_f32_e32 v25, v24
	v_sub_f32_e32 v26, v24, v25
	v_fma_f32 v24, v23, s24, -v24
	v_fmac_f32_e32 v24, 0x32a5705f, v23
	v_add_f32_e32 v24, v26, v24
	v_cvt_i32_f32_e32 v25, v25
	v_exp_f32_e32 v24, v24
	v_cmp_ngt_f32_e32 vcc, s25, v23
	v_ldexp_f32 v24, v24, v25
	s_nop 0
	v_cndmask_b32_e32 v24, 0, v24, vcc
	v_cmp_nlt_f32_e32 vcc, s26, v23
	s_nop 1
	v_cndmask_b32_e32 v23, v21, v24, vcc
	v_add_f32_e32 v23, 1.0, v23
	v_rcp_f32_e32 v23, v23
	s_nop 0
	v_fma_f32 v23, v23, -2.0, 1.0
.LBB584_53:                             ;   in Loop: Header=BB584_3 Depth=1
	s_andn2_saveexec_b64 s[20:21], s[20:21]
; %bb.54:                               ;   in Loop: Header=BB584_3 Depth=1
	v_mul_f32_e32 v23, v5, v5
	v_fmamk_f32 v24, v23, 0xbbbac73d, v20
	v_fmaak_f32 v24, v23, v24, 0xbd5c1c4e
	v_fmaak_f32 v24, v23, v24, 0x3e088382
	;; [unrolled: 1-line block ×3, first 2 shown]
	v_mul_f32_e64 v24, |v5|, v24
	v_fma_f32 v23, v23, v24, |v5|
; %bb.55:                               ;   in Loop: Header=BB584_3 Depth=1
	s_or_b64 exec, exec, s[20:21]
	v_cvt_f32_f16_sdwa v24, v6 dst_sel:DWORD dst_unused:UNUSED_PAD src0_sel:WORD_1
	v_mul_f32_e32 v25, v24, v24
	v_mul_f32_e32 v25, v25, v24
	v_fma_mix_f32 v6, v25, s22, v6 op_sel:[0,0,1] op_sel_hi:[0,0,1]
	v_mul_f32_e32 v6, 0x3f4c422a, v6
	v_cmp_nlt_f32_e64 s[20:21], |v6|, s23
                                        ; implicit-def: $vgpr25
	s_and_saveexec_b64 s[28:29], s[20:21]
	s_xor_b64 s[20:21], exec, s[28:29]
	s_cbranch_execz .LBB584_57
; %bb.56:                               ;   in Loop: Header=BB584_3 Depth=1
	v_add_f32_e64 v25, |v6|, |v6|
	v_mul_f32_e32 v26, 0x3fb8aa3b, v25
	v_rndne_f32_e32 v27, v26
	v_sub_f32_e32 v28, v26, v27
	v_fma_f32 v26, v25, s24, -v26
	v_fmac_f32_e32 v26, 0x32a5705f, v25
	v_add_f32_e32 v26, v28, v26
	v_cvt_i32_f32_e32 v27, v27
	v_exp_f32_e32 v26, v26
	v_cmp_ngt_f32_e32 vcc, s25, v25
	v_ldexp_f32 v26, v26, v27
	s_nop 0
	v_cndmask_b32_e32 v26, 0, v26, vcc
	v_cmp_nlt_f32_e32 vcc, s26, v25
	s_nop 1
	v_cndmask_b32_e32 v25, v21, v26, vcc
	v_add_f32_e32 v25, 1.0, v25
	v_rcp_f32_e32 v25, v25
	s_nop 0
	v_fma_f32 v25, v25, -2.0, 1.0
.LBB584_57:                             ;   in Loop: Header=BB584_3 Depth=1
	s_andn2_saveexec_b64 s[20:21], s[20:21]
; %bb.58:                               ;   in Loop: Header=BB584_3 Depth=1
	v_mul_f32_e32 v25, v6, v6
	v_fmamk_f32 v26, v25, 0xbbbac73d, v20
	v_fmaak_f32 v26, v25, v26, 0xbd5c1c4e
	v_fmaak_f32 v26, v25, v26, 0x3e088382
	;; [unrolled: 1-line block ×3, first 2 shown]
	v_mul_f32_e64 v26, |v6|, v26
	v_fma_f32 v25, v25, v26, |v6|
; %bb.59:                               ;   in Loop: Header=BB584_3 Depth=1
	s_or_b64 exec, exec, s[20:21]
	v_cvt_f32_f16_sdwa v27, v2 dst_sel:DWORD dst_unused:UNUSED_PAD src0_sel:WORD_1
	v_cvt_f32_f16_e32 v26, v2
	v_cvt_f32_f16_e32 v2, v7
	v_bfi_b32 v5, s27, v23, v5
	v_mul_f32_e32 v4, 0.5, v4
	v_add_f32_e32 v5, 1.0, v5
	v_bfi_b32 v6, s27, v25, v6
	v_mul_f32_e32 v4, v4, v5
	v_mul_f32_e32 v5, 0.5, v24
	v_add_f32_e32 v6, 1.0, v6
	v_mul_f32_e32 v5, v5, v6
	v_mul_f32_e32 v6, v2, v2
	;; [unrolled: 1-line block ×3, first 2 shown]
	v_fma_mix_f32 v6, v6, s22, v7 op_sel_hi:[0,0,1]
	v_mul_f32_e32 v6, 0x3f4c422a, v6
	v_cmp_nlt_f32_e64 s[20:21], |v6|, s23
	;;#ASMSTART
	v_pk_mul_f32 v[4:5], v[4:5], v[26:27]
	;;#ASMEND
                                        ; implicit-def: $vgpr23
	s_and_saveexec_b64 s[28:29], s[20:21]
	s_xor_b64 s[20:21], exec, s[28:29]
	s_cbranch_execz .LBB584_61
; %bb.60:                               ;   in Loop: Header=BB584_3 Depth=1
	v_add_f32_e64 v23, |v6|, |v6|
	v_mul_f32_e32 v24, 0x3fb8aa3b, v23
	v_rndne_f32_e32 v25, v24
	v_sub_f32_e32 v26, v24, v25
	v_fma_f32 v24, v23, s24, -v24
	v_fmac_f32_e32 v24, 0x32a5705f, v23
	v_add_f32_e32 v24, v26, v24
	v_cvt_i32_f32_e32 v25, v25
	v_exp_f32_e32 v24, v24
	v_cmp_ngt_f32_e32 vcc, s25, v23
	v_ldexp_f32 v24, v24, v25
	s_nop 0
	v_cndmask_b32_e32 v24, 0, v24, vcc
	v_cmp_nlt_f32_e32 vcc, s26, v23
	s_nop 1
	v_cndmask_b32_e32 v23, v21, v24, vcc
	v_add_f32_e32 v23, 1.0, v23
	v_rcp_f32_e32 v23, v23
	s_nop 0
	v_fma_f32 v23, v23, -2.0, 1.0
.LBB584_61:                             ;   in Loop: Header=BB584_3 Depth=1
	s_andn2_saveexec_b64 s[20:21], s[20:21]
; %bb.62:                               ;   in Loop: Header=BB584_3 Depth=1
	v_mul_f32_e32 v23, v6, v6
	v_fmamk_f32 v24, v23, 0xbbbac73d, v20
	v_fmaak_f32 v24, v23, v24, 0xbd5c1c4e
	v_fmaak_f32 v24, v23, v24, 0x3e088382
	;; [unrolled: 1-line block ×3, first 2 shown]
	v_mul_f32_e64 v24, |v6|, v24
	v_fma_f32 v23, v23, v24, |v6|
; %bb.63:                               ;   in Loop: Header=BB584_3 Depth=1
	s_or_b64 exec, exec, s[20:21]
	v_cvt_f32_f16_sdwa v24, v7 dst_sel:DWORD dst_unused:UNUSED_PAD src0_sel:WORD_1
	v_mul_f32_e32 v25, v24, v24
	v_mul_f32_e32 v25, v25, v24
	v_fma_mix_f32 v7, v25, s22, v7 op_sel:[0,0,1] op_sel_hi:[0,0,1]
	v_mul_f32_e32 v7, 0x3f4c422a, v7
	v_cmp_nlt_f32_e64 s[20:21], |v7|, s23
                                        ; implicit-def: $vgpr25
	s_and_saveexec_b64 s[28:29], s[20:21]
	s_xor_b64 s[20:21], exec, s[28:29]
	s_cbranch_execz .LBB584_65
; %bb.64:                               ;   in Loop: Header=BB584_3 Depth=1
	v_add_f32_e64 v25, |v7|, |v7|
	v_mul_f32_e32 v26, 0x3fb8aa3b, v25
	v_rndne_f32_e32 v27, v26
	v_sub_f32_e32 v28, v26, v27
	v_fma_f32 v26, v25, s24, -v26
	v_fmac_f32_e32 v26, 0x32a5705f, v25
	v_add_f32_e32 v26, v28, v26
	v_cvt_i32_f32_e32 v27, v27
	v_exp_f32_e32 v26, v26
	v_cmp_ngt_f32_e32 vcc, s25, v25
	v_ldexp_f32 v26, v26, v27
	s_nop 0
	v_cndmask_b32_e32 v26, 0, v26, vcc
	v_cmp_nlt_f32_e32 vcc, s26, v25
	s_nop 1
	v_cndmask_b32_e32 v25, v21, v26, vcc
	v_add_f32_e32 v25, 1.0, v25
	v_rcp_f32_e32 v25, v25
	s_nop 0
	v_fma_f32 v25, v25, -2.0, 1.0
.LBB584_65:                             ;   in Loop: Header=BB584_3 Depth=1
	s_andn2_saveexec_b64 s[20:21], s[20:21]
	s_cbranch_execz .LBB584_2
; %bb.66:                               ;   in Loop: Header=BB584_3 Depth=1
	v_mul_f32_e32 v25, v7, v7
	v_fmamk_f32 v26, v25, 0xbbbac73d, v20
	v_fmaak_f32 v26, v25, v26, 0xbd5c1c4e
	v_fmaak_f32 v26, v25, v26, 0x3e088382
	;; [unrolled: 1-line block ×3, first 2 shown]
	v_mul_f32_e64 v26, |v7|, v26
	v_fma_f32 v25, v25, v26, |v7|
	s_branch .LBB584_2
.LBB584_67:
	s_endpgm
	.section	.rodata,"a",@progbits
	.p2align	6, 0x0
	.amdhsa_kernel _ZN5aiter18act_and_mul_kernelIDF16_DF16_TnPFfRKT_EXadL_ZNS_16gelu_tanh_kernelIDF16_EEfS3_EELi16ELb0ELi3EEEvPT0_PS2_if
		.amdhsa_group_segment_fixed_size 0
		.amdhsa_private_segment_fixed_size 0
		.amdhsa_kernarg_size 280
		.amdhsa_user_sgpr_count 2
		.amdhsa_user_sgpr_dispatch_ptr 0
		.amdhsa_user_sgpr_queue_ptr 0
		.amdhsa_user_sgpr_kernarg_segment_ptr 1
		.amdhsa_user_sgpr_dispatch_id 0
		.amdhsa_user_sgpr_kernarg_preload_length 0
		.amdhsa_user_sgpr_kernarg_preload_offset 0
		.amdhsa_user_sgpr_private_segment_size 0
		.amdhsa_uses_dynamic_stack 0
		.amdhsa_enable_private_segment 0
		.amdhsa_system_sgpr_workgroup_id_x 1
		.amdhsa_system_sgpr_workgroup_id_y 0
		.amdhsa_system_sgpr_workgroup_id_z 0
		.amdhsa_system_sgpr_workgroup_info 0
		.amdhsa_system_vgpr_workitem_id 0
		.amdhsa_next_free_vgpr 29
		.amdhsa_next_free_sgpr 30
		.amdhsa_accum_offset 32
		.amdhsa_reserve_vcc 1
		.amdhsa_float_round_mode_32 0
		.amdhsa_float_round_mode_16_64 0
		.amdhsa_float_denorm_mode_32 3
		.amdhsa_float_denorm_mode_16_64 3
		.amdhsa_dx10_clamp 1
		.amdhsa_ieee_mode 1
		.amdhsa_fp16_overflow 0
		.amdhsa_tg_split 0
		.amdhsa_exception_fp_ieee_invalid_op 0
		.amdhsa_exception_fp_denorm_src 0
		.amdhsa_exception_fp_ieee_div_zero 0
		.amdhsa_exception_fp_ieee_overflow 0
		.amdhsa_exception_fp_ieee_underflow 0
		.amdhsa_exception_fp_ieee_inexact 0
		.amdhsa_exception_int_div_zero 0
	.end_amdhsa_kernel
	.section	.text._ZN5aiter18act_and_mul_kernelIDF16_DF16_TnPFfRKT_EXadL_ZNS_16gelu_tanh_kernelIDF16_EEfS3_EELi16ELb0ELi3EEEvPT0_PS2_if,"axG",@progbits,_ZN5aiter18act_and_mul_kernelIDF16_DF16_TnPFfRKT_EXadL_ZNS_16gelu_tanh_kernelIDF16_EEfS3_EELi16ELb0ELi3EEEvPT0_PS2_if,comdat
.Lfunc_end584:
	.size	_ZN5aiter18act_and_mul_kernelIDF16_DF16_TnPFfRKT_EXadL_ZNS_16gelu_tanh_kernelIDF16_EEfS3_EELi16ELb0ELi3EEEvPT0_PS2_if, .Lfunc_end584-_ZN5aiter18act_and_mul_kernelIDF16_DF16_TnPFfRKT_EXadL_ZNS_16gelu_tanh_kernelIDF16_EEfS3_EELi16ELb0ELi3EEEvPT0_PS2_if
                                        ; -- End function
	.section	.AMDGPU.csdata,"",@progbits
; Kernel info:
; codeLenInByte = 4408
; NumSgprs: 36
; NumVgprs: 29
; NumAgprs: 0
; TotalNumVgprs: 29
; ScratchSize: 0
; MemoryBound: 0
; FloatMode: 240
; IeeeMode: 1
; LDSByteSize: 0 bytes/workgroup (compile time only)
; SGPRBlocks: 4
; VGPRBlocks: 3
; NumSGPRsForWavesPerEU: 36
; NumVGPRsForWavesPerEU: 29
; AccumOffset: 32
; Occupancy: 8
; WaveLimiterHint : 0
; COMPUTE_PGM_RSRC2:SCRATCH_EN: 0
; COMPUTE_PGM_RSRC2:USER_SGPR: 2
; COMPUTE_PGM_RSRC2:TRAP_HANDLER: 0
; COMPUTE_PGM_RSRC2:TGID_X_EN: 1
; COMPUTE_PGM_RSRC2:TGID_Y_EN: 0
; COMPUTE_PGM_RSRC2:TGID_Z_EN: 0
; COMPUTE_PGM_RSRC2:TIDIG_COMP_CNT: 0
; COMPUTE_PGM_RSRC3_GFX90A:ACCUM_OFFSET: 7
; COMPUTE_PGM_RSRC3_GFX90A:TG_SPLIT: 0
	.section	.text._ZN5aiter18act_and_mul_kernelIDF16_DF16_TnPFfRKT_EXadL_ZNS_16gelu_tanh_kernelIDF16_EEfS3_EELi8ELb0ELi3EEEvPT0_PS2_if,"axG",@progbits,_ZN5aiter18act_and_mul_kernelIDF16_DF16_TnPFfRKT_EXadL_ZNS_16gelu_tanh_kernelIDF16_EEfS3_EELi8ELb0ELi3EEEvPT0_PS2_if,comdat
	.protected	_ZN5aiter18act_and_mul_kernelIDF16_DF16_TnPFfRKT_EXadL_ZNS_16gelu_tanh_kernelIDF16_EEfS3_EELi8ELb0ELi3EEEvPT0_PS2_if ; -- Begin function _ZN5aiter18act_and_mul_kernelIDF16_DF16_TnPFfRKT_EXadL_ZNS_16gelu_tanh_kernelIDF16_EEfS3_EELi8ELb0ELi3EEEvPT0_PS2_if
	.globl	_ZN5aiter18act_and_mul_kernelIDF16_DF16_TnPFfRKT_EXadL_ZNS_16gelu_tanh_kernelIDF16_EEfS3_EELi8ELb0ELi3EEEvPT0_PS2_if
	.p2align	8
	.type	_ZN5aiter18act_and_mul_kernelIDF16_DF16_TnPFfRKT_EXadL_ZNS_16gelu_tanh_kernelIDF16_EEfS3_EELi8ELb0ELi3EEEvPT0_PS2_if,@function
_ZN5aiter18act_and_mul_kernelIDF16_DF16_TnPFfRKT_EXadL_ZNS_16gelu_tanh_kernelIDF16_EEfS3_EELi8ELb0ELi3EEEvPT0_PS2_if: ; @_ZN5aiter18act_and_mul_kernelIDF16_DF16_TnPFfRKT_EXadL_ZNS_16gelu_tanh_kernelIDF16_EEfS3_EELi8ELb0ELi3EEEvPT0_PS2_if
; %bb.0:
	s_load_dword s16, s[0:1], 0x10
	v_lshlrev_b32_e32 v8, 3, v0
	s_waitcnt lgkmcnt(0)
	v_cmp_gt_i32_e32 vcc, s16, v8
	s_and_saveexec_b64 s[4:5], vcc
	s_cbranch_execz .LBB585_35
; %bb.1:
	s_load_dwordx4 s[12:15], s[0:1], 0x0
	s_ashr_i32 s17, s16, 31
	s_mul_hi_u32 s3, s16, s2
	s_mul_i32 s4, s17, s2
	s_add_i32 s3, s3, s4
	s_mul_i32 s2, s16, s2
	s_lshl_b64 s[10:11], s[2:3], 1
	s_lshl_b64 s[2:3], s[2:3], 2
	s_waitcnt lgkmcnt(0)
	s_add_u32 s4, s14, s2
	s_addc_u32 s5, s15, s3
	s_lshl_b64 s[2:3], s[16:17], 1
	s_add_u32 s8, s4, s2
	s_addc_u32 s2, s5, s3
	s_add_i32 s3, s16, 1
	s_lshr_b32 s6, s3, 31
	s_add_i32 s3, s3, s6
	s_lshl_b32 s3, s3, 1
	s_and_b32 s6, s3, -4
	s_and_b32 s5, s5, 0xffff
	s_and_b32 s9, s2, 0xffff
	s_add_u32 s12, s12, s10
	s_addc_u32 s2, s13, s11
	s_and_b32 s13, s2, 0xffff
	s_mov_b32 s7, 0x20000
	s_add_u32 s0, s0, 24
	v_mov_b32_e32 v9, 0
	s_addc_u32 s1, s1, 0
	s_mov_b64 s[2:3], 0
	s_mov_b32 s19, 0
	s_mov_b32 s10, s6
	;; [unrolled: 1-line block ×8, first 2 shown]
	v_mov_b32_e32 v12, 0x3ca908c9
	s_brev_b32 s27, -2
	v_mov_b32_e32 v13, 0x7f800000
	s_mov_b32 s14, s6
	s_mov_b32 s15, s7
                                        ; implicit-def: $vgpr0
                                        ; implicit-def: $vgpr0
	;; [unrolled: 1-line block ×3, first 2 shown]
	s_branch .LBB585_3
.LBB585_2:                              ;   in Loop: Header=BB585_3 Depth=1
	s_or_b64 exec, exec, s[20:21]
	v_bfi_b32 v6, s27, v15, v6
	v_bfi_b32 v7, s27, v17, v7
	v_mul_f32_e32 v2, 0.5, v2
	v_add_f32_e32 v6, 1.0, v6
	v_cvt_f32_f16_sdwa v19, v3 dst_sel:DWORD dst_unused:UNUSED_PAD src0_sel:WORD_1
	v_cvt_f32_f16_e32 v18, v3
	v_mul_f32_e32 v3, 0.5, v16
	v_add_f32_e32 v7, 1.0, v7
	v_mul_f32_e32 v2, v2, v6
	v_mul_f32_e32 v3, v3, v7
	;;#ASMSTART
	v_pk_mul_f32 v[2:3], v[2:3], v[18:19]
	;;#ASMEND
	s_load_dword s18, s[0:1], 0xc
	v_cvt_f16_f32_e32 v6, v10
	v_cvt_f16_f32_e32 v10, v11
	;; [unrolled: 1-line block ×8, first 2 shown]
	s_waitcnt lgkmcnt(0)
	s_and_b32 s18, s18, 0xffff
	s_lshl_b32 s18, s18, 3
	v_lshl_add_u64 v[8:9], s[18:19], 0, v[8:9]
	v_cmp_le_i64_e32 vcc, s[16:17], v[8:9]
	v_pack_b32_f16 v3, v2, v3
	v_pack_b32_f16 v2, v4, v5
	;; [unrolled: 1-line block ×4, first 2 shown]
	s_or_b64 s[2:3], vcc, s[2:3]
	buffer_store_dwordx4 v[0:3], v14, s[12:15], 0 offen
	s_andn2_b64 exec, exec, s[2:3]
	s_cbranch_execz .LBB585_35
.LBB585_3:                              ; =>This Inner Loop Header: Depth=1
	v_lshlrev_b32_e32 v14, 1, v8
	buffer_load_dwordx4 v[4:7], v14, s[4:7], 0 offen sc0 nt
	buffer_load_dwordx4 v[0:3], v14, s[8:11], 0 offen sc0 nt
                                        ; implicit-def: $vgpr15
	s_waitcnt vmcnt(1)
	v_cvt_f32_f16_e32 v10, v4
	v_mul_f32_e32 v11, v10, v10
	v_mul_f32_e32 v11, v11, v10
	v_fma_mix_f32 v11, v11, s22, v4 op_sel_hi:[0,0,1]
	v_mul_f32_e32 v11, 0x3f4c422a, v11
	v_cmp_nlt_f32_e64 s[20:21], |v11|, s23
	s_and_saveexec_b64 s[28:29], s[20:21]
	s_xor_b64 s[20:21], exec, s[28:29]
	s_cbranch_execz .LBB585_5
; %bb.4:                                ;   in Loop: Header=BB585_3 Depth=1
	v_add_f32_e64 v15, |v11|, |v11|
	v_mul_f32_e32 v16, 0x3fb8aa3b, v15
	v_rndne_f32_e32 v17, v16
	v_sub_f32_e32 v18, v16, v17
	v_fma_f32 v16, v15, s24, -v16
	v_fmac_f32_e32 v16, 0x32a5705f, v15
	v_add_f32_e32 v16, v18, v16
	v_cvt_i32_f32_e32 v17, v17
	v_exp_f32_e32 v16, v16
	v_cmp_ngt_f32_e32 vcc, s25, v15
	v_ldexp_f32 v16, v16, v17
	s_nop 0
	v_cndmask_b32_e32 v16, 0, v16, vcc
	v_cmp_nlt_f32_e32 vcc, s26, v15
	s_nop 1
	v_cndmask_b32_e32 v15, v13, v16, vcc
	v_add_f32_e32 v15, 1.0, v15
	v_rcp_f32_e32 v15, v15
	s_nop 0
	v_fma_f32 v15, v15, -2.0, 1.0
.LBB585_5:                              ;   in Loop: Header=BB585_3 Depth=1
	s_andn2_saveexec_b64 s[20:21], s[20:21]
; %bb.6:                                ;   in Loop: Header=BB585_3 Depth=1
	v_mul_f32_e32 v15, v11, v11
	v_fmamk_f32 v16, v15, 0xbbbac73d, v12
	v_fmaak_f32 v16, v15, v16, 0xbd5c1c4e
	v_fmaak_f32 v16, v15, v16, 0x3e088382
	;; [unrolled: 1-line block ×3, first 2 shown]
	v_mul_f32_e64 v16, |v11|, v16
	v_fma_f32 v15, v15, v16, |v11|
; %bb.7:                                ;   in Loop: Header=BB585_3 Depth=1
	s_or_b64 exec, exec, s[20:21]
	v_cvt_f32_f16_sdwa v16, v4 dst_sel:DWORD dst_unused:UNUSED_PAD src0_sel:WORD_1
	v_mul_f32_e32 v17, v16, v16
	v_mul_f32_e32 v17, v17, v16
	v_fma_mix_f32 v4, v17, s22, v4 op_sel:[0,0,1] op_sel_hi:[0,0,1]
	v_mul_f32_e32 v4, 0x3f4c422a, v4
	v_cmp_nlt_f32_e64 s[20:21], |v4|, s23
                                        ; implicit-def: $vgpr17
	s_and_saveexec_b64 s[28:29], s[20:21]
	s_xor_b64 s[20:21], exec, s[28:29]
	s_cbranch_execz .LBB585_9
; %bb.8:                                ;   in Loop: Header=BB585_3 Depth=1
	v_add_f32_e64 v17, |v4|, |v4|
	v_mul_f32_e32 v18, 0x3fb8aa3b, v17
	v_rndne_f32_e32 v19, v18
	v_sub_f32_e32 v20, v18, v19
	v_fma_f32 v18, v17, s24, -v18
	v_fmac_f32_e32 v18, 0x32a5705f, v17
	v_add_f32_e32 v18, v20, v18
	v_cvt_i32_f32_e32 v19, v19
	v_exp_f32_e32 v18, v18
	v_cmp_ngt_f32_e32 vcc, s25, v17
	v_ldexp_f32 v18, v18, v19
	s_nop 0
	v_cndmask_b32_e32 v18, 0, v18, vcc
	v_cmp_nlt_f32_e32 vcc, s26, v17
	s_nop 1
	v_cndmask_b32_e32 v17, v13, v18, vcc
	v_add_f32_e32 v17, 1.0, v17
	v_rcp_f32_e32 v17, v17
	s_nop 0
	v_fma_f32 v17, v17, -2.0, 1.0
.LBB585_9:                              ;   in Loop: Header=BB585_3 Depth=1
	s_andn2_saveexec_b64 s[20:21], s[20:21]
; %bb.10:                               ;   in Loop: Header=BB585_3 Depth=1
	v_mul_f32_e32 v17, v4, v4
	v_fmamk_f32 v18, v17, 0xbbbac73d, v12
	v_fmaak_f32 v18, v17, v18, 0xbd5c1c4e
	v_fmaak_f32 v18, v17, v18, 0x3e088382
	;; [unrolled: 1-line block ×3, first 2 shown]
	v_mul_f32_e64 v18, |v4|, v18
	v_fma_f32 v17, v17, v18, |v4|
; %bb.11:                               ;   in Loop: Header=BB585_3 Depth=1
	s_or_b64 exec, exec, s[20:21]
	s_waitcnt vmcnt(0)
	v_cvt_f32_f16_sdwa v19, v0 dst_sel:DWORD dst_unused:UNUSED_PAD src0_sel:WORD_1
	v_cvt_f32_f16_e32 v18, v0
	v_cvt_f32_f16_e32 v0, v5
	v_bfi_b32 v11, s27, v15, v11
	v_mul_f32_e32 v10, 0.5, v10
	v_add_f32_e32 v11, 1.0, v11
	v_bfi_b32 v4, s27, v17, v4
	v_mul_f32_e32 v10, v10, v11
	v_mul_f32_e32 v11, 0.5, v16
	v_add_f32_e32 v4, 1.0, v4
	v_mul_f32_e32 v11, v11, v4
	v_mul_f32_e32 v4, v0, v0
	;; [unrolled: 1-line block ×3, first 2 shown]
	v_fma_mix_f32 v4, v4, s22, v5 op_sel_hi:[0,0,1]
	v_mul_f32_e32 v4, 0x3f4c422a, v4
	v_cmp_nlt_f32_e64 s[20:21], |v4|, s23
	;;#ASMSTART
	v_pk_mul_f32 v[10:11], v[10:11], v[18:19]
	;;#ASMEND
                                        ; implicit-def: $vgpr15
	s_and_saveexec_b64 s[28:29], s[20:21]
	s_xor_b64 s[20:21], exec, s[28:29]
	s_cbranch_execz .LBB585_13
; %bb.12:                               ;   in Loop: Header=BB585_3 Depth=1
	v_add_f32_e64 v15, |v4|, |v4|
	v_mul_f32_e32 v16, 0x3fb8aa3b, v15
	v_rndne_f32_e32 v17, v16
	v_sub_f32_e32 v18, v16, v17
	v_fma_f32 v16, v15, s24, -v16
	v_fmac_f32_e32 v16, 0x32a5705f, v15
	v_add_f32_e32 v16, v18, v16
	v_cvt_i32_f32_e32 v17, v17
	v_exp_f32_e32 v16, v16
	v_cmp_ngt_f32_e32 vcc, s25, v15
	v_ldexp_f32 v16, v16, v17
	s_nop 0
	v_cndmask_b32_e32 v16, 0, v16, vcc
	v_cmp_nlt_f32_e32 vcc, s26, v15
	s_nop 1
	v_cndmask_b32_e32 v15, v13, v16, vcc
	v_add_f32_e32 v15, 1.0, v15
	v_rcp_f32_e32 v15, v15
	s_nop 0
	v_fma_f32 v15, v15, -2.0, 1.0
.LBB585_13:                             ;   in Loop: Header=BB585_3 Depth=1
	s_andn2_saveexec_b64 s[20:21], s[20:21]
; %bb.14:                               ;   in Loop: Header=BB585_3 Depth=1
	v_mul_f32_e32 v15, v4, v4
	v_fmamk_f32 v16, v15, 0xbbbac73d, v12
	v_fmaak_f32 v16, v15, v16, 0xbd5c1c4e
	v_fmaak_f32 v16, v15, v16, 0x3e088382
	;; [unrolled: 1-line block ×3, first 2 shown]
	v_mul_f32_e64 v16, |v4|, v16
	v_fma_f32 v15, v15, v16, |v4|
; %bb.15:                               ;   in Loop: Header=BB585_3 Depth=1
	s_or_b64 exec, exec, s[20:21]
	v_cvt_f32_f16_sdwa v16, v5 dst_sel:DWORD dst_unused:UNUSED_PAD src0_sel:WORD_1
	v_mul_f32_e32 v17, v16, v16
	v_mul_f32_e32 v17, v17, v16
	v_fma_mix_f32 v5, v17, s22, v5 op_sel:[0,0,1] op_sel_hi:[0,0,1]
	v_mul_f32_e32 v5, 0x3f4c422a, v5
	v_cmp_nlt_f32_e64 s[20:21], |v5|, s23
                                        ; implicit-def: $vgpr17
	s_and_saveexec_b64 s[28:29], s[20:21]
	s_xor_b64 s[20:21], exec, s[28:29]
	s_cbranch_execz .LBB585_17
; %bb.16:                               ;   in Loop: Header=BB585_3 Depth=1
	v_add_f32_e64 v17, |v5|, |v5|
	v_mul_f32_e32 v18, 0x3fb8aa3b, v17
	v_rndne_f32_e32 v19, v18
	v_sub_f32_e32 v20, v18, v19
	v_fma_f32 v18, v17, s24, -v18
	v_fmac_f32_e32 v18, 0x32a5705f, v17
	v_add_f32_e32 v18, v20, v18
	v_cvt_i32_f32_e32 v19, v19
	v_exp_f32_e32 v18, v18
	v_cmp_ngt_f32_e32 vcc, s25, v17
	v_ldexp_f32 v18, v18, v19
	s_nop 0
	v_cndmask_b32_e32 v18, 0, v18, vcc
	v_cmp_nlt_f32_e32 vcc, s26, v17
	s_nop 1
	v_cndmask_b32_e32 v17, v13, v18, vcc
	v_add_f32_e32 v17, 1.0, v17
	v_rcp_f32_e32 v17, v17
	s_nop 0
	v_fma_f32 v17, v17, -2.0, 1.0
.LBB585_17:                             ;   in Loop: Header=BB585_3 Depth=1
	s_andn2_saveexec_b64 s[20:21], s[20:21]
; %bb.18:                               ;   in Loop: Header=BB585_3 Depth=1
	v_mul_f32_e32 v17, v5, v5
	v_fmamk_f32 v18, v17, 0xbbbac73d, v12
	v_fmaak_f32 v18, v17, v18, 0xbd5c1c4e
	v_fmaak_f32 v18, v17, v18, 0x3e088382
	;; [unrolled: 1-line block ×3, first 2 shown]
	v_mul_f32_e64 v18, |v5|, v18
	v_fma_f32 v17, v17, v18, |v5|
; %bb.19:                               ;   in Loop: Header=BB585_3 Depth=1
	s_or_b64 exec, exec, s[20:21]
	v_bfi_b32 v4, s27, v15, v4
	v_mul_f32_e32 v0, 0.5, v0
	v_add_f32_e32 v4, 1.0, v4
	v_mul_f32_e32 v0, v0, v4
	v_cvt_f32_f16_e32 v4, v6
	v_bfi_b32 v5, s27, v17, v5
	v_cvt_f32_f16_sdwa v19, v1 dst_sel:DWORD dst_unused:UNUSED_PAD src0_sel:WORD_1
	v_cvt_f32_f16_e32 v18, v1
	v_mul_f32_e32 v1, 0.5, v16
	v_add_f32_e32 v5, 1.0, v5
	v_mul_f32_e32 v1, v1, v5
	v_mul_f32_e32 v5, v4, v4
	;; [unrolled: 1-line block ×3, first 2 shown]
	v_fma_mix_f32 v5, v5, s22, v6 op_sel_hi:[0,0,1]
	v_mul_f32_e32 v5, 0x3f4c422a, v5
	v_cmp_nlt_f32_e64 s[20:21], |v5|, s23
	;;#ASMSTART
	v_pk_mul_f32 v[0:1], v[0:1], v[18:19]
	;;#ASMEND
                                        ; implicit-def: $vgpr15
	s_and_saveexec_b64 s[28:29], s[20:21]
	s_xor_b64 s[20:21], exec, s[28:29]
	s_cbranch_execz .LBB585_21
; %bb.20:                               ;   in Loop: Header=BB585_3 Depth=1
	v_add_f32_e64 v15, |v5|, |v5|
	v_mul_f32_e32 v16, 0x3fb8aa3b, v15
	v_rndne_f32_e32 v17, v16
	v_sub_f32_e32 v18, v16, v17
	v_fma_f32 v16, v15, s24, -v16
	v_fmac_f32_e32 v16, 0x32a5705f, v15
	v_add_f32_e32 v16, v18, v16
	v_cvt_i32_f32_e32 v17, v17
	v_exp_f32_e32 v16, v16
	v_cmp_ngt_f32_e32 vcc, s25, v15
	v_ldexp_f32 v16, v16, v17
	s_nop 0
	v_cndmask_b32_e32 v16, 0, v16, vcc
	v_cmp_nlt_f32_e32 vcc, s26, v15
	s_nop 1
	v_cndmask_b32_e32 v15, v13, v16, vcc
	v_add_f32_e32 v15, 1.0, v15
	v_rcp_f32_e32 v15, v15
	s_nop 0
	v_fma_f32 v15, v15, -2.0, 1.0
.LBB585_21:                             ;   in Loop: Header=BB585_3 Depth=1
	s_andn2_saveexec_b64 s[20:21], s[20:21]
; %bb.22:                               ;   in Loop: Header=BB585_3 Depth=1
	v_mul_f32_e32 v15, v5, v5
	v_fmamk_f32 v16, v15, 0xbbbac73d, v12
	v_fmaak_f32 v16, v15, v16, 0xbd5c1c4e
	v_fmaak_f32 v16, v15, v16, 0x3e088382
	;; [unrolled: 1-line block ×3, first 2 shown]
	v_mul_f32_e64 v16, |v5|, v16
	v_fma_f32 v15, v15, v16, |v5|
; %bb.23:                               ;   in Loop: Header=BB585_3 Depth=1
	s_or_b64 exec, exec, s[20:21]
	v_cvt_f32_f16_sdwa v16, v6 dst_sel:DWORD dst_unused:UNUSED_PAD src0_sel:WORD_1
	v_mul_f32_e32 v17, v16, v16
	v_mul_f32_e32 v17, v17, v16
	v_fma_mix_f32 v6, v17, s22, v6 op_sel:[0,0,1] op_sel_hi:[0,0,1]
	v_mul_f32_e32 v6, 0x3f4c422a, v6
	v_cmp_nlt_f32_e64 s[20:21], |v6|, s23
                                        ; implicit-def: $vgpr17
	s_and_saveexec_b64 s[28:29], s[20:21]
	s_xor_b64 s[20:21], exec, s[28:29]
	s_cbranch_execz .LBB585_25
; %bb.24:                               ;   in Loop: Header=BB585_3 Depth=1
	v_add_f32_e64 v17, |v6|, |v6|
	v_mul_f32_e32 v18, 0x3fb8aa3b, v17
	v_rndne_f32_e32 v19, v18
	v_sub_f32_e32 v20, v18, v19
	v_fma_f32 v18, v17, s24, -v18
	v_fmac_f32_e32 v18, 0x32a5705f, v17
	v_add_f32_e32 v18, v20, v18
	v_cvt_i32_f32_e32 v19, v19
	v_exp_f32_e32 v18, v18
	v_cmp_ngt_f32_e32 vcc, s25, v17
	v_ldexp_f32 v18, v18, v19
	s_nop 0
	v_cndmask_b32_e32 v18, 0, v18, vcc
	v_cmp_nlt_f32_e32 vcc, s26, v17
	s_nop 1
	v_cndmask_b32_e32 v17, v13, v18, vcc
	v_add_f32_e32 v17, 1.0, v17
	v_rcp_f32_e32 v17, v17
	s_nop 0
	v_fma_f32 v17, v17, -2.0, 1.0
.LBB585_25:                             ;   in Loop: Header=BB585_3 Depth=1
	s_andn2_saveexec_b64 s[20:21], s[20:21]
; %bb.26:                               ;   in Loop: Header=BB585_3 Depth=1
	v_mul_f32_e32 v17, v6, v6
	v_fmamk_f32 v18, v17, 0xbbbac73d, v12
	v_fmaak_f32 v18, v17, v18, 0xbd5c1c4e
	v_fmaak_f32 v18, v17, v18, 0x3e088382
	;; [unrolled: 1-line block ×3, first 2 shown]
	v_mul_f32_e64 v18, |v6|, v18
	v_fma_f32 v17, v17, v18, |v6|
; %bb.27:                               ;   in Loop: Header=BB585_3 Depth=1
	s_or_b64 exec, exec, s[20:21]
	v_cvt_f32_f16_sdwa v19, v2 dst_sel:DWORD dst_unused:UNUSED_PAD src0_sel:WORD_1
	v_cvt_f32_f16_e32 v18, v2
	v_cvt_f32_f16_e32 v2, v7
	v_bfi_b32 v5, s27, v15, v5
	v_mul_f32_e32 v4, 0.5, v4
	v_add_f32_e32 v5, 1.0, v5
	v_bfi_b32 v6, s27, v17, v6
	v_mul_f32_e32 v4, v4, v5
	v_mul_f32_e32 v5, 0.5, v16
	v_add_f32_e32 v6, 1.0, v6
	v_mul_f32_e32 v5, v5, v6
	v_mul_f32_e32 v6, v2, v2
	;; [unrolled: 1-line block ×3, first 2 shown]
	v_fma_mix_f32 v6, v6, s22, v7 op_sel_hi:[0,0,1]
	v_mul_f32_e32 v6, 0x3f4c422a, v6
	v_cmp_nlt_f32_e64 s[20:21], |v6|, s23
	;;#ASMSTART
	v_pk_mul_f32 v[4:5], v[4:5], v[18:19]
	;;#ASMEND
                                        ; implicit-def: $vgpr15
	s_and_saveexec_b64 s[28:29], s[20:21]
	s_xor_b64 s[20:21], exec, s[28:29]
	s_cbranch_execz .LBB585_29
; %bb.28:                               ;   in Loop: Header=BB585_3 Depth=1
	v_add_f32_e64 v15, |v6|, |v6|
	v_mul_f32_e32 v16, 0x3fb8aa3b, v15
	v_rndne_f32_e32 v17, v16
	v_sub_f32_e32 v18, v16, v17
	v_fma_f32 v16, v15, s24, -v16
	v_fmac_f32_e32 v16, 0x32a5705f, v15
	v_add_f32_e32 v16, v18, v16
	v_cvt_i32_f32_e32 v17, v17
	v_exp_f32_e32 v16, v16
	v_cmp_ngt_f32_e32 vcc, s25, v15
	v_ldexp_f32 v16, v16, v17
	s_nop 0
	v_cndmask_b32_e32 v16, 0, v16, vcc
	v_cmp_nlt_f32_e32 vcc, s26, v15
	s_nop 1
	v_cndmask_b32_e32 v15, v13, v16, vcc
	v_add_f32_e32 v15, 1.0, v15
	v_rcp_f32_e32 v15, v15
	s_nop 0
	v_fma_f32 v15, v15, -2.0, 1.0
.LBB585_29:                             ;   in Loop: Header=BB585_3 Depth=1
	s_andn2_saveexec_b64 s[20:21], s[20:21]
; %bb.30:                               ;   in Loop: Header=BB585_3 Depth=1
	v_mul_f32_e32 v15, v6, v6
	v_fmamk_f32 v16, v15, 0xbbbac73d, v12
	v_fmaak_f32 v16, v15, v16, 0xbd5c1c4e
	v_fmaak_f32 v16, v15, v16, 0x3e088382
	v_fmaak_f32 v16, v15, v16, 0xbeaaaa99
	v_mul_f32_e64 v16, |v6|, v16
	v_fma_f32 v15, v15, v16, |v6|
; %bb.31:                               ;   in Loop: Header=BB585_3 Depth=1
	s_or_b64 exec, exec, s[20:21]
	v_cvt_f32_f16_sdwa v16, v7 dst_sel:DWORD dst_unused:UNUSED_PAD src0_sel:WORD_1
	v_mul_f32_e32 v17, v16, v16
	v_mul_f32_e32 v17, v17, v16
	v_fma_mix_f32 v7, v17, s22, v7 op_sel:[0,0,1] op_sel_hi:[0,0,1]
	v_mul_f32_e32 v7, 0x3f4c422a, v7
	v_cmp_nlt_f32_e64 s[20:21], |v7|, s23
                                        ; implicit-def: $vgpr17
	s_and_saveexec_b64 s[28:29], s[20:21]
	s_xor_b64 s[20:21], exec, s[28:29]
	s_cbranch_execz .LBB585_33
; %bb.32:                               ;   in Loop: Header=BB585_3 Depth=1
	v_add_f32_e64 v17, |v7|, |v7|
	v_mul_f32_e32 v18, 0x3fb8aa3b, v17
	v_rndne_f32_e32 v19, v18
	v_sub_f32_e32 v20, v18, v19
	v_fma_f32 v18, v17, s24, -v18
	v_fmac_f32_e32 v18, 0x32a5705f, v17
	v_add_f32_e32 v18, v20, v18
	v_cvt_i32_f32_e32 v19, v19
	v_exp_f32_e32 v18, v18
	v_cmp_ngt_f32_e32 vcc, s25, v17
	v_ldexp_f32 v18, v18, v19
	s_nop 0
	v_cndmask_b32_e32 v18, 0, v18, vcc
	v_cmp_nlt_f32_e32 vcc, s26, v17
	s_nop 1
	v_cndmask_b32_e32 v17, v13, v18, vcc
	v_add_f32_e32 v17, 1.0, v17
	v_rcp_f32_e32 v17, v17
	s_nop 0
	v_fma_f32 v17, v17, -2.0, 1.0
.LBB585_33:                             ;   in Loop: Header=BB585_3 Depth=1
	s_andn2_saveexec_b64 s[20:21], s[20:21]
	s_cbranch_execz .LBB585_2
; %bb.34:                               ;   in Loop: Header=BB585_3 Depth=1
	v_mul_f32_e32 v17, v7, v7
	v_fmamk_f32 v18, v17, 0xbbbac73d, v12
	v_fmaak_f32 v18, v17, v18, 0xbd5c1c4e
	v_fmaak_f32 v18, v17, v18, 0x3e088382
	;; [unrolled: 1-line block ×3, first 2 shown]
	v_mul_f32_e64 v18, |v7|, v18
	v_fma_f32 v17, v17, v18, |v7|
	s_branch .LBB585_2
.LBB585_35:
	s_endpgm
	.section	.rodata,"a",@progbits
	.p2align	6, 0x0
	.amdhsa_kernel _ZN5aiter18act_and_mul_kernelIDF16_DF16_TnPFfRKT_EXadL_ZNS_16gelu_tanh_kernelIDF16_EEfS3_EELi8ELb0ELi3EEEvPT0_PS2_if
		.amdhsa_group_segment_fixed_size 0
		.amdhsa_private_segment_fixed_size 0
		.amdhsa_kernarg_size 280
		.amdhsa_user_sgpr_count 2
		.amdhsa_user_sgpr_dispatch_ptr 0
		.amdhsa_user_sgpr_queue_ptr 0
		.amdhsa_user_sgpr_kernarg_segment_ptr 1
		.amdhsa_user_sgpr_dispatch_id 0
		.amdhsa_user_sgpr_kernarg_preload_length 0
		.amdhsa_user_sgpr_kernarg_preload_offset 0
		.amdhsa_user_sgpr_private_segment_size 0
		.amdhsa_uses_dynamic_stack 0
		.amdhsa_enable_private_segment 0
		.amdhsa_system_sgpr_workgroup_id_x 1
		.amdhsa_system_sgpr_workgroup_id_y 0
		.amdhsa_system_sgpr_workgroup_id_z 0
		.amdhsa_system_sgpr_workgroup_info 0
		.amdhsa_system_vgpr_workitem_id 0
		.amdhsa_next_free_vgpr 21
		.amdhsa_next_free_sgpr 30
		.amdhsa_accum_offset 24
		.amdhsa_reserve_vcc 1
		.amdhsa_float_round_mode_32 0
		.amdhsa_float_round_mode_16_64 0
		.amdhsa_float_denorm_mode_32 3
		.amdhsa_float_denorm_mode_16_64 3
		.amdhsa_dx10_clamp 1
		.amdhsa_ieee_mode 1
		.amdhsa_fp16_overflow 0
		.amdhsa_tg_split 0
		.amdhsa_exception_fp_ieee_invalid_op 0
		.amdhsa_exception_fp_denorm_src 0
		.amdhsa_exception_fp_ieee_div_zero 0
		.amdhsa_exception_fp_ieee_overflow 0
		.amdhsa_exception_fp_ieee_underflow 0
		.amdhsa_exception_fp_ieee_inexact 0
		.amdhsa_exception_int_div_zero 0
	.end_amdhsa_kernel
	.section	.text._ZN5aiter18act_and_mul_kernelIDF16_DF16_TnPFfRKT_EXadL_ZNS_16gelu_tanh_kernelIDF16_EEfS3_EELi8ELb0ELi3EEEvPT0_PS2_if,"axG",@progbits,_ZN5aiter18act_and_mul_kernelIDF16_DF16_TnPFfRKT_EXadL_ZNS_16gelu_tanh_kernelIDF16_EEfS3_EELi8ELb0ELi3EEEvPT0_PS2_if,comdat
.Lfunc_end585:
	.size	_ZN5aiter18act_and_mul_kernelIDF16_DF16_TnPFfRKT_EXadL_ZNS_16gelu_tanh_kernelIDF16_EEfS3_EELi8ELb0ELi3EEEvPT0_PS2_if, .Lfunc_end585-_ZN5aiter18act_and_mul_kernelIDF16_DF16_TnPFfRKT_EXadL_ZNS_16gelu_tanh_kernelIDF16_EEfS3_EELi8ELb0ELi3EEEvPT0_PS2_if
                                        ; -- End function
	.section	.AMDGPU.csdata,"",@progbits
; Kernel info:
; codeLenInByte = 2360
; NumSgprs: 36
; NumVgprs: 21
; NumAgprs: 0
; TotalNumVgprs: 21
; ScratchSize: 0
; MemoryBound: 0
; FloatMode: 240
; IeeeMode: 1
; LDSByteSize: 0 bytes/workgroup (compile time only)
; SGPRBlocks: 4
; VGPRBlocks: 2
; NumSGPRsForWavesPerEU: 36
; NumVGPRsForWavesPerEU: 21
; AccumOffset: 24
; Occupancy: 8
; WaveLimiterHint : 0
; COMPUTE_PGM_RSRC2:SCRATCH_EN: 0
; COMPUTE_PGM_RSRC2:USER_SGPR: 2
; COMPUTE_PGM_RSRC2:TRAP_HANDLER: 0
; COMPUTE_PGM_RSRC2:TGID_X_EN: 1
; COMPUTE_PGM_RSRC2:TGID_Y_EN: 0
; COMPUTE_PGM_RSRC2:TGID_Z_EN: 0
; COMPUTE_PGM_RSRC2:TIDIG_COMP_CNT: 0
; COMPUTE_PGM_RSRC3_GFX90A:ACCUM_OFFSET: 5
; COMPUTE_PGM_RSRC3_GFX90A:TG_SPLIT: 0
	.section	.text._ZN5aiter18act_and_mul_kernelIDF16_DF16_TnPFfRKT_EXadL_ZNS_16gelu_tanh_kernelIDF16_EEfS3_EELi4ELb0ELi3EEEvPT0_PS2_if,"axG",@progbits,_ZN5aiter18act_and_mul_kernelIDF16_DF16_TnPFfRKT_EXadL_ZNS_16gelu_tanh_kernelIDF16_EEfS3_EELi4ELb0ELi3EEEvPT0_PS2_if,comdat
	.protected	_ZN5aiter18act_and_mul_kernelIDF16_DF16_TnPFfRKT_EXadL_ZNS_16gelu_tanh_kernelIDF16_EEfS3_EELi4ELb0ELi3EEEvPT0_PS2_if ; -- Begin function _ZN5aiter18act_and_mul_kernelIDF16_DF16_TnPFfRKT_EXadL_ZNS_16gelu_tanh_kernelIDF16_EEfS3_EELi4ELb0ELi3EEEvPT0_PS2_if
	.globl	_ZN5aiter18act_and_mul_kernelIDF16_DF16_TnPFfRKT_EXadL_ZNS_16gelu_tanh_kernelIDF16_EEfS3_EELi4ELb0ELi3EEEvPT0_PS2_if
	.p2align	8
	.type	_ZN5aiter18act_and_mul_kernelIDF16_DF16_TnPFfRKT_EXadL_ZNS_16gelu_tanh_kernelIDF16_EEfS3_EELi4ELb0ELi3EEEvPT0_PS2_if,@function
_ZN5aiter18act_and_mul_kernelIDF16_DF16_TnPFfRKT_EXadL_ZNS_16gelu_tanh_kernelIDF16_EEfS3_EELi4ELb0ELi3EEEvPT0_PS2_if: ; @_ZN5aiter18act_and_mul_kernelIDF16_DF16_TnPFfRKT_EXadL_ZNS_16gelu_tanh_kernelIDF16_EEfS3_EELi4ELb0ELi3EEEvPT0_PS2_if
; %bb.0:
	s_load_dword s16, s[0:1], 0x10
	v_lshlrev_b32_e32 v0, 2, v0
	s_waitcnt lgkmcnt(0)
	v_cmp_gt_i32_e32 vcc, s16, v0
	s_and_saveexec_b64 s[4:5], vcc
	s_cbranch_execz .LBB586_19
; %bb.1:
	s_load_dwordx4 s[12:15], s[0:1], 0x0
	s_ashr_i32 s17, s16, 31
	s_mul_hi_u32 s3, s16, s2
	s_mul_i32 s4, s17, s2
	s_add_i32 s3, s3, s4
	s_mul_i32 s2, s16, s2
	s_lshl_b64 s[10:11], s[2:3], 1
	s_lshl_b64 s[2:3], s[2:3], 2
	s_waitcnt lgkmcnt(0)
	s_add_u32 s4, s14, s2
	s_addc_u32 s5, s15, s3
	s_lshl_b64 s[2:3], s[16:17], 1
	s_add_u32 s8, s4, s2
	s_addc_u32 s2, s5, s3
	s_add_i32 s3, s16, 1
	s_lshr_b32 s6, s3, 31
	s_add_i32 s3, s3, s6
	s_lshl_b32 s3, s3, 1
	s_and_b32 s6, s3, -4
	s_and_b32 s5, s5, 0xffff
	s_and_b32 s9, s2, 0xffff
	s_add_u32 s12, s12, s10
	s_addc_u32 s2, s13, s11
	s_and_b32 s13, s2, 0xffff
	s_mov_b32 s7, 0x20000
	s_add_u32 s0, s0, 24
	v_mov_b32_e32 v1, 0
	s_addc_u32 s1, s1, 0
	s_mov_b64 s[2:3], 0
	s_mov_b32 s19, 0
	s_mov_b32 s10, s6
	;; [unrolled: 1-line block ×8, first 2 shown]
	v_mov_b32_e32 v8, 0x3ca908c9
	s_brev_b32 s27, -2
	v_mov_b32_e32 v9, 0x7f800000
	s_mov_b32 s14, s6
	s_mov_b32 s15, s7
                                        ; implicit-def: $vgpr2
                                        ; implicit-def: $vgpr2
	;; [unrolled: 1-line block ×3, first 2 shown]
	s_branch .LBB586_3
.LBB586_2:                              ;   in Loop: Header=BB586_3 Depth=1
	s_or_b64 exec, exec, s[20:21]
	v_bfi_b32 v4, s27, v11, v4
	v_bfi_b32 v5, s27, v13, v5
	v_mul_f32_e32 v2, 0.5, v2
	v_add_f32_e32 v4, 1.0, v4
	v_cvt_f32_f16_sdwa v15, v3 dst_sel:DWORD dst_unused:UNUSED_PAD src0_sel:WORD_1
	v_cvt_f32_f16_e32 v14, v3
	v_mul_f32_e32 v3, 0.5, v12
	v_add_f32_e32 v5, 1.0, v5
	v_mul_f32_e32 v2, v2, v4
	v_mul_f32_e32 v3, v3, v5
	;;#ASMSTART
	v_pk_mul_f32 v[2:3], v[2:3], v[14:15]
	;;#ASMEND
	s_load_dword s18, s[0:1], 0xc
	v_cvt_f16_f32_e32 v4, v6
	v_cvt_f16_f32_e32 v6, v7
	;; [unrolled: 1-line block ×4, first 2 shown]
	s_waitcnt lgkmcnt(0)
	s_and_b32 s18, s18, 0xffff
	s_lshl_b32 s18, s18, 2
	v_lshl_add_u64 v[0:1], s[18:19], 0, v[0:1]
	v_cmp_le_i64_e32 vcc, s[16:17], v[0:1]
	v_pack_b32_f16 v3, v2, v3
	v_pack_b32_f16 v2, v4, v6
	s_or_b64 s[2:3], vcc, s[2:3]
	buffer_store_dwordx2 v[2:3], v10, s[12:15], 0 offen
	s_andn2_b64 exec, exec, s[2:3]
	s_cbranch_execz .LBB586_19
.LBB586_3:                              ; =>This Inner Loop Header: Depth=1
	v_lshlrev_b32_e32 v10, 1, v0
	buffer_load_dwordx2 v[4:5], v10, s[4:7], 0 offen sc0 nt
	buffer_load_dwordx2 v[2:3], v10, s[8:11], 0 offen sc0 nt
                                        ; implicit-def: $vgpr11
	s_waitcnt vmcnt(1)
	v_cvt_f32_f16_e32 v6, v4
	v_mul_f32_e32 v7, v6, v6
	v_mul_f32_e32 v7, v7, v6
	v_fma_mix_f32 v7, v7, s22, v4 op_sel_hi:[0,0,1]
	v_mul_f32_e32 v7, 0x3f4c422a, v7
	v_cmp_nlt_f32_e64 s[20:21], |v7|, s23
	s_and_saveexec_b64 s[28:29], s[20:21]
	s_xor_b64 s[20:21], exec, s[28:29]
	s_cbranch_execz .LBB586_5
; %bb.4:                                ;   in Loop: Header=BB586_3 Depth=1
	v_add_f32_e64 v11, |v7|, |v7|
	v_mul_f32_e32 v12, 0x3fb8aa3b, v11
	v_rndne_f32_e32 v13, v12
	v_sub_f32_e32 v14, v12, v13
	v_fma_f32 v12, v11, s24, -v12
	v_fmac_f32_e32 v12, 0x32a5705f, v11
	v_add_f32_e32 v12, v14, v12
	v_cvt_i32_f32_e32 v13, v13
	v_exp_f32_e32 v12, v12
	v_cmp_ngt_f32_e32 vcc, s25, v11
	v_ldexp_f32 v12, v12, v13
	s_nop 0
	v_cndmask_b32_e32 v12, 0, v12, vcc
	v_cmp_nlt_f32_e32 vcc, s26, v11
	s_nop 1
	v_cndmask_b32_e32 v11, v9, v12, vcc
	v_add_f32_e32 v11, 1.0, v11
	v_rcp_f32_e32 v11, v11
	s_nop 0
	v_fma_f32 v11, v11, -2.0, 1.0
.LBB586_5:                              ;   in Loop: Header=BB586_3 Depth=1
	s_andn2_saveexec_b64 s[20:21], s[20:21]
; %bb.6:                                ;   in Loop: Header=BB586_3 Depth=1
	v_mul_f32_e32 v11, v7, v7
	v_fmamk_f32 v12, v11, 0xbbbac73d, v8
	v_fmaak_f32 v12, v11, v12, 0xbd5c1c4e
	v_fmaak_f32 v12, v11, v12, 0x3e088382
	;; [unrolled: 1-line block ×3, first 2 shown]
	v_mul_f32_e64 v12, |v7|, v12
	v_fma_f32 v11, v11, v12, |v7|
; %bb.7:                                ;   in Loop: Header=BB586_3 Depth=1
	s_or_b64 exec, exec, s[20:21]
	v_cvt_f32_f16_sdwa v12, v4 dst_sel:DWORD dst_unused:UNUSED_PAD src0_sel:WORD_1
	v_mul_f32_e32 v13, v12, v12
	v_mul_f32_e32 v13, v13, v12
	v_fma_mix_f32 v4, v13, s22, v4 op_sel:[0,0,1] op_sel_hi:[0,0,1]
	v_mul_f32_e32 v4, 0x3f4c422a, v4
	v_cmp_nlt_f32_e64 s[20:21], |v4|, s23
                                        ; implicit-def: $vgpr13
	s_and_saveexec_b64 s[28:29], s[20:21]
	s_xor_b64 s[20:21], exec, s[28:29]
	s_cbranch_execz .LBB586_9
; %bb.8:                                ;   in Loop: Header=BB586_3 Depth=1
	v_add_f32_e64 v13, |v4|, |v4|
	v_mul_f32_e32 v14, 0x3fb8aa3b, v13
	v_rndne_f32_e32 v15, v14
	v_sub_f32_e32 v16, v14, v15
	v_fma_f32 v14, v13, s24, -v14
	v_fmac_f32_e32 v14, 0x32a5705f, v13
	v_add_f32_e32 v14, v16, v14
	v_cvt_i32_f32_e32 v15, v15
	v_exp_f32_e32 v14, v14
	v_cmp_ngt_f32_e32 vcc, s25, v13
	v_ldexp_f32 v14, v14, v15
	s_nop 0
	v_cndmask_b32_e32 v14, 0, v14, vcc
	v_cmp_nlt_f32_e32 vcc, s26, v13
	s_nop 1
	v_cndmask_b32_e32 v13, v9, v14, vcc
	v_add_f32_e32 v13, 1.0, v13
	v_rcp_f32_e32 v13, v13
	s_nop 0
	v_fma_f32 v13, v13, -2.0, 1.0
.LBB586_9:                              ;   in Loop: Header=BB586_3 Depth=1
	s_andn2_saveexec_b64 s[20:21], s[20:21]
; %bb.10:                               ;   in Loop: Header=BB586_3 Depth=1
	v_mul_f32_e32 v13, v4, v4
	v_fmamk_f32 v14, v13, 0xbbbac73d, v8
	v_fmaak_f32 v14, v13, v14, 0xbd5c1c4e
	v_fmaak_f32 v14, v13, v14, 0x3e088382
	;; [unrolled: 1-line block ×3, first 2 shown]
	v_mul_f32_e64 v14, |v4|, v14
	v_fma_f32 v13, v13, v14, |v4|
; %bb.11:                               ;   in Loop: Header=BB586_3 Depth=1
	s_or_b64 exec, exec, s[20:21]
	s_waitcnt vmcnt(0)
	v_cvt_f32_f16_sdwa v15, v2 dst_sel:DWORD dst_unused:UNUSED_PAD src0_sel:WORD_1
	v_cvt_f32_f16_e32 v14, v2
	v_cvt_f32_f16_e32 v2, v5
	v_bfi_b32 v7, s27, v11, v7
	v_mul_f32_e32 v6, 0.5, v6
	v_add_f32_e32 v7, 1.0, v7
	v_bfi_b32 v4, s27, v13, v4
	v_mul_f32_e32 v6, v6, v7
	v_mul_f32_e32 v7, 0.5, v12
	v_add_f32_e32 v4, 1.0, v4
	v_mul_f32_e32 v7, v7, v4
	v_mul_f32_e32 v4, v2, v2
	;; [unrolled: 1-line block ×3, first 2 shown]
	v_fma_mix_f32 v4, v4, s22, v5 op_sel_hi:[0,0,1]
	v_mul_f32_e32 v4, 0x3f4c422a, v4
	v_cmp_nlt_f32_e64 s[20:21], |v4|, s23
	;;#ASMSTART
	v_pk_mul_f32 v[6:7], v[6:7], v[14:15]
	;;#ASMEND
                                        ; implicit-def: $vgpr11
	s_and_saveexec_b64 s[28:29], s[20:21]
	s_xor_b64 s[20:21], exec, s[28:29]
	s_cbranch_execz .LBB586_13
; %bb.12:                               ;   in Loop: Header=BB586_3 Depth=1
	v_add_f32_e64 v11, |v4|, |v4|
	v_mul_f32_e32 v12, 0x3fb8aa3b, v11
	v_rndne_f32_e32 v13, v12
	v_sub_f32_e32 v14, v12, v13
	v_fma_f32 v12, v11, s24, -v12
	v_fmac_f32_e32 v12, 0x32a5705f, v11
	v_add_f32_e32 v12, v14, v12
	v_cvt_i32_f32_e32 v13, v13
	v_exp_f32_e32 v12, v12
	v_cmp_ngt_f32_e32 vcc, s25, v11
	v_ldexp_f32 v12, v12, v13
	s_nop 0
	v_cndmask_b32_e32 v12, 0, v12, vcc
	v_cmp_nlt_f32_e32 vcc, s26, v11
	s_nop 1
	v_cndmask_b32_e32 v11, v9, v12, vcc
	v_add_f32_e32 v11, 1.0, v11
	v_rcp_f32_e32 v11, v11
	s_nop 0
	v_fma_f32 v11, v11, -2.0, 1.0
.LBB586_13:                             ;   in Loop: Header=BB586_3 Depth=1
	s_andn2_saveexec_b64 s[20:21], s[20:21]
; %bb.14:                               ;   in Loop: Header=BB586_3 Depth=1
	v_mul_f32_e32 v11, v4, v4
	v_fmamk_f32 v12, v11, 0xbbbac73d, v8
	v_fmaak_f32 v12, v11, v12, 0xbd5c1c4e
	v_fmaak_f32 v12, v11, v12, 0x3e088382
	;; [unrolled: 1-line block ×3, first 2 shown]
	v_mul_f32_e64 v12, |v4|, v12
	v_fma_f32 v11, v11, v12, |v4|
; %bb.15:                               ;   in Loop: Header=BB586_3 Depth=1
	s_or_b64 exec, exec, s[20:21]
	v_cvt_f32_f16_sdwa v12, v5 dst_sel:DWORD dst_unused:UNUSED_PAD src0_sel:WORD_1
	v_mul_f32_e32 v13, v12, v12
	v_mul_f32_e32 v13, v13, v12
	v_fma_mix_f32 v5, v13, s22, v5 op_sel:[0,0,1] op_sel_hi:[0,0,1]
	v_mul_f32_e32 v5, 0x3f4c422a, v5
	v_cmp_nlt_f32_e64 s[20:21], |v5|, s23
                                        ; implicit-def: $vgpr13
	s_and_saveexec_b64 s[28:29], s[20:21]
	s_xor_b64 s[20:21], exec, s[28:29]
	s_cbranch_execz .LBB586_17
; %bb.16:                               ;   in Loop: Header=BB586_3 Depth=1
	v_add_f32_e64 v13, |v5|, |v5|
	v_mul_f32_e32 v14, 0x3fb8aa3b, v13
	v_rndne_f32_e32 v15, v14
	v_sub_f32_e32 v16, v14, v15
	v_fma_f32 v14, v13, s24, -v14
	v_fmac_f32_e32 v14, 0x32a5705f, v13
	v_add_f32_e32 v14, v16, v14
	v_cvt_i32_f32_e32 v15, v15
	v_exp_f32_e32 v14, v14
	v_cmp_ngt_f32_e32 vcc, s25, v13
	v_ldexp_f32 v14, v14, v15
	s_nop 0
	v_cndmask_b32_e32 v14, 0, v14, vcc
	v_cmp_nlt_f32_e32 vcc, s26, v13
	s_nop 1
	v_cndmask_b32_e32 v13, v9, v14, vcc
	v_add_f32_e32 v13, 1.0, v13
	v_rcp_f32_e32 v13, v13
	s_nop 0
	v_fma_f32 v13, v13, -2.0, 1.0
.LBB586_17:                             ;   in Loop: Header=BB586_3 Depth=1
	s_andn2_saveexec_b64 s[20:21], s[20:21]
	s_cbranch_execz .LBB586_2
; %bb.18:                               ;   in Loop: Header=BB586_3 Depth=1
	v_mul_f32_e32 v13, v5, v5
	v_fmamk_f32 v14, v13, 0xbbbac73d, v8
	v_fmaak_f32 v14, v13, v14, 0xbd5c1c4e
	v_fmaak_f32 v14, v13, v14, 0x3e088382
	;; [unrolled: 1-line block ×3, first 2 shown]
	v_mul_f32_e64 v14, |v5|, v14
	v_fma_f32 v13, v13, v14, |v5|
	s_branch .LBB586_2
.LBB586_19:
	s_endpgm
	.section	.rodata,"a",@progbits
	.p2align	6, 0x0
	.amdhsa_kernel _ZN5aiter18act_and_mul_kernelIDF16_DF16_TnPFfRKT_EXadL_ZNS_16gelu_tanh_kernelIDF16_EEfS3_EELi4ELb0ELi3EEEvPT0_PS2_if
		.amdhsa_group_segment_fixed_size 0
		.amdhsa_private_segment_fixed_size 0
		.amdhsa_kernarg_size 280
		.amdhsa_user_sgpr_count 2
		.amdhsa_user_sgpr_dispatch_ptr 0
		.amdhsa_user_sgpr_queue_ptr 0
		.amdhsa_user_sgpr_kernarg_segment_ptr 1
		.amdhsa_user_sgpr_dispatch_id 0
		.amdhsa_user_sgpr_kernarg_preload_length 0
		.amdhsa_user_sgpr_kernarg_preload_offset 0
		.amdhsa_user_sgpr_private_segment_size 0
		.amdhsa_uses_dynamic_stack 0
		.amdhsa_enable_private_segment 0
		.amdhsa_system_sgpr_workgroup_id_x 1
		.amdhsa_system_sgpr_workgroup_id_y 0
		.amdhsa_system_sgpr_workgroup_id_z 0
		.amdhsa_system_sgpr_workgroup_info 0
		.amdhsa_system_vgpr_workitem_id 0
		.amdhsa_next_free_vgpr 17
		.amdhsa_next_free_sgpr 30
		.amdhsa_accum_offset 20
		.amdhsa_reserve_vcc 1
		.amdhsa_float_round_mode_32 0
		.amdhsa_float_round_mode_16_64 0
		.amdhsa_float_denorm_mode_32 3
		.amdhsa_float_denorm_mode_16_64 3
		.amdhsa_dx10_clamp 1
		.amdhsa_ieee_mode 1
		.amdhsa_fp16_overflow 0
		.amdhsa_tg_split 0
		.amdhsa_exception_fp_ieee_invalid_op 0
		.amdhsa_exception_fp_denorm_src 0
		.amdhsa_exception_fp_ieee_div_zero 0
		.amdhsa_exception_fp_ieee_overflow 0
		.amdhsa_exception_fp_ieee_underflow 0
		.amdhsa_exception_fp_ieee_inexact 0
		.amdhsa_exception_int_div_zero 0
	.end_amdhsa_kernel
	.section	.text._ZN5aiter18act_and_mul_kernelIDF16_DF16_TnPFfRKT_EXadL_ZNS_16gelu_tanh_kernelIDF16_EEfS3_EELi4ELb0ELi3EEEvPT0_PS2_if,"axG",@progbits,_ZN5aiter18act_and_mul_kernelIDF16_DF16_TnPFfRKT_EXadL_ZNS_16gelu_tanh_kernelIDF16_EEfS3_EELi4ELb0ELi3EEEvPT0_PS2_if,comdat
.Lfunc_end586:
	.size	_ZN5aiter18act_and_mul_kernelIDF16_DF16_TnPFfRKT_EXadL_ZNS_16gelu_tanh_kernelIDF16_EEfS3_EELi4ELb0ELi3EEEvPT0_PS2_if, .Lfunc_end586-_ZN5aiter18act_and_mul_kernelIDF16_DF16_TnPFfRKT_EXadL_ZNS_16gelu_tanh_kernelIDF16_EEfS3_EELi4ELb0ELi3EEEvPT0_PS2_if
                                        ; -- End function
	.section	.AMDGPU.csdata,"",@progbits
; Kernel info:
; codeLenInByte = 1352
; NumSgprs: 36
; NumVgprs: 17
; NumAgprs: 0
; TotalNumVgprs: 17
; ScratchSize: 0
; MemoryBound: 0
; FloatMode: 240
; IeeeMode: 1
; LDSByteSize: 0 bytes/workgroup (compile time only)
; SGPRBlocks: 4
; VGPRBlocks: 2
; NumSGPRsForWavesPerEU: 36
; NumVGPRsForWavesPerEU: 17
; AccumOffset: 20
; Occupancy: 8
; WaveLimiterHint : 0
; COMPUTE_PGM_RSRC2:SCRATCH_EN: 0
; COMPUTE_PGM_RSRC2:USER_SGPR: 2
; COMPUTE_PGM_RSRC2:TRAP_HANDLER: 0
; COMPUTE_PGM_RSRC2:TGID_X_EN: 1
; COMPUTE_PGM_RSRC2:TGID_Y_EN: 0
; COMPUTE_PGM_RSRC2:TGID_Z_EN: 0
; COMPUTE_PGM_RSRC2:TIDIG_COMP_CNT: 0
; COMPUTE_PGM_RSRC3_GFX90A:ACCUM_OFFSET: 4
; COMPUTE_PGM_RSRC3_GFX90A:TG_SPLIT: 0
	.section	.text._ZN5aiter18act_and_mul_kernelIDF16_DF16_TnPFfRKT_EXadL_ZNS_16gelu_tanh_kernelIDF16_EEfS3_EELi2ELb0ELi3EEEvPT0_PS2_if,"axG",@progbits,_ZN5aiter18act_and_mul_kernelIDF16_DF16_TnPFfRKT_EXadL_ZNS_16gelu_tanh_kernelIDF16_EEfS3_EELi2ELb0ELi3EEEvPT0_PS2_if,comdat
	.protected	_ZN5aiter18act_and_mul_kernelIDF16_DF16_TnPFfRKT_EXadL_ZNS_16gelu_tanh_kernelIDF16_EEfS3_EELi2ELb0ELi3EEEvPT0_PS2_if ; -- Begin function _ZN5aiter18act_and_mul_kernelIDF16_DF16_TnPFfRKT_EXadL_ZNS_16gelu_tanh_kernelIDF16_EEfS3_EELi2ELb0ELi3EEEvPT0_PS2_if
	.globl	_ZN5aiter18act_and_mul_kernelIDF16_DF16_TnPFfRKT_EXadL_ZNS_16gelu_tanh_kernelIDF16_EEfS3_EELi2ELb0ELi3EEEvPT0_PS2_if
	.p2align	8
	.type	_ZN5aiter18act_and_mul_kernelIDF16_DF16_TnPFfRKT_EXadL_ZNS_16gelu_tanh_kernelIDF16_EEfS3_EELi2ELb0ELi3EEEvPT0_PS2_if,@function
_ZN5aiter18act_and_mul_kernelIDF16_DF16_TnPFfRKT_EXadL_ZNS_16gelu_tanh_kernelIDF16_EEfS3_EELi2ELb0ELi3EEEvPT0_PS2_if: ; @_ZN5aiter18act_and_mul_kernelIDF16_DF16_TnPFfRKT_EXadL_ZNS_16gelu_tanh_kernelIDF16_EEfS3_EELi2ELb0ELi3EEEvPT0_PS2_if
; %bb.0:
	s_load_dword s16, s[0:1], 0x10
	v_lshlrev_b32_e32 v0, 1, v0
	s_waitcnt lgkmcnt(0)
	v_cmp_gt_i32_e32 vcc, s16, v0
	s_and_saveexec_b64 s[4:5], vcc
	s_cbranch_execz .LBB587_7
; %bb.1:
	s_load_dwordx4 s[12:15], s[0:1], 0x0
	s_ashr_i32 s17, s16, 31
	s_mul_hi_u32 s3, s16, s2
	s_mul_i32 s4, s17, s2
	s_add_i32 s3, s3, s4
	s_mul_i32 s2, s16, s2
	s_lshl_b64 s[10:11], s[2:3], 1
	s_lshl_b64 s[2:3], s[2:3], 2
	s_waitcnt lgkmcnt(0)
	s_add_u32 s4, s14, s2
	s_addc_u32 s5, s15, s3
	s_lshl_b64 s[2:3], s[16:17], 1
	s_add_u32 s8, s4, s2
	s_addc_u32 s2, s5, s3
	s_add_i32 s3, s16, 1
	s_lshr_b32 s6, s3, 31
	s_add_i32 s3, s3, s6
	s_lshl_b32 s3, s3, 1
	s_and_b32 s6, s3, -4
	s_and_b32 s5, s5, 0xffff
	s_and_b32 s9, s2, 0xffff
	s_add_u32 s12, s12, s10
	s_addc_u32 s2, s13, s11
	s_and_b32 s13, s2, 0xffff
	s_mov_b32 s7, 0x20000
	s_add_u32 s0, s0, 24
	v_mov_b32_e32 v1, 0
	s_addc_u32 s1, s1, 0
	s_mov_b64 s[2:3], 0
	s_mov_b32 s19, 0
	s_mov_b32 s10, s6
	;; [unrolled: 1-line block ×9, first 2 shown]
	v_mov_b32_e32 v8, 0x3ca908c9
	v_mov_b32_e32 v9, 0x7f800000
	s_brev_b32 s28, -2
	s_mov_b32 s14, s6
	s_mov_b32 s15, s7
                                        ; implicit-def: $vgpr2
                                        ; implicit-def: $vgpr2
	;; [unrolled: 1-line block ×3, first 2 shown]
	s_branch .LBB587_3
.LBB587_2:                              ;   in Loop: Header=BB587_3 Depth=1
	s_or_b64 exec, exec, s[24:25]
	v_add_f32_e64 v6, |v5|, |v5|
	v_mul_f32_e32 v13, 0x3fb8aa3b, v6
	v_rndne_f32_e32 v14, v13
	v_sub_f32_e32 v15, v13, v14
	v_fma_f32 v13, v6, s23, -v13
	v_fmac_f32_e32 v13, 0x32a5705f, v6
	v_add_f32_e32 v13, v15, v13
	v_cvt_i32_f32_e32 v14, v14
	v_exp_f32_e32 v13, v13
	v_cmp_ngt_f32_e32 vcc, s26, v6
	s_waitcnt vmcnt(0)
	v_cvt_f32_f16_sdwa v15, v11 dst_sel:DWORD dst_unused:UNUSED_PAD src0_sel:WORD_1
	v_bfi_b32 v4, s28, v12, v4
	v_ldexp_f32 v13, v13, v14
	v_cndmask_b32_e32 v13, 0, v13, vcc
	v_cmp_nlt_f32_e32 vcc, s27, v6
	v_cvt_f32_f16_e32 v14, v11
	v_fmamk_f32 v11, v7, 0xbbbac73d, v8
	v_cndmask_b32_e32 v6, v9, v13, vcc
	v_add_f32_e32 v6, 1.0, v6
	v_rcp_f32_e32 v6, v6
	v_fmaak_f32 v11, v7, v11, 0xbd5c1c4e
	v_fmaak_f32 v11, v7, v11, 0x3e088382
	;; [unrolled: 1-line block ×3, first 2 shown]
	v_mul_f32_e64 v11, |v5|, v11
	v_fma_f32 v6, v6, -2.0, 1.0
	v_fma_f32 v7, v7, v11, |v5|
	v_cmp_lt_f32_e64 vcc, |v5|, s21
	v_mul_f32_e32 v3, 0.5, v3
	v_mul_f32_e32 v2, 0.5, v2
	v_cndmask_b32_e32 v6, v6, v7, vcc
	v_bfi_b32 v5, s28, v6, v5
	v_pk_add_f32 v[4:5], v[4:5], 1.0 op_sel_hi:[1,0]
	s_nop 0
	v_pk_mul_f32 v[2:3], v[2:3], v[4:5]
	s_nop 0
	;;#ASMSTART
	v_pk_mul_f32 v[2:3], v[2:3], v[14:15]
	;;#ASMEND
	s_load_dword s18, s[0:1], 0xc
	v_cvt_f16_f32_e32 v2, v2
	v_cvt_f16_f32_e32 v3, v3
	s_waitcnt lgkmcnt(0)
	s_and_b32 s18, s18, 0xffff
	s_lshl_b32 s18, s18, 1
	v_lshl_add_u64 v[0:1], s[18:19], 0, v[0:1]
	v_cmp_le_i64_e32 vcc, s[16:17], v[0:1]
	v_pack_b32_f16 v2, v2, v3
	s_or_b64 s[2:3], vcc, s[2:3]
	buffer_store_dword v2, v10, s[12:15], 0 offen
	s_andn2_b64 exec, exec, s[2:3]
	s_cbranch_execz .LBB587_7
.LBB587_3:                              ; =>This Inner Loop Header: Depth=1
	v_lshlrev_b32_e32 v10, 1, v0
	buffer_load_dword v3, v10, s[4:7], 0 offen sc0 nt
	buffer_load_dword v11, v10, s[8:11], 0 offen sc0 nt
                                        ; implicit-def: $vgpr12
	s_waitcnt vmcnt(1)
	v_cvt_f32_f16_e32 v2, v3
	v_cvt_f32_f16_sdwa v3, v3 dst_sel:DWORD dst_unused:UNUSED_PAD src0_sel:WORD_1
	v_pk_mul_f32 v[4:5], v[2:3], v[2:3]
	s_nop 0
	v_pk_mul_f32 v[4:5], v[4:5], v[2:3]
	s_nop 0
	v_pk_fma_f32 v[4:5], v[4:5], s[20:21], v[2:3] op_sel_hi:[1,0,1]
	s_nop 0
	v_pk_mul_f32 v[4:5], v[4:5], s[22:23] op_sel_hi:[1,0]
	s_nop 0
	v_cmp_nlt_f32_e64 s[24:25], |v4|, s21
	s_and_saveexec_b64 s[30:31], s[24:25]
	s_xor_b64 s[24:25], exec, s[30:31]
	s_cbranch_execz .LBB587_5
; %bb.4:                                ;   in Loop: Header=BB587_3 Depth=1
	v_add_f32_e64 v6, |v4|, |v4|
	v_mul_f32_e32 v7, 0x3fb8aa3b, v6
	v_rndne_f32_e32 v12, v7
	v_sub_f32_e32 v13, v7, v12
	v_fma_f32 v7, v6, s23, -v7
	v_fmac_f32_e32 v7, 0x32a5705f, v6
	v_add_f32_e32 v7, v13, v7
	v_cvt_i32_f32_e32 v12, v12
	v_exp_f32_e32 v7, v7
	v_cmp_ngt_f32_e32 vcc, s26, v6
	v_ldexp_f32 v7, v7, v12
	s_nop 0
	v_cndmask_b32_e32 v7, 0, v7, vcc
	v_cmp_nlt_f32_e32 vcc, s27, v6
	s_nop 1
	v_cndmask_b32_e32 v6, v9, v7, vcc
	v_add_f32_e32 v6, 1.0, v6
	v_rcp_f32_e32 v6, v6
	s_nop 0
	v_fma_f32 v12, v6, -2.0, 1.0
.LBB587_5:                              ;   in Loop: Header=BB587_3 Depth=1
	s_or_saveexec_b64 s[24:25], s[24:25]
	v_pk_mul_f32 v[6:7], v[4:5], v[4:5]
	s_xor_b64 exec, exec, s[24:25]
	s_cbranch_execz .LBB587_2
; %bb.6:                                ;   in Loop: Header=BB587_3 Depth=1
	v_fmamk_f32 v12, v6, 0xbbbac73d, v8
	v_fmaak_f32 v12, v6, v12, 0xbd5c1c4e
	v_fmaak_f32 v12, v6, v12, 0x3e088382
	;; [unrolled: 1-line block ×3, first 2 shown]
	v_mul_f32_e64 v12, |v4|, v12
	v_fma_f32 v12, v6, v12, |v4|
	s_branch .LBB587_2
.LBB587_7:
	s_endpgm
	.section	.rodata,"a",@progbits
	.p2align	6, 0x0
	.amdhsa_kernel _ZN5aiter18act_and_mul_kernelIDF16_DF16_TnPFfRKT_EXadL_ZNS_16gelu_tanh_kernelIDF16_EEfS3_EELi2ELb0ELi3EEEvPT0_PS2_if
		.amdhsa_group_segment_fixed_size 0
		.amdhsa_private_segment_fixed_size 0
		.amdhsa_kernarg_size 280
		.amdhsa_user_sgpr_count 2
		.amdhsa_user_sgpr_dispatch_ptr 0
		.amdhsa_user_sgpr_queue_ptr 0
		.amdhsa_user_sgpr_kernarg_segment_ptr 1
		.amdhsa_user_sgpr_dispatch_id 0
		.amdhsa_user_sgpr_kernarg_preload_length 0
		.amdhsa_user_sgpr_kernarg_preload_offset 0
		.amdhsa_user_sgpr_private_segment_size 0
		.amdhsa_uses_dynamic_stack 0
		.amdhsa_enable_private_segment 0
		.amdhsa_system_sgpr_workgroup_id_x 1
		.amdhsa_system_sgpr_workgroup_id_y 0
		.amdhsa_system_sgpr_workgroup_id_z 0
		.amdhsa_system_sgpr_workgroup_info 0
		.amdhsa_system_vgpr_workitem_id 0
		.amdhsa_next_free_vgpr 16
		.amdhsa_next_free_sgpr 32
		.amdhsa_accum_offset 16
		.amdhsa_reserve_vcc 1
		.amdhsa_float_round_mode_32 0
		.amdhsa_float_round_mode_16_64 0
		.amdhsa_float_denorm_mode_32 3
		.amdhsa_float_denorm_mode_16_64 3
		.amdhsa_dx10_clamp 1
		.amdhsa_ieee_mode 1
		.amdhsa_fp16_overflow 0
		.amdhsa_tg_split 0
		.amdhsa_exception_fp_ieee_invalid_op 0
		.amdhsa_exception_fp_denorm_src 0
		.amdhsa_exception_fp_ieee_div_zero 0
		.amdhsa_exception_fp_ieee_overflow 0
		.amdhsa_exception_fp_ieee_underflow 0
		.amdhsa_exception_fp_ieee_inexact 0
		.amdhsa_exception_int_div_zero 0
	.end_amdhsa_kernel
	.section	.text._ZN5aiter18act_and_mul_kernelIDF16_DF16_TnPFfRKT_EXadL_ZNS_16gelu_tanh_kernelIDF16_EEfS3_EELi2ELb0ELi3EEEvPT0_PS2_if,"axG",@progbits,_ZN5aiter18act_and_mul_kernelIDF16_DF16_TnPFfRKT_EXadL_ZNS_16gelu_tanh_kernelIDF16_EEfS3_EELi2ELb0ELi3EEEvPT0_PS2_if,comdat
.Lfunc_end587:
	.size	_ZN5aiter18act_and_mul_kernelIDF16_DF16_TnPFfRKT_EXadL_ZNS_16gelu_tanh_kernelIDF16_EEfS3_EELi2ELb0ELi3EEEvPT0_PS2_if, .Lfunc_end587-_ZN5aiter18act_and_mul_kernelIDF16_DF16_TnPFfRKT_EXadL_ZNS_16gelu_tanh_kernelIDF16_EEfS3_EELi2ELb0ELi3EEEvPT0_PS2_if
                                        ; -- End function
	.section	.AMDGPU.csdata,"",@progbits
; Kernel info:
; codeLenInByte = 840
; NumSgprs: 38
; NumVgprs: 16
; NumAgprs: 0
; TotalNumVgprs: 16
; ScratchSize: 0
; MemoryBound: 0
; FloatMode: 240
; IeeeMode: 1
; LDSByteSize: 0 bytes/workgroup (compile time only)
; SGPRBlocks: 4
; VGPRBlocks: 1
; NumSGPRsForWavesPerEU: 38
; NumVGPRsForWavesPerEU: 16
; AccumOffset: 16
; Occupancy: 8
; WaveLimiterHint : 0
; COMPUTE_PGM_RSRC2:SCRATCH_EN: 0
; COMPUTE_PGM_RSRC2:USER_SGPR: 2
; COMPUTE_PGM_RSRC2:TRAP_HANDLER: 0
; COMPUTE_PGM_RSRC2:TGID_X_EN: 1
; COMPUTE_PGM_RSRC2:TGID_Y_EN: 0
; COMPUTE_PGM_RSRC2:TGID_Z_EN: 0
; COMPUTE_PGM_RSRC2:TIDIG_COMP_CNT: 0
; COMPUTE_PGM_RSRC3_GFX90A:ACCUM_OFFSET: 3
; COMPUTE_PGM_RSRC3_GFX90A:TG_SPLIT: 0
	.section	.text._ZN5aiter18act_and_mul_kernelIDF16_DF16_TnPFfRKT_EXadL_ZNS_16gelu_tanh_kernelIDF16_EEfS3_EELi1ELb0ELi3EEEvPT0_PS2_if,"axG",@progbits,_ZN5aiter18act_and_mul_kernelIDF16_DF16_TnPFfRKT_EXadL_ZNS_16gelu_tanh_kernelIDF16_EEfS3_EELi1ELb0ELi3EEEvPT0_PS2_if,comdat
	.protected	_ZN5aiter18act_and_mul_kernelIDF16_DF16_TnPFfRKT_EXadL_ZNS_16gelu_tanh_kernelIDF16_EEfS3_EELi1ELb0ELi3EEEvPT0_PS2_if ; -- Begin function _ZN5aiter18act_and_mul_kernelIDF16_DF16_TnPFfRKT_EXadL_ZNS_16gelu_tanh_kernelIDF16_EEfS3_EELi1ELb0ELi3EEEvPT0_PS2_if
	.globl	_ZN5aiter18act_and_mul_kernelIDF16_DF16_TnPFfRKT_EXadL_ZNS_16gelu_tanh_kernelIDF16_EEfS3_EELi1ELb0ELi3EEEvPT0_PS2_if
	.p2align	8
	.type	_ZN5aiter18act_and_mul_kernelIDF16_DF16_TnPFfRKT_EXadL_ZNS_16gelu_tanh_kernelIDF16_EEfS3_EELi1ELb0ELi3EEEvPT0_PS2_if,@function
_ZN5aiter18act_and_mul_kernelIDF16_DF16_TnPFfRKT_EXadL_ZNS_16gelu_tanh_kernelIDF16_EEfS3_EELi1ELb0ELi3EEEvPT0_PS2_if: ; @_ZN5aiter18act_and_mul_kernelIDF16_DF16_TnPFfRKT_EXadL_ZNS_16gelu_tanh_kernelIDF16_EEfS3_EELi1ELb0ELi3EEEvPT0_PS2_if
; %bb.0:
	s_load_dword s12, s[0:1], 0x10
	s_waitcnt lgkmcnt(0)
	v_cmp_gt_i32_e32 vcc, s12, v0
	s_and_saveexec_b64 s[4:5], vcc
	s_cbranch_execz .LBB588_7
; %bb.1:
	s_load_dwordx4 s[8:11], s[0:1], 0x0
	s_load_dword s14, s[0:1], 0x24
	s_ashr_i32 s13, s12, 31
	s_mul_hi_u32 s3, s12, s2
	s_mul_i32 s4, s13, s2
	s_add_i32 s3, s3, s4
	s_mul_i32 s2, s12, s2
	s_lshl_b64 s[6:7], s[2:3], 1
	s_lshl_b64 s[2:3], s[2:3], 2
	s_waitcnt lgkmcnt(0)
	s_add_u32 s0, s10, s2
	s_addc_u32 s1, s11, s3
	s_lshl_b64 s[2:3], s[12:13], 1
	s_add_u32 s4, s0, s2
	s_addc_u32 s5, s1, s3
	s_add_i32 s2, s12, 1
	s_lshr_b32 s3, s2, 31
	s_add_i32 s2, s2, s3
	s_lshl_b32 s2, s2, 1
	s_and_b32 s2, s2, -4
	s_and_b32 s1, s1, 0xffff
	s_and_b32 s5, s5, 0xffff
	s_add_u32 s8, s8, s6
	s_mov_b32 s3, 0x20000
	s_addc_u32 s6, s9, s7
	s_and_b32 s14, s14, 0xffff
                                        ; implicit-def: $vgpr4
                                        ; implicit-def: $vgpr4
	;; [unrolled: 1-line block ×3, first 2 shown]
	s_and_b32 s9, s6, 0xffff
	s_mov_b32 s15, 0
	v_mov_b32_e32 v1, 0
	v_lshlrev_b32_e32 v2, 1, v0
	s_lshl_b32 s20, s14, 1
	s_mov_b64 s[16:17], 0
	s_mov_b32 s6, s2
	s_mov_b32 s7, s3
	;; [unrolled: 1-line block ×7, first 2 shown]
	v_mov_b32_e32 v3, 0x3ca908c9
	s_brev_b32 s26, -2
	v_mov_b32_e32 v4, 0x7f800000
	s_mov_b32 s10, s2
	s_mov_b32 s11, s3
	s_branch .LBB588_3
.LBB588_2:                              ;   in Loop: Header=BB588_3 Depth=1
	s_or_b64 exec, exec, s[18:19]
	v_bfi_b32 v7, s26, v8, v7
	v_mul_f32_e32 v6, 0.5, v6
	v_add_f32_e32 v7, 1.0, v7
	v_mul_f32_e32 v6, v6, v7
	v_lshl_add_u64 v[0:1], v[0:1], 0, s[14:15]
	s_waitcnt vmcnt(0)
	v_fma_mixlo_f16 v5, v6, v5, 0 op_sel_hi:[0,1,0]
	v_cmp_le_i64_e32 vcc, s[12:13], v[0:1]
	buffer_store_short v5, v2, s[8:11], 0 offen
	s_or_b64 s[16:17], vcc, s[16:17]
	v_add_u32_e32 v2, s20, v2
	s_andn2_b64 exec, exec, s[16:17]
	s_cbranch_execz .LBB588_7
.LBB588_3:                              ; =>This Inner Loop Header: Depth=1
	buffer_load_ushort v7, v2, s[0:3], 0 offen sc0 nt
	buffer_load_ushort v5, v2, s[4:7], 0 offen sc0 nt
	s_waitcnt vmcnt(1)
	v_cvt_f32_f16_e32 v6, v7
	v_mul_f32_e32 v8, v6, v6
	v_mul_f32_e32 v8, v8, v6
	v_fma_mix_f32 v7, v8, s21, v7 op_sel_hi:[0,0,1]
	v_mul_f32_e32 v7, 0x3f4c422a, v7
	v_cmp_nlt_f32_e64 s[18:19], |v7|, s22
                                        ; implicit-def: $vgpr8
	s_and_saveexec_b64 s[28:29], s[18:19]
	s_xor_b64 s[18:19], exec, s[28:29]
	s_cbranch_execz .LBB588_5
; %bb.4:                                ;   in Loop: Header=BB588_3 Depth=1
	v_add_f32_e64 v8, |v7|, |v7|
	v_mul_f32_e32 v9, 0x3fb8aa3b, v8
	v_rndne_f32_e32 v10, v9
	v_sub_f32_e32 v11, v9, v10
	v_fma_f32 v9, v8, s23, -v9
	v_fmac_f32_e32 v9, 0x32a5705f, v8
	v_add_f32_e32 v9, v11, v9
	v_cvt_i32_f32_e32 v10, v10
	v_exp_f32_e32 v9, v9
	v_cmp_ngt_f32_e32 vcc, s24, v8
	v_ldexp_f32 v9, v9, v10
	s_nop 0
	v_cndmask_b32_e32 v9, 0, v9, vcc
	v_cmp_nlt_f32_e32 vcc, s25, v8
	s_nop 1
	v_cndmask_b32_e32 v8, v4, v9, vcc
	v_add_f32_e32 v8, 1.0, v8
	v_rcp_f32_e32 v8, v8
	s_nop 0
	v_fma_f32 v8, v8, -2.0, 1.0
.LBB588_5:                              ;   in Loop: Header=BB588_3 Depth=1
	s_andn2_saveexec_b64 s[18:19], s[18:19]
	s_cbranch_execz .LBB588_2
; %bb.6:                                ;   in Loop: Header=BB588_3 Depth=1
	v_mul_f32_e32 v8, v7, v7
	v_fmamk_f32 v9, v8, 0xbbbac73d, v3
	v_fmaak_f32 v9, v8, v9, 0xbd5c1c4e
	v_fmaak_f32 v9, v8, v9, 0x3e088382
	;; [unrolled: 1-line block ×3, first 2 shown]
	v_mul_f32_e64 v9, |v7|, v9
	v_fma_f32 v8, v8, v9, |v7|
	s_branch .LBB588_2
.LBB588_7:
	s_endpgm
	.section	.rodata,"a",@progbits
	.p2align	6, 0x0
	.amdhsa_kernel _ZN5aiter18act_and_mul_kernelIDF16_DF16_TnPFfRKT_EXadL_ZNS_16gelu_tanh_kernelIDF16_EEfS3_EELi1ELb0ELi3EEEvPT0_PS2_if
		.amdhsa_group_segment_fixed_size 0
		.amdhsa_private_segment_fixed_size 0
		.amdhsa_kernarg_size 280
		.amdhsa_user_sgpr_count 2
		.amdhsa_user_sgpr_dispatch_ptr 0
		.amdhsa_user_sgpr_queue_ptr 0
		.amdhsa_user_sgpr_kernarg_segment_ptr 1
		.amdhsa_user_sgpr_dispatch_id 0
		.amdhsa_user_sgpr_kernarg_preload_length 0
		.amdhsa_user_sgpr_kernarg_preload_offset 0
		.amdhsa_user_sgpr_private_segment_size 0
		.amdhsa_uses_dynamic_stack 0
		.amdhsa_enable_private_segment 0
		.amdhsa_system_sgpr_workgroup_id_x 1
		.amdhsa_system_sgpr_workgroup_id_y 0
		.amdhsa_system_sgpr_workgroup_id_z 0
		.amdhsa_system_sgpr_workgroup_info 0
		.amdhsa_system_vgpr_workitem_id 0
		.amdhsa_next_free_vgpr 12
		.amdhsa_next_free_sgpr 30
		.amdhsa_accum_offset 12
		.amdhsa_reserve_vcc 1
		.amdhsa_float_round_mode_32 0
		.amdhsa_float_round_mode_16_64 0
		.amdhsa_float_denorm_mode_32 3
		.amdhsa_float_denorm_mode_16_64 3
		.amdhsa_dx10_clamp 1
		.amdhsa_ieee_mode 1
		.amdhsa_fp16_overflow 0
		.amdhsa_tg_split 0
		.amdhsa_exception_fp_ieee_invalid_op 0
		.amdhsa_exception_fp_denorm_src 0
		.amdhsa_exception_fp_ieee_div_zero 0
		.amdhsa_exception_fp_ieee_overflow 0
		.amdhsa_exception_fp_ieee_underflow 0
		.amdhsa_exception_fp_ieee_inexact 0
		.amdhsa_exception_int_div_zero 0
	.end_amdhsa_kernel
	.section	.text._ZN5aiter18act_and_mul_kernelIDF16_DF16_TnPFfRKT_EXadL_ZNS_16gelu_tanh_kernelIDF16_EEfS3_EELi1ELb0ELi3EEEvPT0_PS2_if,"axG",@progbits,_ZN5aiter18act_and_mul_kernelIDF16_DF16_TnPFfRKT_EXadL_ZNS_16gelu_tanh_kernelIDF16_EEfS3_EELi1ELb0ELi3EEEvPT0_PS2_if,comdat
.Lfunc_end588:
	.size	_ZN5aiter18act_and_mul_kernelIDF16_DF16_TnPFfRKT_EXadL_ZNS_16gelu_tanh_kernelIDF16_EEfS3_EELi1ELb0ELi3EEEvPT0_PS2_if, .Lfunc_end588-_ZN5aiter18act_and_mul_kernelIDF16_DF16_TnPFfRKT_EXadL_ZNS_16gelu_tanh_kernelIDF16_EEfS3_EELi1ELb0ELi3EEEvPT0_PS2_if
                                        ; -- End function
	.section	.AMDGPU.csdata,"",@progbits
; Kernel info:
; codeLenInByte = 572
; NumSgprs: 36
; NumVgprs: 12
; NumAgprs: 0
; TotalNumVgprs: 12
; ScratchSize: 0
; MemoryBound: 0
; FloatMode: 240
; IeeeMode: 1
; LDSByteSize: 0 bytes/workgroup (compile time only)
; SGPRBlocks: 4
; VGPRBlocks: 1
; NumSGPRsForWavesPerEU: 36
; NumVGPRsForWavesPerEU: 12
; AccumOffset: 12
; Occupancy: 8
; WaveLimiterHint : 0
; COMPUTE_PGM_RSRC2:SCRATCH_EN: 0
; COMPUTE_PGM_RSRC2:USER_SGPR: 2
; COMPUTE_PGM_RSRC2:TRAP_HANDLER: 0
; COMPUTE_PGM_RSRC2:TGID_X_EN: 1
; COMPUTE_PGM_RSRC2:TGID_Y_EN: 0
; COMPUTE_PGM_RSRC2:TGID_Z_EN: 0
; COMPUTE_PGM_RSRC2:TIDIG_COMP_CNT: 0
; COMPUTE_PGM_RSRC3_GFX90A:ACCUM_OFFSET: 2
; COMPUTE_PGM_RSRC3_GFX90A:TG_SPLIT: 0
	.section	.text._ZN5aiter18act_and_mul_kernelIttTnPFfRKT_EXadL_ZNS_16gelu_tanh_kernelItEEfS3_EELi32ELb0ELi3EEEvPT0_PS2_if,"axG",@progbits,_ZN5aiter18act_and_mul_kernelIttTnPFfRKT_EXadL_ZNS_16gelu_tanh_kernelItEEfS3_EELi32ELb0ELi3EEEvPT0_PS2_if,comdat
	.protected	_ZN5aiter18act_and_mul_kernelIttTnPFfRKT_EXadL_ZNS_16gelu_tanh_kernelItEEfS3_EELi32ELb0ELi3EEEvPT0_PS2_if ; -- Begin function _ZN5aiter18act_and_mul_kernelIttTnPFfRKT_EXadL_ZNS_16gelu_tanh_kernelItEEfS3_EELi32ELb0ELi3EEEvPT0_PS2_if
	.globl	_ZN5aiter18act_and_mul_kernelIttTnPFfRKT_EXadL_ZNS_16gelu_tanh_kernelItEEfS3_EELi32ELb0ELi3EEEvPT0_PS2_if
	.p2align	8
	.type	_ZN5aiter18act_and_mul_kernelIttTnPFfRKT_EXadL_ZNS_16gelu_tanh_kernelItEEfS3_EELi32ELb0ELi3EEEvPT0_PS2_if,@function
_ZN5aiter18act_and_mul_kernelIttTnPFfRKT_EXadL_ZNS_16gelu_tanh_kernelItEEfS3_EELi32ELb0ELi3EEEvPT0_PS2_if: ; @_ZN5aiter18act_and_mul_kernelIttTnPFfRKT_EXadL_ZNS_16gelu_tanh_kernelItEEfS3_EELi32ELb0ELi3EEEvPT0_PS2_if
; %bb.0:
	s_load_dword s16, s[0:1], 0x10
	v_lshlrev_b32_e32 v32, 5, v0
	s_waitcnt lgkmcnt(0)
	v_cmp_gt_i32_e32 vcc, s16, v32
	s_and_saveexec_b64 s[4:5], vcc
	s_cbranch_execz .LBB589_131
; %bb.1:
	s_load_dwordx4 s[12:15], s[0:1], 0x0
	s_ashr_i32 s17, s16, 31
	s_mul_hi_u32 s3, s16, s2
	s_mul_i32 s4, s17, s2
	s_add_i32 s3, s3, s4
	s_mul_i32 s2, s16, s2
	s_lshl_b64 s[10:11], s[2:3], 1
	s_lshl_b64 s[2:3], s[2:3], 2
	s_waitcnt lgkmcnt(0)
	s_add_u32 s4, s14, s2
	s_addc_u32 s5, s15, s3
	s_lshl_b64 s[2:3], s[16:17], 1
	s_add_u32 s8, s4, s2
	s_addc_u32 s2, s5, s3
	s_add_i32 s3, s16, 1
	s_lshr_b32 s6, s3, 31
	s_add_i32 s3, s3, s6
	s_lshl_b32 s3, s3, 1
	s_and_b32 s6, s3, -4
	s_and_b32 s5, s5, 0xffff
	s_and_b32 s9, s2, 0xffff
	s_add_u32 s12, s12, s10
	s_addc_u32 s2, s13, s11
	s_and_b32 s13, s2, 0xffff
	s_mov_b32 s7, 0x20000
	s_add_u32 s0, s0, 24
	v_mov_b32_e32 v33, 0
	s_addc_u32 s1, s1, 0
	s_mov_b64 s[2:3], 0
	s_mov_b32 s19, 0
	s_mov_b32 s22, 0x3f200000
	;; [unrolled: 1-line block ×5, first 2 shown]
	v_mov_b32_e32 v36, 0x3ca908c9
	s_brev_b32 s26, -2
	s_mov_b32 s27, 0x7060302
	s_mov_b32 s10, s6
	;; [unrolled: 1-line block ×3, first 2 shown]
	v_mov_b32_e32 v37, 0x7f800000
	s_mov_b32 s14, s6
	s_mov_b32 s15, s7
                                        ; implicit-def: $vgpr0
                                        ; implicit-def: $vgpr0
                                        ; implicit-def: $vgpr0
	s_branch .LBB589_3
.LBB589_2:                              ;   in Loop: Header=BB589_3 Depth=1
	s_or_b64 exec, exec, s[20:21]
	v_bfi_b32 v6, s26, v39, v6
	v_mul_f32_e32 v2, 0.5, v2
	v_add_f32_e32 v6, 1.0, v6
	v_mul_f32_e32 v2, v2, v6
	v_bfi_b32 v6, s26, v41, v40
	v_and_b32_e32 v43, 0xffff0000, v3
	v_lshlrev_b32_e32 v42, 16, v3
	v_mul_f32_e32 v3, 0.5, v7
	v_add_f32_e32 v6, 1.0, v6
	v_mul_f32_e32 v3, v3, v6
	;;#ASMSTART
	v_pk_mul_f32 v[2:3], v[2:3], v[42:43]
	;;#ASMEND
	s_load_dword s18, s[0:1], 0xc
	v_perm_b32 v27, v27, v26, s27
	v_perm_b32 v26, v29, v28, s27
	;; [unrolled: 1-line block ×4, first 2 shown]
	s_waitcnt lgkmcnt(0)
	s_and_b32 s18, s18, 0xffff
	s_lshl_b32 s18, s18, 5
	v_lshl_add_u64 v[32:33], s[18:19], 0, v[32:33]
	v_cmp_le_i64_e32 vcc, s[16:17], v[32:33]
	v_perm_b32 v19, v19, v18, s27
	v_perm_b32 v18, v21, v20, s27
	;; [unrolled: 1-line block ×12, first 2 shown]
	s_or_b64 s[2:3], vcc, s[2:3]
	buffer_store_dwordx4 v[24:27], v38, s[12:15], 0 offen
	buffer_store_dwordx4 v[16:19], v38, s[12:15], 16 offen
	;; [unrolled: 1-line block ×4, first 2 shown]
	s_andn2_b64 exec, exec, s[2:3]
	s_cbranch_execz .LBB589_131
.LBB589_3:                              ; =>This Inner Loop Header: Depth=1
	v_lshlrev_b32_e32 v38, 1, v32
	buffer_load_dwordx4 v[28:31], v38, s[4:7], 0 offen sc0 nt
	buffer_load_dwordx4 v[20:23], v38, s[4:7], 16 offen sc0 nt
	;; [unrolled: 1-line block ×8, first 2 shown]
                                        ; implicit-def: $vgpr39
	s_waitcnt vmcnt(7)
	v_lshlrev_b32_e32 v34, 16, v28
	v_mul_f32_e32 v35, v34, v34
	v_mul_f32_e32 v35, v35, v34
	v_fmamk_f32 v35, v35, 0x3d372713, v34
	v_mul_f32_e32 v35, 0x3f4c422a, v35
	v_cmp_nlt_f32_e64 s[20:21], |v35|, s22
	s_and_saveexec_b64 s[28:29], s[20:21]
	s_xor_b64 s[20:21], exec, s[28:29]
	s_cbranch_execz .LBB589_5
; %bb.4:                                ;   in Loop: Header=BB589_3 Depth=1
	v_add_f32_e64 v39, |v35|, |v35|
	v_mul_f32_e32 v40, 0x3fb8aa3b, v39
	v_rndne_f32_e32 v41, v40
	v_sub_f32_e32 v42, v40, v41
	v_fma_f32 v40, v39, s23, -v40
	v_fmac_f32_e32 v40, 0x32a5705f, v39
	v_add_f32_e32 v40, v42, v40
	v_cvt_i32_f32_e32 v41, v41
	v_exp_f32_e32 v40, v40
	v_cmp_ngt_f32_e32 vcc, s24, v39
	v_ldexp_f32 v40, v40, v41
	s_nop 0
	v_cndmask_b32_e32 v40, 0, v40, vcc
	v_cmp_nlt_f32_e32 vcc, s25, v39
	s_nop 1
	v_cndmask_b32_e32 v39, v37, v40, vcc
	v_add_f32_e32 v39, 1.0, v39
	v_rcp_f32_e32 v39, v39
	s_nop 0
	v_fma_f32 v39, v39, -2.0, 1.0
.LBB589_5:                              ;   in Loop: Header=BB589_3 Depth=1
	s_andn2_saveexec_b64 s[20:21], s[20:21]
; %bb.6:                                ;   in Loop: Header=BB589_3 Depth=1
	v_mul_f32_e32 v39, v35, v35
	v_fmamk_f32 v40, v39, 0xbbbac73d, v36
	v_fmaak_f32 v40, v39, v40, 0xbd5c1c4e
	v_fmaak_f32 v40, v39, v40, 0x3e088382
	;; [unrolled: 1-line block ×3, first 2 shown]
	v_mul_f32_e64 v40, |v35|, v40
	v_fma_f32 v39, v39, v40, |v35|
; %bb.7:                                ;   in Loop: Header=BB589_3 Depth=1
	s_or_b64 exec, exec, s[20:21]
	v_and_b32_e32 v28, 0xffff0000, v28
	v_mul_f32_e32 v40, v28, v28
	v_mul_f32_e32 v40, v40, v28
	v_fmamk_f32 v40, v40, 0x3d372713, v28
	v_mul_f32_e32 v40, 0x3f4c422a, v40
	v_cmp_nlt_f32_e64 s[20:21], |v40|, s22
                                        ; implicit-def: $vgpr41
	s_and_saveexec_b64 s[28:29], s[20:21]
	s_xor_b64 s[20:21], exec, s[28:29]
	s_cbranch_execz .LBB589_9
; %bb.8:                                ;   in Loop: Header=BB589_3 Depth=1
	v_add_f32_e64 v41, |v40|, |v40|
	v_mul_f32_e32 v42, 0x3fb8aa3b, v41
	v_rndne_f32_e32 v43, v42
	v_sub_f32_e32 v44, v42, v43
	v_fma_f32 v42, v41, s23, -v42
	v_fmac_f32_e32 v42, 0x32a5705f, v41
	v_add_f32_e32 v42, v44, v42
	v_cvt_i32_f32_e32 v43, v43
	v_exp_f32_e32 v42, v42
	v_cmp_ngt_f32_e32 vcc, s24, v41
	v_ldexp_f32 v42, v42, v43
	s_nop 0
	v_cndmask_b32_e32 v42, 0, v42, vcc
	v_cmp_nlt_f32_e32 vcc, s25, v41
	s_nop 1
	v_cndmask_b32_e32 v41, v37, v42, vcc
	v_add_f32_e32 v41, 1.0, v41
	v_rcp_f32_e32 v41, v41
	s_nop 0
	v_fma_f32 v41, v41, -2.0, 1.0
.LBB589_9:                              ;   in Loop: Header=BB589_3 Depth=1
	s_andn2_saveexec_b64 s[20:21], s[20:21]
; %bb.10:                               ;   in Loop: Header=BB589_3 Depth=1
	v_mul_f32_e32 v41, v40, v40
	v_fmamk_f32 v42, v41, 0xbbbac73d, v36
	v_fmaak_f32 v42, v41, v42, 0xbd5c1c4e
	v_fmaak_f32 v42, v41, v42, 0x3e088382
	;; [unrolled: 1-line block ×3, first 2 shown]
	v_mul_f32_e64 v42, |v40|, v42
	v_fma_f32 v41, v41, v42, |v40|
; %bb.11:                               ;   in Loop: Header=BB589_3 Depth=1
	s_or_b64 exec, exec, s[20:21]
	v_bfi_b32 v35, s26, v39, v35
	s_waitcnt vmcnt(3)
	v_and_b32_e32 v43, 0xffff0000, v24
	v_lshlrev_b32_e32 v42, 16, v24
	v_mul_f32_e32 v24, 0.5, v28
	v_bfi_b32 v28, s26, v41, v40
	v_mul_f32_e32 v34, 0.5, v34
	v_add_f32_e32 v35, 1.0, v35
	v_add_f32_e32 v28, 1.0, v28
	v_mul_f32_e32 v34, v34, v35
	v_mul_f32_e32 v35, v24, v28
	v_lshlrev_b32_e32 v24, 16, v29
	v_mul_f32_e32 v28, v24, v24
	v_mul_f32_e32 v28, v28, v24
	v_fmamk_f32 v28, v28, 0x3d372713, v24
	v_mul_f32_e32 v28, 0x3f4c422a, v28
	v_cmp_nlt_f32_e64 s[20:21], |v28|, s22
	;;#ASMSTART
	v_pk_mul_f32 v[34:35], v[34:35], v[42:43]
	;;#ASMEND
                                        ; implicit-def: $vgpr39
	s_and_saveexec_b64 s[28:29], s[20:21]
	s_xor_b64 s[20:21], exec, s[28:29]
	s_cbranch_execz .LBB589_13
; %bb.12:                               ;   in Loop: Header=BB589_3 Depth=1
	v_add_f32_e64 v39, |v28|, |v28|
	v_mul_f32_e32 v40, 0x3fb8aa3b, v39
	v_rndne_f32_e32 v41, v40
	v_sub_f32_e32 v42, v40, v41
	v_fma_f32 v40, v39, s23, -v40
	v_fmac_f32_e32 v40, 0x32a5705f, v39
	v_add_f32_e32 v40, v42, v40
	v_cvt_i32_f32_e32 v41, v41
	v_exp_f32_e32 v40, v40
	v_cmp_ngt_f32_e32 vcc, s24, v39
	v_ldexp_f32 v40, v40, v41
	s_nop 0
	v_cndmask_b32_e32 v40, 0, v40, vcc
	v_cmp_nlt_f32_e32 vcc, s25, v39
	s_nop 1
	v_cndmask_b32_e32 v39, v37, v40, vcc
	v_add_f32_e32 v39, 1.0, v39
	v_rcp_f32_e32 v39, v39
	s_nop 0
	v_fma_f32 v39, v39, -2.0, 1.0
.LBB589_13:                             ;   in Loop: Header=BB589_3 Depth=1
	s_andn2_saveexec_b64 s[20:21], s[20:21]
; %bb.14:                               ;   in Loop: Header=BB589_3 Depth=1
	v_mul_f32_e32 v39, v28, v28
	v_fmamk_f32 v40, v39, 0xbbbac73d, v36
	v_fmaak_f32 v40, v39, v40, 0xbd5c1c4e
	v_fmaak_f32 v40, v39, v40, 0x3e088382
	;; [unrolled: 1-line block ×3, first 2 shown]
	v_mul_f32_e64 v40, |v28|, v40
	v_fma_f32 v39, v39, v40, |v28|
; %bb.15:                               ;   in Loop: Header=BB589_3 Depth=1
	s_or_b64 exec, exec, s[20:21]
	v_and_b32_e32 v29, 0xffff0000, v29
	v_mul_f32_e32 v40, v29, v29
	v_mul_f32_e32 v40, v40, v29
	v_fmamk_f32 v40, v40, 0x3d372713, v29
	v_mul_f32_e32 v40, 0x3f4c422a, v40
	v_cmp_nlt_f32_e64 s[20:21], |v40|, s22
                                        ; implicit-def: $vgpr41
	s_and_saveexec_b64 s[28:29], s[20:21]
	s_xor_b64 s[20:21], exec, s[28:29]
	s_cbranch_execz .LBB589_17
; %bb.16:                               ;   in Loop: Header=BB589_3 Depth=1
	v_add_f32_e64 v41, |v40|, |v40|
	v_mul_f32_e32 v42, 0x3fb8aa3b, v41
	v_rndne_f32_e32 v43, v42
	v_sub_f32_e32 v44, v42, v43
	v_fma_f32 v42, v41, s23, -v42
	v_fmac_f32_e32 v42, 0x32a5705f, v41
	v_add_f32_e32 v42, v44, v42
	v_cvt_i32_f32_e32 v43, v43
	v_exp_f32_e32 v42, v42
	v_cmp_ngt_f32_e32 vcc, s24, v41
	v_ldexp_f32 v42, v42, v43
	s_nop 0
	v_cndmask_b32_e32 v42, 0, v42, vcc
	v_cmp_nlt_f32_e32 vcc, s25, v41
	s_nop 1
	v_cndmask_b32_e32 v41, v37, v42, vcc
	v_add_f32_e32 v41, 1.0, v41
	v_rcp_f32_e32 v41, v41
	s_nop 0
	v_fma_f32 v41, v41, -2.0, 1.0
.LBB589_17:                             ;   in Loop: Header=BB589_3 Depth=1
	s_andn2_saveexec_b64 s[20:21], s[20:21]
; %bb.18:                               ;   in Loop: Header=BB589_3 Depth=1
	v_mul_f32_e32 v41, v40, v40
	v_fmamk_f32 v42, v41, 0xbbbac73d, v36
	v_fmaak_f32 v42, v41, v42, 0xbd5c1c4e
	v_fmaak_f32 v42, v41, v42, 0x3e088382
	;; [unrolled: 1-line block ×3, first 2 shown]
	v_mul_f32_e64 v42, |v40|, v42
	v_fma_f32 v41, v41, v42, |v40|
; %bb.19:                               ;   in Loop: Header=BB589_3 Depth=1
	s_or_b64 exec, exec, s[20:21]
	v_bfi_b32 v28, s26, v39, v28
	v_mul_f32_e32 v24, 0.5, v24
	v_add_f32_e32 v28, 1.0, v28
	v_mul_f32_e32 v24, v24, v28
	v_bfi_b32 v28, s26, v41, v40
	v_and_b32_e32 v43, 0xffff0000, v25
	v_lshlrev_b32_e32 v42, 16, v25
	v_mul_f32_e32 v25, 0.5, v29
	v_add_f32_e32 v28, 1.0, v28
	v_mul_f32_e32 v25, v25, v28
	v_lshlrev_b32_e32 v28, 16, v30
	v_mul_f32_e32 v29, v28, v28
	v_mul_f32_e32 v29, v29, v28
	v_fmamk_f32 v29, v29, 0x3d372713, v28
	v_mul_f32_e32 v29, 0x3f4c422a, v29
	v_cmp_nlt_f32_e64 s[20:21], |v29|, s22
	;;#ASMSTART
	v_pk_mul_f32 v[24:25], v[24:25], v[42:43]
	;;#ASMEND
                                        ; implicit-def: $vgpr39
	s_and_saveexec_b64 s[28:29], s[20:21]
	s_xor_b64 s[20:21], exec, s[28:29]
	s_cbranch_execz .LBB589_21
; %bb.20:                               ;   in Loop: Header=BB589_3 Depth=1
	v_add_f32_e64 v39, |v29|, |v29|
	v_mul_f32_e32 v40, 0x3fb8aa3b, v39
	v_rndne_f32_e32 v41, v40
	v_sub_f32_e32 v42, v40, v41
	v_fma_f32 v40, v39, s23, -v40
	v_fmac_f32_e32 v40, 0x32a5705f, v39
	v_add_f32_e32 v40, v42, v40
	v_cvt_i32_f32_e32 v41, v41
	v_exp_f32_e32 v40, v40
	v_cmp_ngt_f32_e32 vcc, s24, v39
	v_ldexp_f32 v40, v40, v41
	s_nop 0
	v_cndmask_b32_e32 v40, 0, v40, vcc
	v_cmp_nlt_f32_e32 vcc, s25, v39
	s_nop 1
	v_cndmask_b32_e32 v39, v37, v40, vcc
	v_add_f32_e32 v39, 1.0, v39
	v_rcp_f32_e32 v39, v39
	s_nop 0
	v_fma_f32 v39, v39, -2.0, 1.0
.LBB589_21:                             ;   in Loop: Header=BB589_3 Depth=1
	s_andn2_saveexec_b64 s[20:21], s[20:21]
; %bb.22:                               ;   in Loop: Header=BB589_3 Depth=1
	v_mul_f32_e32 v39, v29, v29
	v_fmamk_f32 v40, v39, 0xbbbac73d, v36
	v_fmaak_f32 v40, v39, v40, 0xbd5c1c4e
	v_fmaak_f32 v40, v39, v40, 0x3e088382
	;; [unrolled: 1-line block ×3, first 2 shown]
	v_mul_f32_e64 v40, |v29|, v40
	v_fma_f32 v39, v39, v40, |v29|
; %bb.23:                               ;   in Loop: Header=BB589_3 Depth=1
	s_or_b64 exec, exec, s[20:21]
	v_and_b32_e32 v30, 0xffff0000, v30
	v_mul_f32_e32 v40, v30, v30
	v_mul_f32_e32 v40, v40, v30
	v_fmamk_f32 v40, v40, 0x3d372713, v30
	v_mul_f32_e32 v40, 0x3f4c422a, v40
	v_cmp_nlt_f32_e64 s[20:21], |v40|, s22
                                        ; implicit-def: $vgpr41
	s_and_saveexec_b64 s[28:29], s[20:21]
	s_xor_b64 s[20:21], exec, s[28:29]
	s_cbranch_execz .LBB589_25
; %bb.24:                               ;   in Loop: Header=BB589_3 Depth=1
	v_add_f32_e64 v41, |v40|, |v40|
	v_mul_f32_e32 v42, 0x3fb8aa3b, v41
	v_rndne_f32_e32 v43, v42
	v_sub_f32_e32 v44, v42, v43
	v_fma_f32 v42, v41, s23, -v42
	v_fmac_f32_e32 v42, 0x32a5705f, v41
	v_add_f32_e32 v42, v44, v42
	v_cvt_i32_f32_e32 v43, v43
	v_exp_f32_e32 v42, v42
	v_cmp_ngt_f32_e32 vcc, s24, v41
	v_ldexp_f32 v42, v42, v43
	s_nop 0
	v_cndmask_b32_e32 v42, 0, v42, vcc
	v_cmp_nlt_f32_e32 vcc, s25, v41
	s_nop 1
	v_cndmask_b32_e32 v41, v37, v42, vcc
	v_add_f32_e32 v41, 1.0, v41
	v_rcp_f32_e32 v41, v41
	s_nop 0
	v_fma_f32 v41, v41, -2.0, 1.0
.LBB589_25:                             ;   in Loop: Header=BB589_3 Depth=1
	s_andn2_saveexec_b64 s[20:21], s[20:21]
; %bb.26:                               ;   in Loop: Header=BB589_3 Depth=1
	v_mul_f32_e32 v41, v40, v40
	v_fmamk_f32 v42, v41, 0xbbbac73d, v36
	v_fmaak_f32 v42, v41, v42, 0xbd5c1c4e
	v_fmaak_f32 v42, v41, v42, 0x3e088382
	;; [unrolled: 1-line block ×3, first 2 shown]
	v_mul_f32_e64 v42, |v40|, v42
	v_fma_f32 v41, v41, v42, |v40|
; %bb.27:                               ;   in Loop: Header=BB589_3 Depth=1
	s_or_b64 exec, exec, s[20:21]
	v_bfi_b32 v29, s26, v39, v29
	v_mul_f32_e32 v28, 0.5, v28
	v_add_f32_e32 v29, 1.0, v29
	v_mul_f32_e32 v28, v28, v29
	v_bfi_b32 v29, s26, v41, v40
	v_and_b32_e32 v43, 0xffff0000, v26
	v_lshlrev_b32_e32 v42, 16, v26
	v_mul_f32_e32 v26, 0.5, v30
	v_add_f32_e32 v29, 1.0, v29
	v_mul_f32_e32 v29, v26, v29
	v_lshlrev_b32_e32 v26, 16, v31
	v_mul_f32_e32 v30, v26, v26
	v_mul_f32_e32 v30, v30, v26
	v_fmamk_f32 v30, v30, 0x3d372713, v26
	v_mul_f32_e32 v30, 0x3f4c422a, v30
	v_cmp_nlt_f32_e64 s[20:21], |v30|, s22
	;;#ASMSTART
	v_pk_mul_f32 v[28:29], v[28:29], v[42:43]
	;;#ASMEND
                                        ; implicit-def: $vgpr39
	s_and_saveexec_b64 s[28:29], s[20:21]
	s_xor_b64 s[20:21], exec, s[28:29]
	s_cbranch_execz .LBB589_29
; %bb.28:                               ;   in Loop: Header=BB589_3 Depth=1
	v_add_f32_e64 v39, |v30|, |v30|
	v_mul_f32_e32 v40, 0x3fb8aa3b, v39
	v_rndne_f32_e32 v41, v40
	v_sub_f32_e32 v42, v40, v41
	v_fma_f32 v40, v39, s23, -v40
	v_fmac_f32_e32 v40, 0x32a5705f, v39
	v_add_f32_e32 v40, v42, v40
	v_cvt_i32_f32_e32 v41, v41
	v_exp_f32_e32 v40, v40
	v_cmp_ngt_f32_e32 vcc, s24, v39
	v_ldexp_f32 v40, v40, v41
	s_nop 0
	v_cndmask_b32_e32 v40, 0, v40, vcc
	v_cmp_nlt_f32_e32 vcc, s25, v39
	s_nop 1
	v_cndmask_b32_e32 v39, v37, v40, vcc
	v_add_f32_e32 v39, 1.0, v39
	v_rcp_f32_e32 v39, v39
	s_nop 0
	v_fma_f32 v39, v39, -2.0, 1.0
.LBB589_29:                             ;   in Loop: Header=BB589_3 Depth=1
	s_andn2_saveexec_b64 s[20:21], s[20:21]
; %bb.30:                               ;   in Loop: Header=BB589_3 Depth=1
	v_mul_f32_e32 v39, v30, v30
	v_fmamk_f32 v40, v39, 0xbbbac73d, v36
	v_fmaak_f32 v40, v39, v40, 0xbd5c1c4e
	v_fmaak_f32 v40, v39, v40, 0x3e088382
	v_fmaak_f32 v40, v39, v40, 0xbeaaaa99
	v_mul_f32_e64 v40, |v30|, v40
	v_fma_f32 v39, v39, v40, |v30|
; %bb.31:                               ;   in Loop: Header=BB589_3 Depth=1
	s_or_b64 exec, exec, s[20:21]
	v_and_b32_e32 v31, 0xffff0000, v31
	v_mul_f32_e32 v40, v31, v31
	v_mul_f32_e32 v40, v40, v31
	v_fmamk_f32 v40, v40, 0x3d372713, v31
	v_mul_f32_e32 v40, 0x3f4c422a, v40
	v_cmp_nlt_f32_e64 s[20:21], |v40|, s22
                                        ; implicit-def: $vgpr41
	s_and_saveexec_b64 s[28:29], s[20:21]
	s_xor_b64 s[20:21], exec, s[28:29]
	s_cbranch_execz .LBB589_33
; %bb.32:                               ;   in Loop: Header=BB589_3 Depth=1
	v_add_f32_e64 v41, |v40|, |v40|
	v_mul_f32_e32 v42, 0x3fb8aa3b, v41
	v_rndne_f32_e32 v43, v42
	v_sub_f32_e32 v44, v42, v43
	v_fma_f32 v42, v41, s23, -v42
	v_fmac_f32_e32 v42, 0x32a5705f, v41
	v_add_f32_e32 v42, v44, v42
	v_cvt_i32_f32_e32 v43, v43
	v_exp_f32_e32 v42, v42
	v_cmp_ngt_f32_e32 vcc, s24, v41
	v_ldexp_f32 v42, v42, v43
	s_nop 0
	v_cndmask_b32_e32 v42, 0, v42, vcc
	v_cmp_nlt_f32_e32 vcc, s25, v41
	s_nop 1
	v_cndmask_b32_e32 v41, v37, v42, vcc
	v_add_f32_e32 v41, 1.0, v41
	v_rcp_f32_e32 v41, v41
	s_nop 0
	v_fma_f32 v41, v41, -2.0, 1.0
.LBB589_33:                             ;   in Loop: Header=BB589_3 Depth=1
	s_andn2_saveexec_b64 s[20:21], s[20:21]
; %bb.34:                               ;   in Loop: Header=BB589_3 Depth=1
	v_mul_f32_e32 v41, v40, v40
	v_fmamk_f32 v42, v41, 0xbbbac73d, v36
	v_fmaak_f32 v42, v41, v42, 0xbd5c1c4e
	v_fmaak_f32 v42, v41, v42, 0x3e088382
	;; [unrolled: 1-line block ×3, first 2 shown]
	v_mul_f32_e64 v42, |v40|, v42
	v_fma_f32 v41, v41, v42, |v40|
; %bb.35:                               ;   in Loop: Header=BB589_3 Depth=1
	s_or_b64 exec, exec, s[20:21]
	v_bfi_b32 v30, s26, v39, v30
	v_mul_f32_e32 v26, 0.5, v26
	v_add_f32_e32 v30, 1.0, v30
	v_mul_f32_e32 v26, v26, v30
	v_bfi_b32 v30, s26, v41, v40
	v_and_b32_e32 v43, 0xffff0000, v27
	v_lshlrev_b32_e32 v42, 16, v27
	v_mul_f32_e32 v27, 0.5, v31
	v_add_f32_e32 v30, 1.0, v30
	v_mul_f32_e32 v27, v27, v30
	v_lshlrev_b32_e32 v30, 16, v20
	v_mul_f32_e32 v31, v30, v30
	v_mul_f32_e32 v31, v31, v30
	v_fmamk_f32 v31, v31, 0x3d372713, v30
	v_mul_f32_e32 v31, 0x3f4c422a, v31
	v_cmp_nlt_f32_e64 s[20:21], |v31|, s22
	;;#ASMSTART
	v_pk_mul_f32 v[26:27], v[26:27], v[42:43]
	;;#ASMEND
                                        ; implicit-def: $vgpr39
	s_and_saveexec_b64 s[28:29], s[20:21]
	s_xor_b64 s[20:21], exec, s[28:29]
	s_cbranch_execz .LBB589_37
; %bb.36:                               ;   in Loop: Header=BB589_3 Depth=1
	v_add_f32_e64 v39, |v31|, |v31|
	v_mul_f32_e32 v40, 0x3fb8aa3b, v39
	v_rndne_f32_e32 v41, v40
	v_sub_f32_e32 v42, v40, v41
	v_fma_f32 v40, v39, s23, -v40
	v_fmac_f32_e32 v40, 0x32a5705f, v39
	v_add_f32_e32 v40, v42, v40
	v_cvt_i32_f32_e32 v41, v41
	v_exp_f32_e32 v40, v40
	v_cmp_ngt_f32_e32 vcc, s24, v39
	v_ldexp_f32 v40, v40, v41
	s_nop 0
	v_cndmask_b32_e32 v40, 0, v40, vcc
	v_cmp_nlt_f32_e32 vcc, s25, v39
	s_nop 1
	v_cndmask_b32_e32 v39, v37, v40, vcc
	v_add_f32_e32 v39, 1.0, v39
	v_rcp_f32_e32 v39, v39
	s_nop 0
	v_fma_f32 v39, v39, -2.0, 1.0
.LBB589_37:                             ;   in Loop: Header=BB589_3 Depth=1
	s_andn2_saveexec_b64 s[20:21], s[20:21]
; %bb.38:                               ;   in Loop: Header=BB589_3 Depth=1
	v_mul_f32_e32 v39, v31, v31
	v_fmamk_f32 v40, v39, 0xbbbac73d, v36
	v_fmaak_f32 v40, v39, v40, 0xbd5c1c4e
	v_fmaak_f32 v40, v39, v40, 0x3e088382
	;; [unrolled: 1-line block ×3, first 2 shown]
	v_mul_f32_e64 v40, |v31|, v40
	v_fma_f32 v39, v39, v40, |v31|
; %bb.39:                               ;   in Loop: Header=BB589_3 Depth=1
	s_or_b64 exec, exec, s[20:21]
	v_and_b32_e32 v20, 0xffff0000, v20
	v_mul_f32_e32 v40, v20, v20
	v_mul_f32_e32 v40, v40, v20
	v_fmamk_f32 v40, v40, 0x3d372713, v20
	v_mul_f32_e32 v40, 0x3f4c422a, v40
	v_cmp_nlt_f32_e64 s[20:21], |v40|, s22
                                        ; implicit-def: $vgpr41
	s_and_saveexec_b64 s[28:29], s[20:21]
	s_xor_b64 s[20:21], exec, s[28:29]
	s_cbranch_execz .LBB589_41
; %bb.40:                               ;   in Loop: Header=BB589_3 Depth=1
	v_add_f32_e64 v41, |v40|, |v40|
	v_mul_f32_e32 v42, 0x3fb8aa3b, v41
	v_rndne_f32_e32 v43, v42
	v_sub_f32_e32 v44, v42, v43
	v_fma_f32 v42, v41, s23, -v42
	v_fmac_f32_e32 v42, 0x32a5705f, v41
	v_add_f32_e32 v42, v44, v42
	v_cvt_i32_f32_e32 v43, v43
	v_exp_f32_e32 v42, v42
	v_cmp_ngt_f32_e32 vcc, s24, v41
	v_ldexp_f32 v42, v42, v43
	s_nop 0
	v_cndmask_b32_e32 v42, 0, v42, vcc
	v_cmp_nlt_f32_e32 vcc, s25, v41
	s_nop 1
	v_cndmask_b32_e32 v41, v37, v42, vcc
	v_add_f32_e32 v41, 1.0, v41
	v_rcp_f32_e32 v41, v41
	s_nop 0
	v_fma_f32 v41, v41, -2.0, 1.0
.LBB589_41:                             ;   in Loop: Header=BB589_3 Depth=1
	s_andn2_saveexec_b64 s[20:21], s[20:21]
; %bb.42:                               ;   in Loop: Header=BB589_3 Depth=1
	v_mul_f32_e32 v41, v40, v40
	v_fmamk_f32 v42, v41, 0xbbbac73d, v36
	v_fmaak_f32 v42, v41, v42, 0xbd5c1c4e
	v_fmaak_f32 v42, v41, v42, 0x3e088382
	;; [unrolled: 1-line block ×3, first 2 shown]
	v_mul_f32_e64 v42, |v40|, v42
	v_fma_f32 v41, v41, v42, |v40|
; %bb.43:                               ;   in Loop: Header=BB589_3 Depth=1
	s_or_b64 exec, exec, s[20:21]
	v_bfi_b32 v31, s26, v39, v31
	s_waitcnt vmcnt(2)
	v_and_b32_e32 v43, 0xffff0000, v16
	v_lshlrev_b32_e32 v42, 16, v16
	v_mul_f32_e32 v16, 0.5, v20
	v_bfi_b32 v20, s26, v41, v40
	v_mul_f32_e32 v30, 0.5, v30
	v_add_f32_e32 v31, 1.0, v31
	v_add_f32_e32 v20, 1.0, v20
	v_mul_f32_e32 v30, v30, v31
	v_mul_f32_e32 v31, v16, v20
	v_lshlrev_b32_e32 v16, 16, v21
	v_mul_f32_e32 v20, v16, v16
	v_mul_f32_e32 v20, v20, v16
	v_fmamk_f32 v20, v20, 0x3d372713, v16
	v_mul_f32_e32 v20, 0x3f4c422a, v20
	v_cmp_nlt_f32_e64 s[20:21], |v20|, s22
	;;#ASMSTART
	v_pk_mul_f32 v[30:31], v[30:31], v[42:43]
	;;#ASMEND
                                        ; implicit-def: $vgpr39
	s_and_saveexec_b64 s[28:29], s[20:21]
	s_xor_b64 s[20:21], exec, s[28:29]
	s_cbranch_execz .LBB589_45
; %bb.44:                               ;   in Loop: Header=BB589_3 Depth=1
	v_add_f32_e64 v39, |v20|, |v20|
	v_mul_f32_e32 v40, 0x3fb8aa3b, v39
	v_rndne_f32_e32 v41, v40
	v_sub_f32_e32 v42, v40, v41
	v_fma_f32 v40, v39, s23, -v40
	v_fmac_f32_e32 v40, 0x32a5705f, v39
	v_add_f32_e32 v40, v42, v40
	v_cvt_i32_f32_e32 v41, v41
	v_exp_f32_e32 v40, v40
	v_cmp_ngt_f32_e32 vcc, s24, v39
	v_ldexp_f32 v40, v40, v41
	s_nop 0
	v_cndmask_b32_e32 v40, 0, v40, vcc
	v_cmp_nlt_f32_e32 vcc, s25, v39
	s_nop 1
	v_cndmask_b32_e32 v39, v37, v40, vcc
	v_add_f32_e32 v39, 1.0, v39
	v_rcp_f32_e32 v39, v39
	s_nop 0
	v_fma_f32 v39, v39, -2.0, 1.0
.LBB589_45:                             ;   in Loop: Header=BB589_3 Depth=1
	s_andn2_saveexec_b64 s[20:21], s[20:21]
; %bb.46:                               ;   in Loop: Header=BB589_3 Depth=1
	v_mul_f32_e32 v39, v20, v20
	v_fmamk_f32 v40, v39, 0xbbbac73d, v36
	v_fmaak_f32 v40, v39, v40, 0xbd5c1c4e
	v_fmaak_f32 v40, v39, v40, 0x3e088382
	;; [unrolled: 1-line block ×3, first 2 shown]
	v_mul_f32_e64 v40, |v20|, v40
	v_fma_f32 v39, v39, v40, |v20|
; %bb.47:                               ;   in Loop: Header=BB589_3 Depth=1
	s_or_b64 exec, exec, s[20:21]
	v_and_b32_e32 v21, 0xffff0000, v21
	v_mul_f32_e32 v40, v21, v21
	v_mul_f32_e32 v40, v40, v21
	v_fmamk_f32 v40, v40, 0x3d372713, v21
	v_mul_f32_e32 v40, 0x3f4c422a, v40
	v_cmp_nlt_f32_e64 s[20:21], |v40|, s22
                                        ; implicit-def: $vgpr41
	s_and_saveexec_b64 s[28:29], s[20:21]
	s_xor_b64 s[20:21], exec, s[28:29]
	s_cbranch_execz .LBB589_49
; %bb.48:                               ;   in Loop: Header=BB589_3 Depth=1
	v_add_f32_e64 v41, |v40|, |v40|
	v_mul_f32_e32 v42, 0x3fb8aa3b, v41
	v_rndne_f32_e32 v43, v42
	v_sub_f32_e32 v44, v42, v43
	v_fma_f32 v42, v41, s23, -v42
	v_fmac_f32_e32 v42, 0x32a5705f, v41
	v_add_f32_e32 v42, v44, v42
	v_cvt_i32_f32_e32 v43, v43
	v_exp_f32_e32 v42, v42
	v_cmp_ngt_f32_e32 vcc, s24, v41
	v_ldexp_f32 v42, v42, v43
	s_nop 0
	v_cndmask_b32_e32 v42, 0, v42, vcc
	v_cmp_nlt_f32_e32 vcc, s25, v41
	s_nop 1
	v_cndmask_b32_e32 v41, v37, v42, vcc
	v_add_f32_e32 v41, 1.0, v41
	v_rcp_f32_e32 v41, v41
	s_nop 0
	v_fma_f32 v41, v41, -2.0, 1.0
.LBB589_49:                             ;   in Loop: Header=BB589_3 Depth=1
	s_andn2_saveexec_b64 s[20:21], s[20:21]
; %bb.50:                               ;   in Loop: Header=BB589_3 Depth=1
	v_mul_f32_e32 v41, v40, v40
	v_fmamk_f32 v42, v41, 0xbbbac73d, v36
	v_fmaak_f32 v42, v41, v42, 0xbd5c1c4e
	v_fmaak_f32 v42, v41, v42, 0x3e088382
	;; [unrolled: 1-line block ×3, first 2 shown]
	v_mul_f32_e64 v42, |v40|, v42
	v_fma_f32 v41, v41, v42, |v40|
; %bb.51:                               ;   in Loop: Header=BB589_3 Depth=1
	s_or_b64 exec, exec, s[20:21]
	v_bfi_b32 v20, s26, v39, v20
	v_mul_f32_e32 v16, 0.5, v16
	v_add_f32_e32 v20, 1.0, v20
	v_mul_f32_e32 v16, v16, v20
	v_bfi_b32 v20, s26, v41, v40
	v_and_b32_e32 v43, 0xffff0000, v17
	v_lshlrev_b32_e32 v42, 16, v17
	v_mul_f32_e32 v17, 0.5, v21
	v_add_f32_e32 v20, 1.0, v20
	v_mul_f32_e32 v17, v17, v20
	v_lshlrev_b32_e32 v20, 16, v22
	v_mul_f32_e32 v21, v20, v20
	v_mul_f32_e32 v21, v21, v20
	v_fmamk_f32 v21, v21, 0x3d372713, v20
	v_mul_f32_e32 v21, 0x3f4c422a, v21
	v_cmp_nlt_f32_e64 s[20:21], |v21|, s22
	;;#ASMSTART
	v_pk_mul_f32 v[16:17], v[16:17], v[42:43]
	;;#ASMEND
                                        ; implicit-def: $vgpr39
	s_and_saveexec_b64 s[28:29], s[20:21]
	s_xor_b64 s[20:21], exec, s[28:29]
	s_cbranch_execz .LBB589_53
; %bb.52:                               ;   in Loop: Header=BB589_3 Depth=1
	v_add_f32_e64 v39, |v21|, |v21|
	v_mul_f32_e32 v40, 0x3fb8aa3b, v39
	v_rndne_f32_e32 v41, v40
	v_sub_f32_e32 v42, v40, v41
	v_fma_f32 v40, v39, s23, -v40
	v_fmac_f32_e32 v40, 0x32a5705f, v39
	v_add_f32_e32 v40, v42, v40
	v_cvt_i32_f32_e32 v41, v41
	v_exp_f32_e32 v40, v40
	v_cmp_ngt_f32_e32 vcc, s24, v39
	v_ldexp_f32 v40, v40, v41
	s_nop 0
	v_cndmask_b32_e32 v40, 0, v40, vcc
	v_cmp_nlt_f32_e32 vcc, s25, v39
	s_nop 1
	v_cndmask_b32_e32 v39, v37, v40, vcc
	v_add_f32_e32 v39, 1.0, v39
	v_rcp_f32_e32 v39, v39
	s_nop 0
	v_fma_f32 v39, v39, -2.0, 1.0
.LBB589_53:                             ;   in Loop: Header=BB589_3 Depth=1
	s_andn2_saveexec_b64 s[20:21], s[20:21]
; %bb.54:                               ;   in Loop: Header=BB589_3 Depth=1
	v_mul_f32_e32 v39, v21, v21
	v_fmamk_f32 v40, v39, 0xbbbac73d, v36
	v_fmaak_f32 v40, v39, v40, 0xbd5c1c4e
	v_fmaak_f32 v40, v39, v40, 0x3e088382
	;; [unrolled: 1-line block ×3, first 2 shown]
	v_mul_f32_e64 v40, |v21|, v40
	v_fma_f32 v39, v39, v40, |v21|
; %bb.55:                               ;   in Loop: Header=BB589_3 Depth=1
	s_or_b64 exec, exec, s[20:21]
	v_and_b32_e32 v22, 0xffff0000, v22
	v_mul_f32_e32 v40, v22, v22
	v_mul_f32_e32 v40, v40, v22
	v_fmamk_f32 v40, v40, 0x3d372713, v22
	v_mul_f32_e32 v40, 0x3f4c422a, v40
	v_cmp_nlt_f32_e64 s[20:21], |v40|, s22
                                        ; implicit-def: $vgpr41
	s_and_saveexec_b64 s[28:29], s[20:21]
	s_xor_b64 s[20:21], exec, s[28:29]
	s_cbranch_execz .LBB589_57
; %bb.56:                               ;   in Loop: Header=BB589_3 Depth=1
	v_add_f32_e64 v41, |v40|, |v40|
	v_mul_f32_e32 v42, 0x3fb8aa3b, v41
	v_rndne_f32_e32 v43, v42
	v_sub_f32_e32 v44, v42, v43
	v_fma_f32 v42, v41, s23, -v42
	v_fmac_f32_e32 v42, 0x32a5705f, v41
	v_add_f32_e32 v42, v44, v42
	v_cvt_i32_f32_e32 v43, v43
	v_exp_f32_e32 v42, v42
	v_cmp_ngt_f32_e32 vcc, s24, v41
	v_ldexp_f32 v42, v42, v43
	s_nop 0
	v_cndmask_b32_e32 v42, 0, v42, vcc
	v_cmp_nlt_f32_e32 vcc, s25, v41
	s_nop 1
	v_cndmask_b32_e32 v41, v37, v42, vcc
	v_add_f32_e32 v41, 1.0, v41
	v_rcp_f32_e32 v41, v41
	s_nop 0
	v_fma_f32 v41, v41, -2.0, 1.0
.LBB589_57:                             ;   in Loop: Header=BB589_3 Depth=1
	s_andn2_saveexec_b64 s[20:21], s[20:21]
; %bb.58:                               ;   in Loop: Header=BB589_3 Depth=1
	v_mul_f32_e32 v41, v40, v40
	v_fmamk_f32 v42, v41, 0xbbbac73d, v36
	v_fmaak_f32 v42, v41, v42, 0xbd5c1c4e
	v_fmaak_f32 v42, v41, v42, 0x3e088382
	;; [unrolled: 1-line block ×3, first 2 shown]
	v_mul_f32_e64 v42, |v40|, v42
	v_fma_f32 v41, v41, v42, |v40|
; %bb.59:                               ;   in Loop: Header=BB589_3 Depth=1
	s_or_b64 exec, exec, s[20:21]
	v_bfi_b32 v21, s26, v39, v21
	v_mul_f32_e32 v20, 0.5, v20
	v_add_f32_e32 v21, 1.0, v21
	v_mul_f32_e32 v20, v20, v21
	v_bfi_b32 v21, s26, v41, v40
	v_and_b32_e32 v43, 0xffff0000, v18
	v_lshlrev_b32_e32 v42, 16, v18
	v_mul_f32_e32 v18, 0.5, v22
	v_add_f32_e32 v21, 1.0, v21
	v_mul_f32_e32 v21, v18, v21
	v_lshlrev_b32_e32 v18, 16, v23
	v_mul_f32_e32 v22, v18, v18
	v_mul_f32_e32 v22, v22, v18
	v_fmamk_f32 v22, v22, 0x3d372713, v18
	v_mul_f32_e32 v22, 0x3f4c422a, v22
	v_cmp_nlt_f32_e64 s[20:21], |v22|, s22
	;;#ASMSTART
	v_pk_mul_f32 v[20:21], v[20:21], v[42:43]
	;;#ASMEND
                                        ; implicit-def: $vgpr39
	s_and_saveexec_b64 s[28:29], s[20:21]
	s_xor_b64 s[20:21], exec, s[28:29]
	s_cbranch_execz .LBB589_61
; %bb.60:                               ;   in Loop: Header=BB589_3 Depth=1
	v_add_f32_e64 v39, |v22|, |v22|
	v_mul_f32_e32 v40, 0x3fb8aa3b, v39
	v_rndne_f32_e32 v41, v40
	v_sub_f32_e32 v42, v40, v41
	v_fma_f32 v40, v39, s23, -v40
	v_fmac_f32_e32 v40, 0x32a5705f, v39
	v_add_f32_e32 v40, v42, v40
	v_cvt_i32_f32_e32 v41, v41
	v_exp_f32_e32 v40, v40
	v_cmp_ngt_f32_e32 vcc, s24, v39
	v_ldexp_f32 v40, v40, v41
	s_nop 0
	v_cndmask_b32_e32 v40, 0, v40, vcc
	v_cmp_nlt_f32_e32 vcc, s25, v39
	s_nop 1
	v_cndmask_b32_e32 v39, v37, v40, vcc
	v_add_f32_e32 v39, 1.0, v39
	v_rcp_f32_e32 v39, v39
	s_nop 0
	v_fma_f32 v39, v39, -2.0, 1.0
.LBB589_61:                             ;   in Loop: Header=BB589_3 Depth=1
	s_andn2_saveexec_b64 s[20:21], s[20:21]
; %bb.62:                               ;   in Loop: Header=BB589_3 Depth=1
	v_mul_f32_e32 v39, v22, v22
	v_fmamk_f32 v40, v39, 0xbbbac73d, v36
	v_fmaak_f32 v40, v39, v40, 0xbd5c1c4e
	v_fmaak_f32 v40, v39, v40, 0x3e088382
	;; [unrolled: 1-line block ×3, first 2 shown]
	v_mul_f32_e64 v40, |v22|, v40
	v_fma_f32 v39, v39, v40, |v22|
; %bb.63:                               ;   in Loop: Header=BB589_3 Depth=1
	s_or_b64 exec, exec, s[20:21]
	v_and_b32_e32 v23, 0xffff0000, v23
	v_mul_f32_e32 v40, v23, v23
	v_mul_f32_e32 v40, v40, v23
	v_fmamk_f32 v40, v40, 0x3d372713, v23
	v_mul_f32_e32 v40, 0x3f4c422a, v40
	v_cmp_nlt_f32_e64 s[20:21], |v40|, s22
                                        ; implicit-def: $vgpr41
	s_and_saveexec_b64 s[28:29], s[20:21]
	s_xor_b64 s[20:21], exec, s[28:29]
	s_cbranch_execz .LBB589_65
; %bb.64:                               ;   in Loop: Header=BB589_3 Depth=1
	v_add_f32_e64 v41, |v40|, |v40|
	v_mul_f32_e32 v42, 0x3fb8aa3b, v41
	v_rndne_f32_e32 v43, v42
	v_sub_f32_e32 v44, v42, v43
	v_fma_f32 v42, v41, s23, -v42
	v_fmac_f32_e32 v42, 0x32a5705f, v41
	v_add_f32_e32 v42, v44, v42
	v_cvt_i32_f32_e32 v43, v43
	v_exp_f32_e32 v42, v42
	v_cmp_ngt_f32_e32 vcc, s24, v41
	v_ldexp_f32 v42, v42, v43
	s_nop 0
	v_cndmask_b32_e32 v42, 0, v42, vcc
	v_cmp_nlt_f32_e32 vcc, s25, v41
	s_nop 1
	v_cndmask_b32_e32 v41, v37, v42, vcc
	v_add_f32_e32 v41, 1.0, v41
	v_rcp_f32_e32 v41, v41
	s_nop 0
	v_fma_f32 v41, v41, -2.0, 1.0
.LBB589_65:                             ;   in Loop: Header=BB589_3 Depth=1
	s_andn2_saveexec_b64 s[20:21], s[20:21]
; %bb.66:                               ;   in Loop: Header=BB589_3 Depth=1
	v_mul_f32_e32 v41, v40, v40
	v_fmamk_f32 v42, v41, 0xbbbac73d, v36
	v_fmaak_f32 v42, v41, v42, 0xbd5c1c4e
	v_fmaak_f32 v42, v41, v42, 0x3e088382
	;; [unrolled: 1-line block ×3, first 2 shown]
	v_mul_f32_e64 v42, |v40|, v42
	v_fma_f32 v41, v41, v42, |v40|
; %bb.67:                               ;   in Loop: Header=BB589_3 Depth=1
	s_or_b64 exec, exec, s[20:21]
	v_bfi_b32 v22, s26, v39, v22
	v_mul_f32_e32 v18, 0.5, v18
	v_add_f32_e32 v22, 1.0, v22
	v_mul_f32_e32 v18, v18, v22
	v_bfi_b32 v22, s26, v41, v40
	v_and_b32_e32 v43, 0xffff0000, v19
	v_lshlrev_b32_e32 v42, 16, v19
	v_mul_f32_e32 v19, 0.5, v23
	v_add_f32_e32 v22, 1.0, v22
	v_mul_f32_e32 v19, v19, v22
	v_lshlrev_b32_e32 v22, 16, v12
	v_mul_f32_e32 v23, v22, v22
	v_mul_f32_e32 v23, v23, v22
	v_fmamk_f32 v23, v23, 0x3d372713, v22
	v_mul_f32_e32 v23, 0x3f4c422a, v23
	v_cmp_nlt_f32_e64 s[20:21], |v23|, s22
	;;#ASMSTART
	v_pk_mul_f32 v[18:19], v[18:19], v[42:43]
	;;#ASMEND
                                        ; implicit-def: $vgpr39
	s_and_saveexec_b64 s[28:29], s[20:21]
	s_xor_b64 s[20:21], exec, s[28:29]
	s_cbranch_execz .LBB589_69
; %bb.68:                               ;   in Loop: Header=BB589_3 Depth=1
	v_add_f32_e64 v39, |v23|, |v23|
	v_mul_f32_e32 v40, 0x3fb8aa3b, v39
	v_rndne_f32_e32 v41, v40
	v_sub_f32_e32 v42, v40, v41
	v_fma_f32 v40, v39, s23, -v40
	v_fmac_f32_e32 v40, 0x32a5705f, v39
	v_add_f32_e32 v40, v42, v40
	v_cvt_i32_f32_e32 v41, v41
	v_exp_f32_e32 v40, v40
	v_cmp_ngt_f32_e32 vcc, s24, v39
	v_ldexp_f32 v40, v40, v41
	s_nop 0
	v_cndmask_b32_e32 v40, 0, v40, vcc
	v_cmp_nlt_f32_e32 vcc, s25, v39
	s_nop 1
	v_cndmask_b32_e32 v39, v37, v40, vcc
	v_add_f32_e32 v39, 1.0, v39
	v_rcp_f32_e32 v39, v39
	s_nop 0
	v_fma_f32 v39, v39, -2.0, 1.0
.LBB589_69:                             ;   in Loop: Header=BB589_3 Depth=1
	s_andn2_saveexec_b64 s[20:21], s[20:21]
; %bb.70:                               ;   in Loop: Header=BB589_3 Depth=1
	v_mul_f32_e32 v39, v23, v23
	v_fmamk_f32 v40, v39, 0xbbbac73d, v36
	v_fmaak_f32 v40, v39, v40, 0xbd5c1c4e
	v_fmaak_f32 v40, v39, v40, 0x3e088382
	;; [unrolled: 1-line block ×3, first 2 shown]
	v_mul_f32_e64 v40, |v23|, v40
	v_fma_f32 v39, v39, v40, |v23|
; %bb.71:                               ;   in Loop: Header=BB589_3 Depth=1
	s_or_b64 exec, exec, s[20:21]
	v_and_b32_e32 v12, 0xffff0000, v12
	v_mul_f32_e32 v40, v12, v12
	v_mul_f32_e32 v40, v40, v12
	v_fmamk_f32 v40, v40, 0x3d372713, v12
	v_mul_f32_e32 v40, 0x3f4c422a, v40
	v_cmp_nlt_f32_e64 s[20:21], |v40|, s22
                                        ; implicit-def: $vgpr41
	s_and_saveexec_b64 s[28:29], s[20:21]
	s_xor_b64 s[20:21], exec, s[28:29]
	s_cbranch_execz .LBB589_73
; %bb.72:                               ;   in Loop: Header=BB589_3 Depth=1
	v_add_f32_e64 v41, |v40|, |v40|
	v_mul_f32_e32 v42, 0x3fb8aa3b, v41
	v_rndne_f32_e32 v43, v42
	v_sub_f32_e32 v44, v42, v43
	v_fma_f32 v42, v41, s23, -v42
	v_fmac_f32_e32 v42, 0x32a5705f, v41
	v_add_f32_e32 v42, v44, v42
	v_cvt_i32_f32_e32 v43, v43
	v_exp_f32_e32 v42, v42
	v_cmp_ngt_f32_e32 vcc, s24, v41
	v_ldexp_f32 v42, v42, v43
	s_nop 0
	v_cndmask_b32_e32 v42, 0, v42, vcc
	v_cmp_nlt_f32_e32 vcc, s25, v41
	s_nop 1
	v_cndmask_b32_e32 v41, v37, v42, vcc
	v_add_f32_e32 v41, 1.0, v41
	v_rcp_f32_e32 v41, v41
	s_nop 0
	v_fma_f32 v41, v41, -2.0, 1.0
.LBB589_73:                             ;   in Loop: Header=BB589_3 Depth=1
	s_andn2_saveexec_b64 s[20:21], s[20:21]
; %bb.74:                               ;   in Loop: Header=BB589_3 Depth=1
	v_mul_f32_e32 v41, v40, v40
	v_fmamk_f32 v42, v41, 0xbbbac73d, v36
	v_fmaak_f32 v42, v41, v42, 0xbd5c1c4e
	v_fmaak_f32 v42, v41, v42, 0x3e088382
	;; [unrolled: 1-line block ×3, first 2 shown]
	v_mul_f32_e64 v42, |v40|, v42
	v_fma_f32 v41, v41, v42, |v40|
; %bb.75:                               ;   in Loop: Header=BB589_3 Depth=1
	s_or_b64 exec, exec, s[20:21]
	v_bfi_b32 v23, s26, v39, v23
	s_waitcnt vmcnt(1)
	v_and_b32_e32 v43, 0xffff0000, v8
	v_lshlrev_b32_e32 v42, 16, v8
	v_mul_f32_e32 v8, 0.5, v12
	v_bfi_b32 v12, s26, v41, v40
	v_mul_f32_e32 v22, 0.5, v22
	v_add_f32_e32 v23, 1.0, v23
	v_add_f32_e32 v12, 1.0, v12
	v_mul_f32_e32 v22, v22, v23
	v_mul_f32_e32 v23, v8, v12
	v_lshlrev_b32_e32 v8, 16, v13
	v_mul_f32_e32 v12, v8, v8
	v_mul_f32_e32 v12, v12, v8
	v_fmamk_f32 v12, v12, 0x3d372713, v8
	v_mul_f32_e32 v12, 0x3f4c422a, v12
	v_cmp_nlt_f32_e64 s[20:21], |v12|, s22
	;;#ASMSTART
	v_pk_mul_f32 v[22:23], v[22:23], v[42:43]
	;;#ASMEND
                                        ; implicit-def: $vgpr39
	s_and_saveexec_b64 s[28:29], s[20:21]
	s_xor_b64 s[20:21], exec, s[28:29]
	s_cbranch_execz .LBB589_77
; %bb.76:                               ;   in Loop: Header=BB589_3 Depth=1
	v_add_f32_e64 v39, |v12|, |v12|
	v_mul_f32_e32 v40, 0x3fb8aa3b, v39
	v_rndne_f32_e32 v41, v40
	v_sub_f32_e32 v42, v40, v41
	v_fma_f32 v40, v39, s23, -v40
	v_fmac_f32_e32 v40, 0x32a5705f, v39
	v_add_f32_e32 v40, v42, v40
	v_cvt_i32_f32_e32 v41, v41
	v_exp_f32_e32 v40, v40
	v_cmp_ngt_f32_e32 vcc, s24, v39
	v_ldexp_f32 v40, v40, v41
	s_nop 0
	v_cndmask_b32_e32 v40, 0, v40, vcc
	v_cmp_nlt_f32_e32 vcc, s25, v39
	s_nop 1
	v_cndmask_b32_e32 v39, v37, v40, vcc
	v_add_f32_e32 v39, 1.0, v39
	v_rcp_f32_e32 v39, v39
	s_nop 0
	v_fma_f32 v39, v39, -2.0, 1.0
.LBB589_77:                             ;   in Loop: Header=BB589_3 Depth=1
	s_andn2_saveexec_b64 s[20:21], s[20:21]
; %bb.78:                               ;   in Loop: Header=BB589_3 Depth=1
	v_mul_f32_e32 v39, v12, v12
	v_fmamk_f32 v40, v39, 0xbbbac73d, v36
	v_fmaak_f32 v40, v39, v40, 0xbd5c1c4e
	v_fmaak_f32 v40, v39, v40, 0x3e088382
	v_fmaak_f32 v40, v39, v40, 0xbeaaaa99
	v_mul_f32_e64 v40, |v12|, v40
	v_fma_f32 v39, v39, v40, |v12|
; %bb.79:                               ;   in Loop: Header=BB589_3 Depth=1
	s_or_b64 exec, exec, s[20:21]
	v_and_b32_e32 v13, 0xffff0000, v13
	v_mul_f32_e32 v40, v13, v13
	v_mul_f32_e32 v40, v40, v13
	v_fmamk_f32 v40, v40, 0x3d372713, v13
	v_mul_f32_e32 v40, 0x3f4c422a, v40
	v_cmp_nlt_f32_e64 s[20:21], |v40|, s22
                                        ; implicit-def: $vgpr41
	s_and_saveexec_b64 s[28:29], s[20:21]
	s_xor_b64 s[20:21], exec, s[28:29]
	s_cbranch_execz .LBB589_81
; %bb.80:                               ;   in Loop: Header=BB589_3 Depth=1
	v_add_f32_e64 v41, |v40|, |v40|
	v_mul_f32_e32 v42, 0x3fb8aa3b, v41
	v_rndne_f32_e32 v43, v42
	v_sub_f32_e32 v44, v42, v43
	v_fma_f32 v42, v41, s23, -v42
	v_fmac_f32_e32 v42, 0x32a5705f, v41
	v_add_f32_e32 v42, v44, v42
	v_cvt_i32_f32_e32 v43, v43
	v_exp_f32_e32 v42, v42
	v_cmp_ngt_f32_e32 vcc, s24, v41
	v_ldexp_f32 v42, v42, v43
	s_nop 0
	v_cndmask_b32_e32 v42, 0, v42, vcc
	v_cmp_nlt_f32_e32 vcc, s25, v41
	s_nop 1
	v_cndmask_b32_e32 v41, v37, v42, vcc
	v_add_f32_e32 v41, 1.0, v41
	v_rcp_f32_e32 v41, v41
	s_nop 0
	v_fma_f32 v41, v41, -2.0, 1.0
.LBB589_81:                             ;   in Loop: Header=BB589_3 Depth=1
	s_andn2_saveexec_b64 s[20:21], s[20:21]
; %bb.82:                               ;   in Loop: Header=BB589_3 Depth=1
	v_mul_f32_e32 v41, v40, v40
	v_fmamk_f32 v42, v41, 0xbbbac73d, v36
	v_fmaak_f32 v42, v41, v42, 0xbd5c1c4e
	v_fmaak_f32 v42, v41, v42, 0x3e088382
	;; [unrolled: 1-line block ×3, first 2 shown]
	v_mul_f32_e64 v42, |v40|, v42
	v_fma_f32 v41, v41, v42, |v40|
; %bb.83:                               ;   in Loop: Header=BB589_3 Depth=1
	s_or_b64 exec, exec, s[20:21]
	v_bfi_b32 v12, s26, v39, v12
	v_mul_f32_e32 v8, 0.5, v8
	v_add_f32_e32 v12, 1.0, v12
	v_mul_f32_e32 v8, v8, v12
	v_bfi_b32 v12, s26, v41, v40
	v_and_b32_e32 v43, 0xffff0000, v9
	v_lshlrev_b32_e32 v42, 16, v9
	v_mul_f32_e32 v9, 0.5, v13
	v_add_f32_e32 v12, 1.0, v12
	v_mul_f32_e32 v9, v9, v12
	v_lshlrev_b32_e32 v12, 16, v14
	v_mul_f32_e32 v13, v12, v12
	v_mul_f32_e32 v13, v13, v12
	v_fmamk_f32 v13, v13, 0x3d372713, v12
	v_mul_f32_e32 v13, 0x3f4c422a, v13
	v_cmp_nlt_f32_e64 s[20:21], |v13|, s22
	;;#ASMSTART
	v_pk_mul_f32 v[8:9], v[8:9], v[42:43]
	;;#ASMEND
                                        ; implicit-def: $vgpr39
	s_and_saveexec_b64 s[28:29], s[20:21]
	s_xor_b64 s[20:21], exec, s[28:29]
	s_cbranch_execz .LBB589_85
; %bb.84:                               ;   in Loop: Header=BB589_3 Depth=1
	v_add_f32_e64 v39, |v13|, |v13|
	v_mul_f32_e32 v40, 0x3fb8aa3b, v39
	v_rndne_f32_e32 v41, v40
	v_sub_f32_e32 v42, v40, v41
	v_fma_f32 v40, v39, s23, -v40
	v_fmac_f32_e32 v40, 0x32a5705f, v39
	v_add_f32_e32 v40, v42, v40
	v_cvt_i32_f32_e32 v41, v41
	v_exp_f32_e32 v40, v40
	v_cmp_ngt_f32_e32 vcc, s24, v39
	v_ldexp_f32 v40, v40, v41
	s_nop 0
	v_cndmask_b32_e32 v40, 0, v40, vcc
	v_cmp_nlt_f32_e32 vcc, s25, v39
	s_nop 1
	v_cndmask_b32_e32 v39, v37, v40, vcc
	v_add_f32_e32 v39, 1.0, v39
	v_rcp_f32_e32 v39, v39
	s_nop 0
	v_fma_f32 v39, v39, -2.0, 1.0
.LBB589_85:                             ;   in Loop: Header=BB589_3 Depth=1
	s_andn2_saveexec_b64 s[20:21], s[20:21]
; %bb.86:                               ;   in Loop: Header=BB589_3 Depth=1
	v_mul_f32_e32 v39, v13, v13
	v_fmamk_f32 v40, v39, 0xbbbac73d, v36
	v_fmaak_f32 v40, v39, v40, 0xbd5c1c4e
	v_fmaak_f32 v40, v39, v40, 0x3e088382
	;; [unrolled: 1-line block ×3, first 2 shown]
	v_mul_f32_e64 v40, |v13|, v40
	v_fma_f32 v39, v39, v40, |v13|
; %bb.87:                               ;   in Loop: Header=BB589_3 Depth=1
	s_or_b64 exec, exec, s[20:21]
	v_and_b32_e32 v14, 0xffff0000, v14
	v_mul_f32_e32 v40, v14, v14
	v_mul_f32_e32 v40, v40, v14
	v_fmamk_f32 v40, v40, 0x3d372713, v14
	v_mul_f32_e32 v40, 0x3f4c422a, v40
	v_cmp_nlt_f32_e64 s[20:21], |v40|, s22
                                        ; implicit-def: $vgpr41
	s_and_saveexec_b64 s[28:29], s[20:21]
	s_xor_b64 s[20:21], exec, s[28:29]
	s_cbranch_execz .LBB589_89
; %bb.88:                               ;   in Loop: Header=BB589_3 Depth=1
	v_add_f32_e64 v41, |v40|, |v40|
	v_mul_f32_e32 v42, 0x3fb8aa3b, v41
	v_rndne_f32_e32 v43, v42
	v_sub_f32_e32 v44, v42, v43
	v_fma_f32 v42, v41, s23, -v42
	v_fmac_f32_e32 v42, 0x32a5705f, v41
	v_add_f32_e32 v42, v44, v42
	v_cvt_i32_f32_e32 v43, v43
	v_exp_f32_e32 v42, v42
	v_cmp_ngt_f32_e32 vcc, s24, v41
	v_ldexp_f32 v42, v42, v43
	s_nop 0
	v_cndmask_b32_e32 v42, 0, v42, vcc
	v_cmp_nlt_f32_e32 vcc, s25, v41
	s_nop 1
	v_cndmask_b32_e32 v41, v37, v42, vcc
	v_add_f32_e32 v41, 1.0, v41
	v_rcp_f32_e32 v41, v41
	s_nop 0
	v_fma_f32 v41, v41, -2.0, 1.0
.LBB589_89:                             ;   in Loop: Header=BB589_3 Depth=1
	s_andn2_saveexec_b64 s[20:21], s[20:21]
; %bb.90:                               ;   in Loop: Header=BB589_3 Depth=1
	v_mul_f32_e32 v41, v40, v40
	v_fmamk_f32 v42, v41, 0xbbbac73d, v36
	v_fmaak_f32 v42, v41, v42, 0xbd5c1c4e
	v_fmaak_f32 v42, v41, v42, 0x3e088382
	;; [unrolled: 1-line block ×3, first 2 shown]
	v_mul_f32_e64 v42, |v40|, v42
	v_fma_f32 v41, v41, v42, |v40|
; %bb.91:                               ;   in Loop: Header=BB589_3 Depth=1
	s_or_b64 exec, exec, s[20:21]
	v_bfi_b32 v13, s26, v39, v13
	v_mul_f32_e32 v12, 0.5, v12
	v_add_f32_e32 v13, 1.0, v13
	v_mul_f32_e32 v12, v12, v13
	v_bfi_b32 v13, s26, v41, v40
	v_and_b32_e32 v43, 0xffff0000, v10
	v_lshlrev_b32_e32 v42, 16, v10
	v_mul_f32_e32 v10, 0.5, v14
	v_add_f32_e32 v13, 1.0, v13
	v_mul_f32_e32 v13, v10, v13
	v_lshlrev_b32_e32 v10, 16, v15
	v_mul_f32_e32 v14, v10, v10
	v_mul_f32_e32 v14, v14, v10
	v_fmamk_f32 v14, v14, 0x3d372713, v10
	v_mul_f32_e32 v14, 0x3f4c422a, v14
	v_cmp_nlt_f32_e64 s[20:21], |v14|, s22
	;;#ASMSTART
	v_pk_mul_f32 v[12:13], v[12:13], v[42:43]
	;;#ASMEND
                                        ; implicit-def: $vgpr39
	s_and_saveexec_b64 s[28:29], s[20:21]
	s_xor_b64 s[20:21], exec, s[28:29]
	s_cbranch_execz .LBB589_93
; %bb.92:                               ;   in Loop: Header=BB589_3 Depth=1
	v_add_f32_e64 v39, |v14|, |v14|
	v_mul_f32_e32 v40, 0x3fb8aa3b, v39
	v_rndne_f32_e32 v41, v40
	v_sub_f32_e32 v42, v40, v41
	v_fma_f32 v40, v39, s23, -v40
	v_fmac_f32_e32 v40, 0x32a5705f, v39
	v_add_f32_e32 v40, v42, v40
	v_cvt_i32_f32_e32 v41, v41
	v_exp_f32_e32 v40, v40
	v_cmp_ngt_f32_e32 vcc, s24, v39
	v_ldexp_f32 v40, v40, v41
	s_nop 0
	v_cndmask_b32_e32 v40, 0, v40, vcc
	v_cmp_nlt_f32_e32 vcc, s25, v39
	s_nop 1
	v_cndmask_b32_e32 v39, v37, v40, vcc
	v_add_f32_e32 v39, 1.0, v39
	v_rcp_f32_e32 v39, v39
	s_nop 0
	v_fma_f32 v39, v39, -2.0, 1.0
.LBB589_93:                             ;   in Loop: Header=BB589_3 Depth=1
	s_andn2_saveexec_b64 s[20:21], s[20:21]
; %bb.94:                               ;   in Loop: Header=BB589_3 Depth=1
	v_mul_f32_e32 v39, v14, v14
	v_fmamk_f32 v40, v39, 0xbbbac73d, v36
	v_fmaak_f32 v40, v39, v40, 0xbd5c1c4e
	v_fmaak_f32 v40, v39, v40, 0x3e088382
	;; [unrolled: 1-line block ×3, first 2 shown]
	v_mul_f32_e64 v40, |v14|, v40
	v_fma_f32 v39, v39, v40, |v14|
; %bb.95:                               ;   in Loop: Header=BB589_3 Depth=1
	s_or_b64 exec, exec, s[20:21]
	v_and_b32_e32 v15, 0xffff0000, v15
	v_mul_f32_e32 v40, v15, v15
	v_mul_f32_e32 v40, v40, v15
	v_fmamk_f32 v40, v40, 0x3d372713, v15
	v_mul_f32_e32 v40, 0x3f4c422a, v40
	v_cmp_nlt_f32_e64 s[20:21], |v40|, s22
                                        ; implicit-def: $vgpr41
	s_and_saveexec_b64 s[28:29], s[20:21]
	s_xor_b64 s[20:21], exec, s[28:29]
	s_cbranch_execz .LBB589_97
; %bb.96:                               ;   in Loop: Header=BB589_3 Depth=1
	v_add_f32_e64 v41, |v40|, |v40|
	v_mul_f32_e32 v42, 0x3fb8aa3b, v41
	v_rndne_f32_e32 v43, v42
	v_sub_f32_e32 v44, v42, v43
	v_fma_f32 v42, v41, s23, -v42
	v_fmac_f32_e32 v42, 0x32a5705f, v41
	v_add_f32_e32 v42, v44, v42
	v_cvt_i32_f32_e32 v43, v43
	v_exp_f32_e32 v42, v42
	v_cmp_ngt_f32_e32 vcc, s24, v41
	v_ldexp_f32 v42, v42, v43
	s_nop 0
	v_cndmask_b32_e32 v42, 0, v42, vcc
	v_cmp_nlt_f32_e32 vcc, s25, v41
	s_nop 1
	v_cndmask_b32_e32 v41, v37, v42, vcc
	v_add_f32_e32 v41, 1.0, v41
	v_rcp_f32_e32 v41, v41
	s_nop 0
	v_fma_f32 v41, v41, -2.0, 1.0
.LBB589_97:                             ;   in Loop: Header=BB589_3 Depth=1
	s_andn2_saveexec_b64 s[20:21], s[20:21]
; %bb.98:                               ;   in Loop: Header=BB589_3 Depth=1
	v_mul_f32_e32 v41, v40, v40
	v_fmamk_f32 v42, v41, 0xbbbac73d, v36
	v_fmaak_f32 v42, v41, v42, 0xbd5c1c4e
	v_fmaak_f32 v42, v41, v42, 0x3e088382
	;; [unrolled: 1-line block ×3, first 2 shown]
	v_mul_f32_e64 v42, |v40|, v42
	v_fma_f32 v41, v41, v42, |v40|
; %bb.99:                               ;   in Loop: Header=BB589_3 Depth=1
	s_or_b64 exec, exec, s[20:21]
	v_bfi_b32 v14, s26, v39, v14
	v_mul_f32_e32 v10, 0.5, v10
	v_add_f32_e32 v14, 1.0, v14
	v_mul_f32_e32 v10, v10, v14
	v_bfi_b32 v14, s26, v41, v40
	v_and_b32_e32 v43, 0xffff0000, v11
	v_lshlrev_b32_e32 v42, 16, v11
	v_mul_f32_e32 v11, 0.5, v15
	v_add_f32_e32 v14, 1.0, v14
	v_mul_f32_e32 v11, v11, v14
	v_lshlrev_b32_e32 v14, 16, v4
	v_mul_f32_e32 v15, v14, v14
	v_mul_f32_e32 v15, v15, v14
	v_fmamk_f32 v15, v15, 0x3d372713, v14
	v_mul_f32_e32 v15, 0x3f4c422a, v15
	v_cmp_nlt_f32_e64 s[20:21], |v15|, s22
	;;#ASMSTART
	v_pk_mul_f32 v[10:11], v[10:11], v[42:43]
	;;#ASMEND
                                        ; implicit-def: $vgpr39
	s_and_saveexec_b64 s[28:29], s[20:21]
	s_xor_b64 s[20:21], exec, s[28:29]
	s_cbranch_execz .LBB589_101
; %bb.100:                              ;   in Loop: Header=BB589_3 Depth=1
	v_add_f32_e64 v39, |v15|, |v15|
	v_mul_f32_e32 v40, 0x3fb8aa3b, v39
	v_rndne_f32_e32 v41, v40
	v_sub_f32_e32 v42, v40, v41
	v_fma_f32 v40, v39, s23, -v40
	v_fmac_f32_e32 v40, 0x32a5705f, v39
	v_add_f32_e32 v40, v42, v40
	v_cvt_i32_f32_e32 v41, v41
	v_exp_f32_e32 v40, v40
	v_cmp_ngt_f32_e32 vcc, s24, v39
	v_ldexp_f32 v40, v40, v41
	s_nop 0
	v_cndmask_b32_e32 v40, 0, v40, vcc
	v_cmp_nlt_f32_e32 vcc, s25, v39
	s_nop 1
	v_cndmask_b32_e32 v39, v37, v40, vcc
	v_add_f32_e32 v39, 1.0, v39
	v_rcp_f32_e32 v39, v39
	s_nop 0
	v_fma_f32 v39, v39, -2.0, 1.0
.LBB589_101:                            ;   in Loop: Header=BB589_3 Depth=1
	s_andn2_saveexec_b64 s[20:21], s[20:21]
; %bb.102:                              ;   in Loop: Header=BB589_3 Depth=1
	v_mul_f32_e32 v39, v15, v15
	v_fmamk_f32 v40, v39, 0xbbbac73d, v36
	v_fmaak_f32 v40, v39, v40, 0xbd5c1c4e
	v_fmaak_f32 v40, v39, v40, 0x3e088382
	;; [unrolled: 1-line block ×3, first 2 shown]
	v_mul_f32_e64 v40, |v15|, v40
	v_fma_f32 v39, v39, v40, |v15|
; %bb.103:                              ;   in Loop: Header=BB589_3 Depth=1
	s_or_b64 exec, exec, s[20:21]
	v_and_b32_e32 v4, 0xffff0000, v4
	v_mul_f32_e32 v40, v4, v4
	v_mul_f32_e32 v40, v40, v4
	v_fmamk_f32 v40, v40, 0x3d372713, v4
	v_mul_f32_e32 v40, 0x3f4c422a, v40
	v_cmp_nlt_f32_e64 s[20:21], |v40|, s22
                                        ; implicit-def: $vgpr41
	s_and_saveexec_b64 s[28:29], s[20:21]
	s_xor_b64 s[20:21], exec, s[28:29]
	s_cbranch_execz .LBB589_105
; %bb.104:                              ;   in Loop: Header=BB589_3 Depth=1
	v_add_f32_e64 v41, |v40|, |v40|
	v_mul_f32_e32 v42, 0x3fb8aa3b, v41
	v_rndne_f32_e32 v43, v42
	v_sub_f32_e32 v44, v42, v43
	v_fma_f32 v42, v41, s23, -v42
	v_fmac_f32_e32 v42, 0x32a5705f, v41
	v_add_f32_e32 v42, v44, v42
	v_cvt_i32_f32_e32 v43, v43
	v_exp_f32_e32 v42, v42
	v_cmp_ngt_f32_e32 vcc, s24, v41
	v_ldexp_f32 v42, v42, v43
	s_nop 0
	v_cndmask_b32_e32 v42, 0, v42, vcc
	v_cmp_nlt_f32_e32 vcc, s25, v41
	s_nop 1
	v_cndmask_b32_e32 v41, v37, v42, vcc
	v_add_f32_e32 v41, 1.0, v41
	v_rcp_f32_e32 v41, v41
	s_nop 0
	v_fma_f32 v41, v41, -2.0, 1.0
.LBB589_105:                            ;   in Loop: Header=BB589_3 Depth=1
	s_andn2_saveexec_b64 s[20:21], s[20:21]
; %bb.106:                              ;   in Loop: Header=BB589_3 Depth=1
	v_mul_f32_e32 v41, v40, v40
	v_fmamk_f32 v42, v41, 0xbbbac73d, v36
	v_fmaak_f32 v42, v41, v42, 0xbd5c1c4e
	v_fmaak_f32 v42, v41, v42, 0x3e088382
	;; [unrolled: 1-line block ×3, first 2 shown]
	v_mul_f32_e64 v42, |v40|, v42
	v_fma_f32 v41, v41, v42, |v40|
; %bb.107:                              ;   in Loop: Header=BB589_3 Depth=1
	s_or_b64 exec, exec, s[20:21]
	v_bfi_b32 v15, s26, v39, v15
	s_waitcnt vmcnt(0)
	v_and_b32_e32 v43, 0xffff0000, v0
	v_lshlrev_b32_e32 v42, 16, v0
	v_mul_f32_e32 v0, 0.5, v4
	v_bfi_b32 v4, s26, v41, v40
	v_mul_f32_e32 v14, 0.5, v14
	v_add_f32_e32 v15, 1.0, v15
	v_add_f32_e32 v4, 1.0, v4
	v_mul_f32_e32 v14, v14, v15
	v_mul_f32_e32 v15, v0, v4
	v_lshlrev_b32_e32 v0, 16, v5
	v_mul_f32_e32 v4, v0, v0
	v_mul_f32_e32 v4, v4, v0
	v_fmamk_f32 v4, v4, 0x3d372713, v0
	v_mul_f32_e32 v4, 0x3f4c422a, v4
	v_cmp_nlt_f32_e64 s[20:21], |v4|, s22
	;;#ASMSTART
	v_pk_mul_f32 v[14:15], v[14:15], v[42:43]
	;;#ASMEND
                                        ; implicit-def: $vgpr39
	s_and_saveexec_b64 s[28:29], s[20:21]
	s_xor_b64 s[20:21], exec, s[28:29]
	s_cbranch_execz .LBB589_109
; %bb.108:                              ;   in Loop: Header=BB589_3 Depth=1
	v_add_f32_e64 v39, |v4|, |v4|
	v_mul_f32_e32 v40, 0x3fb8aa3b, v39
	v_rndne_f32_e32 v41, v40
	v_sub_f32_e32 v42, v40, v41
	v_fma_f32 v40, v39, s23, -v40
	v_fmac_f32_e32 v40, 0x32a5705f, v39
	v_add_f32_e32 v40, v42, v40
	v_cvt_i32_f32_e32 v41, v41
	v_exp_f32_e32 v40, v40
	v_cmp_ngt_f32_e32 vcc, s24, v39
	v_ldexp_f32 v40, v40, v41
	s_nop 0
	v_cndmask_b32_e32 v40, 0, v40, vcc
	v_cmp_nlt_f32_e32 vcc, s25, v39
	s_nop 1
	v_cndmask_b32_e32 v39, v37, v40, vcc
	v_add_f32_e32 v39, 1.0, v39
	v_rcp_f32_e32 v39, v39
	s_nop 0
	v_fma_f32 v39, v39, -2.0, 1.0
.LBB589_109:                            ;   in Loop: Header=BB589_3 Depth=1
	s_andn2_saveexec_b64 s[20:21], s[20:21]
; %bb.110:                              ;   in Loop: Header=BB589_3 Depth=1
	v_mul_f32_e32 v39, v4, v4
	v_fmamk_f32 v40, v39, 0xbbbac73d, v36
	v_fmaak_f32 v40, v39, v40, 0xbd5c1c4e
	v_fmaak_f32 v40, v39, v40, 0x3e088382
	;; [unrolled: 1-line block ×3, first 2 shown]
	v_mul_f32_e64 v40, |v4|, v40
	v_fma_f32 v39, v39, v40, |v4|
; %bb.111:                              ;   in Loop: Header=BB589_3 Depth=1
	s_or_b64 exec, exec, s[20:21]
	v_and_b32_e32 v5, 0xffff0000, v5
	v_mul_f32_e32 v40, v5, v5
	v_mul_f32_e32 v40, v40, v5
	v_fmamk_f32 v40, v40, 0x3d372713, v5
	v_mul_f32_e32 v40, 0x3f4c422a, v40
	v_cmp_nlt_f32_e64 s[20:21], |v40|, s22
                                        ; implicit-def: $vgpr41
	s_and_saveexec_b64 s[28:29], s[20:21]
	s_xor_b64 s[20:21], exec, s[28:29]
	s_cbranch_execz .LBB589_113
; %bb.112:                              ;   in Loop: Header=BB589_3 Depth=1
	v_add_f32_e64 v41, |v40|, |v40|
	v_mul_f32_e32 v42, 0x3fb8aa3b, v41
	v_rndne_f32_e32 v43, v42
	v_sub_f32_e32 v44, v42, v43
	v_fma_f32 v42, v41, s23, -v42
	v_fmac_f32_e32 v42, 0x32a5705f, v41
	v_add_f32_e32 v42, v44, v42
	v_cvt_i32_f32_e32 v43, v43
	v_exp_f32_e32 v42, v42
	v_cmp_ngt_f32_e32 vcc, s24, v41
	v_ldexp_f32 v42, v42, v43
	s_nop 0
	v_cndmask_b32_e32 v42, 0, v42, vcc
	v_cmp_nlt_f32_e32 vcc, s25, v41
	s_nop 1
	v_cndmask_b32_e32 v41, v37, v42, vcc
	v_add_f32_e32 v41, 1.0, v41
	v_rcp_f32_e32 v41, v41
	s_nop 0
	v_fma_f32 v41, v41, -2.0, 1.0
.LBB589_113:                            ;   in Loop: Header=BB589_3 Depth=1
	s_andn2_saveexec_b64 s[20:21], s[20:21]
; %bb.114:                              ;   in Loop: Header=BB589_3 Depth=1
	v_mul_f32_e32 v41, v40, v40
	v_fmamk_f32 v42, v41, 0xbbbac73d, v36
	v_fmaak_f32 v42, v41, v42, 0xbd5c1c4e
	v_fmaak_f32 v42, v41, v42, 0x3e088382
	v_fmaak_f32 v42, v41, v42, 0xbeaaaa99
	v_mul_f32_e64 v42, |v40|, v42
	v_fma_f32 v41, v41, v42, |v40|
; %bb.115:                              ;   in Loop: Header=BB589_3 Depth=1
	s_or_b64 exec, exec, s[20:21]
	v_bfi_b32 v4, s26, v39, v4
	v_mul_f32_e32 v0, 0.5, v0
	v_add_f32_e32 v4, 1.0, v4
	v_mul_f32_e32 v0, v0, v4
	v_bfi_b32 v4, s26, v41, v40
	v_and_b32_e32 v43, 0xffff0000, v1
	v_lshlrev_b32_e32 v42, 16, v1
	v_mul_f32_e32 v1, 0.5, v5
	v_add_f32_e32 v4, 1.0, v4
	v_mul_f32_e32 v1, v1, v4
	v_lshlrev_b32_e32 v4, 16, v6
	v_mul_f32_e32 v5, v4, v4
	v_mul_f32_e32 v5, v5, v4
	v_fmamk_f32 v5, v5, 0x3d372713, v4
	v_mul_f32_e32 v5, 0x3f4c422a, v5
	v_cmp_nlt_f32_e64 s[20:21], |v5|, s22
	;;#ASMSTART
	v_pk_mul_f32 v[0:1], v[0:1], v[42:43]
	;;#ASMEND
                                        ; implicit-def: $vgpr39
	s_and_saveexec_b64 s[28:29], s[20:21]
	s_xor_b64 s[20:21], exec, s[28:29]
	s_cbranch_execz .LBB589_117
; %bb.116:                              ;   in Loop: Header=BB589_3 Depth=1
	v_add_f32_e64 v39, |v5|, |v5|
	v_mul_f32_e32 v40, 0x3fb8aa3b, v39
	v_rndne_f32_e32 v41, v40
	v_sub_f32_e32 v42, v40, v41
	v_fma_f32 v40, v39, s23, -v40
	v_fmac_f32_e32 v40, 0x32a5705f, v39
	v_add_f32_e32 v40, v42, v40
	v_cvt_i32_f32_e32 v41, v41
	v_exp_f32_e32 v40, v40
	v_cmp_ngt_f32_e32 vcc, s24, v39
	v_ldexp_f32 v40, v40, v41
	s_nop 0
	v_cndmask_b32_e32 v40, 0, v40, vcc
	v_cmp_nlt_f32_e32 vcc, s25, v39
	s_nop 1
	v_cndmask_b32_e32 v39, v37, v40, vcc
	v_add_f32_e32 v39, 1.0, v39
	v_rcp_f32_e32 v39, v39
	s_nop 0
	v_fma_f32 v39, v39, -2.0, 1.0
.LBB589_117:                            ;   in Loop: Header=BB589_3 Depth=1
	s_andn2_saveexec_b64 s[20:21], s[20:21]
; %bb.118:                              ;   in Loop: Header=BB589_3 Depth=1
	v_mul_f32_e32 v39, v5, v5
	v_fmamk_f32 v40, v39, 0xbbbac73d, v36
	v_fmaak_f32 v40, v39, v40, 0xbd5c1c4e
	v_fmaak_f32 v40, v39, v40, 0x3e088382
	;; [unrolled: 1-line block ×3, first 2 shown]
	v_mul_f32_e64 v40, |v5|, v40
	v_fma_f32 v39, v39, v40, |v5|
; %bb.119:                              ;   in Loop: Header=BB589_3 Depth=1
	s_or_b64 exec, exec, s[20:21]
	v_and_b32_e32 v6, 0xffff0000, v6
	v_mul_f32_e32 v40, v6, v6
	v_mul_f32_e32 v40, v40, v6
	v_fmamk_f32 v40, v40, 0x3d372713, v6
	v_mul_f32_e32 v40, 0x3f4c422a, v40
	v_cmp_nlt_f32_e64 s[20:21], |v40|, s22
                                        ; implicit-def: $vgpr41
	s_and_saveexec_b64 s[28:29], s[20:21]
	s_xor_b64 s[20:21], exec, s[28:29]
	s_cbranch_execz .LBB589_121
; %bb.120:                              ;   in Loop: Header=BB589_3 Depth=1
	v_add_f32_e64 v41, |v40|, |v40|
	v_mul_f32_e32 v42, 0x3fb8aa3b, v41
	v_rndne_f32_e32 v43, v42
	v_sub_f32_e32 v44, v42, v43
	v_fma_f32 v42, v41, s23, -v42
	v_fmac_f32_e32 v42, 0x32a5705f, v41
	v_add_f32_e32 v42, v44, v42
	v_cvt_i32_f32_e32 v43, v43
	v_exp_f32_e32 v42, v42
	v_cmp_ngt_f32_e32 vcc, s24, v41
	v_ldexp_f32 v42, v42, v43
	s_nop 0
	v_cndmask_b32_e32 v42, 0, v42, vcc
	v_cmp_nlt_f32_e32 vcc, s25, v41
	s_nop 1
	v_cndmask_b32_e32 v41, v37, v42, vcc
	v_add_f32_e32 v41, 1.0, v41
	v_rcp_f32_e32 v41, v41
	s_nop 0
	v_fma_f32 v41, v41, -2.0, 1.0
.LBB589_121:                            ;   in Loop: Header=BB589_3 Depth=1
	s_andn2_saveexec_b64 s[20:21], s[20:21]
; %bb.122:                              ;   in Loop: Header=BB589_3 Depth=1
	v_mul_f32_e32 v41, v40, v40
	v_fmamk_f32 v42, v41, 0xbbbac73d, v36
	v_fmaak_f32 v42, v41, v42, 0xbd5c1c4e
	v_fmaak_f32 v42, v41, v42, 0x3e088382
	;; [unrolled: 1-line block ×3, first 2 shown]
	v_mul_f32_e64 v42, |v40|, v42
	v_fma_f32 v41, v41, v42, |v40|
; %bb.123:                              ;   in Loop: Header=BB589_3 Depth=1
	s_or_b64 exec, exec, s[20:21]
	v_bfi_b32 v5, s26, v39, v5
	v_mul_f32_e32 v4, 0.5, v4
	v_add_f32_e32 v5, 1.0, v5
	v_mul_f32_e32 v4, v4, v5
	v_bfi_b32 v5, s26, v41, v40
	v_and_b32_e32 v43, 0xffff0000, v2
	v_lshlrev_b32_e32 v42, 16, v2
	v_mul_f32_e32 v2, 0.5, v6
	v_add_f32_e32 v5, 1.0, v5
	v_mul_f32_e32 v5, v2, v5
	v_lshlrev_b32_e32 v2, 16, v7
	v_mul_f32_e32 v6, v2, v2
	v_mul_f32_e32 v6, v6, v2
	v_fmamk_f32 v6, v6, 0x3d372713, v2
	v_mul_f32_e32 v6, 0x3f4c422a, v6
	v_cmp_nlt_f32_e64 s[20:21], |v6|, s22
	;;#ASMSTART
	v_pk_mul_f32 v[4:5], v[4:5], v[42:43]
	;;#ASMEND
                                        ; implicit-def: $vgpr39
	s_and_saveexec_b64 s[28:29], s[20:21]
	s_xor_b64 s[20:21], exec, s[28:29]
	s_cbranch_execz .LBB589_125
; %bb.124:                              ;   in Loop: Header=BB589_3 Depth=1
	v_add_f32_e64 v39, |v6|, |v6|
	v_mul_f32_e32 v40, 0x3fb8aa3b, v39
	v_rndne_f32_e32 v41, v40
	v_sub_f32_e32 v42, v40, v41
	v_fma_f32 v40, v39, s23, -v40
	v_fmac_f32_e32 v40, 0x32a5705f, v39
	v_add_f32_e32 v40, v42, v40
	v_cvt_i32_f32_e32 v41, v41
	v_exp_f32_e32 v40, v40
	v_cmp_ngt_f32_e32 vcc, s24, v39
	v_ldexp_f32 v40, v40, v41
	s_nop 0
	v_cndmask_b32_e32 v40, 0, v40, vcc
	v_cmp_nlt_f32_e32 vcc, s25, v39
	s_nop 1
	v_cndmask_b32_e32 v39, v37, v40, vcc
	v_add_f32_e32 v39, 1.0, v39
	v_rcp_f32_e32 v39, v39
	s_nop 0
	v_fma_f32 v39, v39, -2.0, 1.0
.LBB589_125:                            ;   in Loop: Header=BB589_3 Depth=1
	s_andn2_saveexec_b64 s[20:21], s[20:21]
; %bb.126:                              ;   in Loop: Header=BB589_3 Depth=1
	v_mul_f32_e32 v39, v6, v6
	v_fmamk_f32 v40, v39, 0xbbbac73d, v36
	v_fmaak_f32 v40, v39, v40, 0xbd5c1c4e
	v_fmaak_f32 v40, v39, v40, 0x3e088382
	;; [unrolled: 1-line block ×3, first 2 shown]
	v_mul_f32_e64 v40, |v6|, v40
	v_fma_f32 v39, v39, v40, |v6|
; %bb.127:                              ;   in Loop: Header=BB589_3 Depth=1
	s_or_b64 exec, exec, s[20:21]
	v_and_b32_e32 v7, 0xffff0000, v7
	v_mul_f32_e32 v40, v7, v7
	v_mul_f32_e32 v40, v40, v7
	v_fmamk_f32 v40, v40, 0x3d372713, v7
	v_mul_f32_e32 v40, 0x3f4c422a, v40
	v_cmp_nlt_f32_e64 s[20:21], |v40|, s22
                                        ; implicit-def: $vgpr41
	s_and_saveexec_b64 s[28:29], s[20:21]
	s_xor_b64 s[20:21], exec, s[28:29]
	s_cbranch_execz .LBB589_129
; %bb.128:                              ;   in Loop: Header=BB589_3 Depth=1
	v_add_f32_e64 v41, |v40|, |v40|
	v_mul_f32_e32 v42, 0x3fb8aa3b, v41
	v_rndne_f32_e32 v43, v42
	v_sub_f32_e32 v44, v42, v43
	v_fma_f32 v42, v41, s23, -v42
	v_fmac_f32_e32 v42, 0x32a5705f, v41
	v_add_f32_e32 v42, v44, v42
	v_cvt_i32_f32_e32 v43, v43
	v_exp_f32_e32 v42, v42
	v_cmp_ngt_f32_e32 vcc, s24, v41
	v_ldexp_f32 v42, v42, v43
	s_nop 0
	v_cndmask_b32_e32 v42, 0, v42, vcc
	v_cmp_nlt_f32_e32 vcc, s25, v41
	s_nop 1
	v_cndmask_b32_e32 v41, v37, v42, vcc
	v_add_f32_e32 v41, 1.0, v41
	v_rcp_f32_e32 v41, v41
	s_nop 0
	v_fma_f32 v41, v41, -2.0, 1.0
.LBB589_129:                            ;   in Loop: Header=BB589_3 Depth=1
	s_andn2_saveexec_b64 s[20:21], s[20:21]
	s_cbranch_execz .LBB589_2
; %bb.130:                              ;   in Loop: Header=BB589_3 Depth=1
	v_mul_f32_e32 v41, v40, v40
	v_fmamk_f32 v42, v41, 0xbbbac73d, v36
	v_fmaak_f32 v42, v41, v42, 0xbd5c1c4e
	v_fmaak_f32 v42, v41, v42, 0x3e088382
	;; [unrolled: 1-line block ×3, first 2 shown]
	v_mul_f32_e64 v42, |v40|, v42
	v_fma_f32 v41, v41, v42, |v40|
	s_branch .LBB589_2
.LBB589_131:
	s_endpgm
	.section	.rodata,"a",@progbits
	.p2align	6, 0x0
	.amdhsa_kernel _ZN5aiter18act_and_mul_kernelIttTnPFfRKT_EXadL_ZNS_16gelu_tanh_kernelItEEfS3_EELi32ELb0ELi3EEEvPT0_PS2_if
		.amdhsa_group_segment_fixed_size 0
		.amdhsa_private_segment_fixed_size 0
		.amdhsa_kernarg_size 280
		.amdhsa_user_sgpr_count 2
		.amdhsa_user_sgpr_dispatch_ptr 0
		.amdhsa_user_sgpr_queue_ptr 0
		.amdhsa_user_sgpr_kernarg_segment_ptr 1
		.amdhsa_user_sgpr_dispatch_id 0
		.amdhsa_user_sgpr_kernarg_preload_length 0
		.amdhsa_user_sgpr_kernarg_preload_offset 0
		.amdhsa_user_sgpr_private_segment_size 0
		.amdhsa_uses_dynamic_stack 0
		.amdhsa_enable_private_segment 0
		.amdhsa_system_sgpr_workgroup_id_x 1
		.amdhsa_system_sgpr_workgroup_id_y 0
		.amdhsa_system_sgpr_workgroup_id_z 0
		.amdhsa_system_sgpr_workgroup_info 0
		.amdhsa_system_vgpr_workitem_id 0
		.amdhsa_next_free_vgpr 45
		.amdhsa_next_free_sgpr 30
		.amdhsa_accum_offset 48
		.amdhsa_reserve_vcc 1
		.amdhsa_float_round_mode_32 0
		.amdhsa_float_round_mode_16_64 0
		.amdhsa_float_denorm_mode_32 3
		.amdhsa_float_denorm_mode_16_64 3
		.amdhsa_dx10_clamp 1
		.amdhsa_ieee_mode 1
		.amdhsa_fp16_overflow 0
		.amdhsa_tg_split 0
		.amdhsa_exception_fp_ieee_invalid_op 0
		.amdhsa_exception_fp_denorm_src 0
		.amdhsa_exception_fp_ieee_div_zero 0
		.amdhsa_exception_fp_ieee_overflow 0
		.amdhsa_exception_fp_ieee_underflow 0
		.amdhsa_exception_fp_ieee_inexact 0
		.amdhsa_exception_int_div_zero 0
	.end_amdhsa_kernel
	.section	.text._ZN5aiter18act_and_mul_kernelIttTnPFfRKT_EXadL_ZNS_16gelu_tanh_kernelItEEfS3_EELi32ELb0ELi3EEEvPT0_PS2_if,"axG",@progbits,_ZN5aiter18act_and_mul_kernelIttTnPFfRKT_EXadL_ZNS_16gelu_tanh_kernelItEEfS3_EELi32ELb0ELi3EEEvPT0_PS2_if,comdat
.Lfunc_end589:
	.size	_ZN5aiter18act_and_mul_kernelIttTnPFfRKT_EXadL_ZNS_16gelu_tanh_kernelItEEfS3_EELi32ELb0ELi3EEEvPT0_PS2_if, .Lfunc_end589-_ZN5aiter18act_and_mul_kernelIttTnPFfRKT_EXadL_ZNS_16gelu_tanh_kernelItEEfS3_EELi32ELb0ELi3EEEvPT0_PS2_if
                                        ; -- End function
	.section	.AMDGPU.csdata,"",@progbits
; Kernel info:
; codeLenInByte = 8364
; NumSgprs: 36
; NumVgprs: 45
; NumAgprs: 0
; TotalNumVgprs: 45
; ScratchSize: 0
; MemoryBound: 0
; FloatMode: 240
; IeeeMode: 1
; LDSByteSize: 0 bytes/workgroup (compile time only)
; SGPRBlocks: 4
; VGPRBlocks: 5
; NumSGPRsForWavesPerEU: 36
; NumVGPRsForWavesPerEU: 45
; AccumOffset: 48
; Occupancy: 8
; WaveLimiterHint : 0
; COMPUTE_PGM_RSRC2:SCRATCH_EN: 0
; COMPUTE_PGM_RSRC2:USER_SGPR: 2
; COMPUTE_PGM_RSRC2:TRAP_HANDLER: 0
; COMPUTE_PGM_RSRC2:TGID_X_EN: 1
; COMPUTE_PGM_RSRC2:TGID_Y_EN: 0
; COMPUTE_PGM_RSRC2:TGID_Z_EN: 0
; COMPUTE_PGM_RSRC2:TIDIG_COMP_CNT: 0
; COMPUTE_PGM_RSRC3_GFX90A:ACCUM_OFFSET: 11
; COMPUTE_PGM_RSRC3_GFX90A:TG_SPLIT: 0
	.section	.text._ZN5aiter18act_and_mul_kernelIttTnPFfRKT_EXadL_ZNS_16gelu_tanh_kernelItEEfS3_EELi16ELb0ELi3EEEvPT0_PS2_if,"axG",@progbits,_ZN5aiter18act_and_mul_kernelIttTnPFfRKT_EXadL_ZNS_16gelu_tanh_kernelItEEfS3_EELi16ELb0ELi3EEEvPT0_PS2_if,comdat
	.protected	_ZN5aiter18act_and_mul_kernelIttTnPFfRKT_EXadL_ZNS_16gelu_tanh_kernelItEEfS3_EELi16ELb0ELi3EEEvPT0_PS2_if ; -- Begin function _ZN5aiter18act_and_mul_kernelIttTnPFfRKT_EXadL_ZNS_16gelu_tanh_kernelItEEfS3_EELi16ELb0ELi3EEEvPT0_PS2_if
	.globl	_ZN5aiter18act_and_mul_kernelIttTnPFfRKT_EXadL_ZNS_16gelu_tanh_kernelItEEfS3_EELi16ELb0ELi3EEEvPT0_PS2_if
	.p2align	8
	.type	_ZN5aiter18act_and_mul_kernelIttTnPFfRKT_EXadL_ZNS_16gelu_tanh_kernelItEEfS3_EELi16ELb0ELi3EEEvPT0_PS2_if,@function
_ZN5aiter18act_and_mul_kernelIttTnPFfRKT_EXadL_ZNS_16gelu_tanh_kernelItEEfS3_EELi16ELb0ELi3EEEvPT0_PS2_if: ; @_ZN5aiter18act_and_mul_kernelIttTnPFfRKT_EXadL_ZNS_16gelu_tanh_kernelItEEfS3_EELi16ELb0ELi3EEEvPT0_PS2_if
; %bb.0:
	s_load_dword s16, s[0:1], 0x10
	v_lshlrev_b32_e32 v16, 4, v0
	s_waitcnt lgkmcnt(0)
	v_cmp_gt_i32_e32 vcc, s16, v16
	s_and_saveexec_b64 s[4:5], vcc
	s_cbranch_execz .LBB590_67
; %bb.1:
	s_load_dwordx4 s[12:15], s[0:1], 0x0
	s_ashr_i32 s17, s16, 31
	s_mul_hi_u32 s3, s16, s2
	s_mul_i32 s4, s17, s2
	s_add_i32 s3, s3, s4
	s_mul_i32 s2, s16, s2
	s_lshl_b64 s[10:11], s[2:3], 1
	s_lshl_b64 s[2:3], s[2:3], 2
	s_waitcnt lgkmcnt(0)
	s_add_u32 s4, s14, s2
	s_addc_u32 s5, s15, s3
	s_lshl_b64 s[2:3], s[16:17], 1
	s_add_u32 s8, s4, s2
	s_addc_u32 s2, s5, s3
	s_add_i32 s3, s16, 1
	s_lshr_b32 s6, s3, 31
	s_add_i32 s3, s3, s6
	s_lshl_b32 s3, s3, 1
	s_and_b32 s6, s3, -4
	s_and_b32 s5, s5, 0xffff
	s_and_b32 s9, s2, 0xffff
	s_add_u32 s12, s12, s10
	s_addc_u32 s2, s13, s11
	s_and_b32 s13, s2, 0xffff
	s_mov_b32 s7, 0x20000
	s_add_u32 s0, s0, 24
	v_mov_b32_e32 v17, 0
	s_addc_u32 s1, s1, 0
	s_mov_b64 s[2:3], 0
	s_mov_b32 s19, 0
	s_mov_b32 s10, s6
	;; [unrolled: 1-line block ×7, first 2 shown]
	v_mov_b32_e32 v20, 0x3ca908c9
	s_brev_b32 s26, -2
	s_mov_b32 s27, 0x7060302
	v_mov_b32_e32 v21, 0x7f800000
	s_mov_b32 s14, s6
	s_mov_b32 s15, s7
                                        ; implicit-def: $vgpr0
                                        ; implicit-def: $vgpr0
	;; [unrolled: 1-line block ×3, first 2 shown]
	s_branch .LBB590_3
.LBB590_2:                              ;   in Loop: Header=BB590_3 Depth=1
	s_or_b64 exec, exec, s[20:21]
	v_bfi_b32 v6, s26, v23, v6
	v_mul_f32_e32 v2, 0.5, v2
	v_add_f32_e32 v6, 1.0, v6
	v_mul_f32_e32 v2, v2, v6
	v_bfi_b32 v6, s26, v25, v24
	v_and_b32_e32 v27, 0xffff0000, v3
	v_lshlrev_b32_e32 v26, 16, v3
	v_mul_f32_e32 v3, 0.5, v7
	v_add_f32_e32 v6, 1.0, v6
	v_mul_f32_e32 v3, v3, v6
	;;#ASMSTART
	v_pk_mul_f32 v[2:3], v[2:3], v[26:27]
	;;#ASMEND
	s_load_dword s18, s[0:1], 0xc
	v_perm_b32 v11, v11, v10, s27
	v_perm_b32 v10, v13, v12, s27
	v_perm_b32 v9, v9, v8, s27
	v_perm_b32 v8, v19, v18, s27
	s_waitcnt lgkmcnt(0)
	s_and_b32 s18, s18, 0xffff
	s_lshl_b32 s18, s18, 4
	v_lshl_add_u64 v[16:17], s[18:19], 0, v[16:17]
	v_cmp_le_i64_e32 vcc, s[16:17], v[16:17]
	v_perm_b32 v3, v3, v2, s27
	v_perm_b32 v2, v5, v4, s27
	;; [unrolled: 1-line block ×4, first 2 shown]
	s_or_b64 s[2:3], vcc, s[2:3]
	buffer_store_dwordx4 v[8:11], v22, s[12:15], 0 offen
	buffer_store_dwordx4 v[0:3], v22, s[12:15], 16 offen
	s_andn2_b64 exec, exec, s[2:3]
	s_cbranch_execz .LBB590_67
.LBB590_3:                              ; =>This Inner Loop Header: Depth=1
	v_lshlrev_b32_e32 v22, 1, v16
	buffer_load_dwordx4 v[12:15], v22, s[4:7], 0 offen sc0 nt
	buffer_load_dwordx4 v[4:7], v22, s[4:7], 16 offen sc0 nt
	;; [unrolled: 1-line block ×4, first 2 shown]
                                        ; implicit-def: $vgpr23
	s_waitcnt vmcnt(3)
	v_lshlrev_b32_e32 v18, 16, v12
	v_mul_f32_e32 v19, v18, v18
	v_mul_f32_e32 v19, v19, v18
	v_fmamk_f32 v19, v19, 0x3d372713, v18
	v_mul_f32_e32 v19, 0x3f4c422a, v19
	v_cmp_nlt_f32_e64 s[20:21], |v19|, s22
	s_and_saveexec_b64 s[28:29], s[20:21]
	s_xor_b64 s[20:21], exec, s[28:29]
	s_cbranch_execz .LBB590_5
; %bb.4:                                ;   in Loop: Header=BB590_3 Depth=1
	v_add_f32_e64 v23, |v19|, |v19|
	v_mul_f32_e32 v24, 0x3fb8aa3b, v23
	v_rndne_f32_e32 v25, v24
	v_sub_f32_e32 v26, v24, v25
	v_fma_f32 v24, v23, s23, -v24
	v_fmac_f32_e32 v24, 0x32a5705f, v23
	v_add_f32_e32 v24, v26, v24
	v_cvt_i32_f32_e32 v25, v25
	v_exp_f32_e32 v24, v24
	v_cmp_ngt_f32_e32 vcc, s24, v23
	v_ldexp_f32 v24, v24, v25
	s_nop 0
	v_cndmask_b32_e32 v24, 0, v24, vcc
	v_cmp_nlt_f32_e32 vcc, s25, v23
	s_nop 1
	v_cndmask_b32_e32 v23, v21, v24, vcc
	v_add_f32_e32 v23, 1.0, v23
	v_rcp_f32_e32 v23, v23
	s_nop 0
	v_fma_f32 v23, v23, -2.0, 1.0
.LBB590_5:                              ;   in Loop: Header=BB590_3 Depth=1
	s_andn2_saveexec_b64 s[20:21], s[20:21]
; %bb.6:                                ;   in Loop: Header=BB590_3 Depth=1
	v_mul_f32_e32 v23, v19, v19
	v_fmamk_f32 v24, v23, 0xbbbac73d, v20
	v_fmaak_f32 v24, v23, v24, 0xbd5c1c4e
	v_fmaak_f32 v24, v23, v24, 0x3e088382
	;; [unrolled: 1-line block ×3, first 2 shown]
	v_mul_f32_e64 v24, |v19|, v24
	v_fma_f32 v23, v23, v24, |v19|
; %bb.7:                                ;   in Loop: Header=BB590_3 Depth=1
	s_or_b64 exec, exec, s[20:21]
	v_and_b32_e32 v12, 0xffff0000, v12
	v_mul_f32_e32 v24, v12, v12
	v_mul_f32_e32 v24, v24, v12
	v_fmamk_f32 v24, v24, 0x3d372713, v12
	v_mul_f32_e32 v24, 0x3f4c422a, v24
	v_cmp_nlt_f32_e64 s[20:21], |v24|, s22
                                        ; implicit-def: $vgpr25
	s_and_saveexec_b64 s[28:29], s[20:21]
	s_xor_b64 s[20:21], exec, s[28:29]
	s_cbranch_execz .LBB590_9
; %bb.8:                                ;   in Loop: Header=BB590_3 Depth=1
	v_add_f32_e64 v25, |v24|, |v24|
	v_mul_f32_e32 v26, 0x3fb8aa3b, v25
	v_rndne_f32_e32 v27, v26
	v_sub_f32_e32 v28, v26, v27
	v_fma_f32 v26, v25, s23, -v26
	v_fmac_f32_e32 v26, 0x32a5705f, v25
	v_add_f32_e32 v26, v28, v26
	v_cvt_i32_f32_e32 v27, v27
	v_exp_f32_e32 v26, v26
	v_cmp_ngt_f32_e32 vcc, s24, v25
	v_ldexp_f32 v26, v26, v27
	s_nop 0
	v_cndmask_b32_e32 v26, 0, v26, vcc
	v_cmp_nlt_f32_e32 vcc, s25, v25
	s_nop 1
	v_cndmask_b32_e32 v25, v21, v26, vcc
	v_add_f32_e32 v25, 1.0, v25
	v_rcp_f32_e32 v25, v25
	s_nop 0
	v_fma_f32 v25, v25, -2.0, 1.0
.LBB590_9:                              ;   in Loop: Header=BB590_3 Depth=1
	s_andn2_saveexec_b64 s[20:21], s[20:21]
; %bb.10:                               ;   in Loop: Header=BB590_3 Depth=1
	v_mul_f32_e32 v25, v24, v24
	v_fmamk_f32 v26, v25, 0xbbbac73d, v20
	v_fmaak_f32 v26, v25, v26, 0xbd5c1c4e
	v_fmaak_f32 v26, v25, v26, 0x3e088382
	;; [unrolled: 1-line block ×3, first 2 shown]
	v_mul_f32_e64 v26, |v24|, v26
	v_fma_f32 v25, v25, v26, |v24|
; %bb.11:                               ;   in Loop: Header=BB590_3 Depth=1
	s_or_b64 exec, exec, s[20:21]
	v_bfi_b32 v19, s26, v23, v19
	s_waitcnt vmcnt(1)
	v_and_b32_e32 v27, 0xffff0000, v8
	v_lshlrev_b32_e32 v26, 16, v8
	v_mul_f32_e32 v8, 0.5, v12
	v_bfi_b32 v12, s26, v25, v24
	v_mul_f32_e32 v18, 0.5, v18
	v_add_f32_e32 v19, 1.0, v19
	v_add_f32_e32 v12, 1.0, v12
	v_mul_f32_e32 v18, v18, v19
	v_mul_f32_e32 v19, v8, v12
	v_lshlrev_b32_e32 v8, 16, v13
	v_mul_f32_e32 v12, v8, v8
	v_mul_f32_e32 v12, v12, v8
	v_fmamk_f32 v12, v12, 0x3d372713, v8
	v_mul_f32_e32 v12, 0x3f4c422a, v12
	v_cmp_nlt_f32_e64 s[20:21], |v12|, s22
	;;#ASMSTART
	v_pk_mul_f32 v[18:19], v[18:19], v[26:27]
	;;#ASMEND
                                        ; implicit-def: $vgpr23
	s_and_saveexec_b64 s[28:29], s[20:21]
	s_xor_b64 s[20:21], exec, s[28:29]
	s_cbranch_execz .LBB590_13
; %bb.12:                               ;   in Loop: Header=BB590_3 Depth=1
	v_add_f32_e64 v23, |v12|, |v12|
	v_mul_f32_e32 v24, 0x3fb8aa3b, v23
	v_rndne_f32_e32 v25, v24
	v_sub_f32_e32 v26, v24, v25
	v_fma_f32 v24, v23, s23, -v24
	v_fmac_f32_e32 v24, 0x32a5705f, v23
	v_add_f32_e32 v24, v26, v24
	v_cvt_i32_f32_e32 v25, v25
	v_exp_f32_e32 v24, v24
	v_cmp_ngt_f32_e32 vcc, s24, v23
	v_ldexp_f32 v24, v24, v25
	s_nop 0
	v_cndmask_b32_e32 v24, 0, v24, vcc
	v_cmp_nlt_f32_e32 vcc, s25, v23
	s_nop 1
	v_cndmask_b32_e32 v23, v21, v24, vcc
	v_add_f32_e32 v23, 1.0, v23
	v_rcp_f32_e32 v23, v23
	s_nop 0
	v_fma_f32 v23, v23, -2.0, 1.0
.LBB590_13:                             ;   in Loop: Header=BB590_3 Depth=1
	s_andn2_saveexec_b64 s[20:21], s[20:21]
; %bb.14:                               ;   in Loop: Header=BB590_3 Depth=1
	v_mul_f32_e32 v23, v12, v12
	v_fmamk_f32 v24, v23, 0xbbbac73d, v20
	v_fmaak_f32 v24, v23, v24, 0xbd5c1c4e
	v_fmaak_f32 v24, v23, v24, 0x3e088382
	v_fmaak_f32 v24, v23, v24, 0xbeaaaa99
	v_mul_f32_e64 v24, |v12|, v24
	v_fma_f32 v23, v23, v24, |v12|
; %bb.15:                               ;   in Loop: Header=BB590_3 Depth=1
	s_or_b64 exec, exec, s[20:21]
	v_and_b32_e32 v13, 0xffff0000, v13
	v_mul_f32_e32 v24, v13, v13
	v_mul_f32_e32 v24, v24, v13
	v_fmamk_f32 v24, v24, 0x3d372713, v13
	v_mul_f32_e32 v24, 0x3f4c422a, v24
	v_cmp_nlt_f32_e64 s[20:21], |v24|, s22
                                        ; implicit-def: $vgpr25
	s_and_saveexec_b64 s[28:29], s[20:21]
	s_xor_b64 s[20:21], exec, s[28:29]
	s_cbranch_execz .LBB590_17
; %bb.16:                               ;   in Loop: Header=BB590_3 Depth=1
	v_add_f32_e64 v25, |v24|, |v24|
	v_mul_f32_e32 v26, 0x3fb8aa3b, v25
	v_rndne_f32_e32 v27, v26
	v_sub_f32_e32 v28, v26, v27
	v_fma_f32 v26, v25, s23, -v26
	v_fmac_f32_e32 v26, 0x32a5705f, v25
	v_add_f32_e32 v26, v28, v26
	v_cvt_i32_f32_e32 v27, v27
	v_exp_f32_e32 v26, v26
	v_cmp_ngt_f32_e32 vcc, s24, v25
	v_ldexp_f32 v26, v26, v27
	s_nop 0
	v_cndmask_b32_e32 v26, 0, v26, vcc
	v_cmp_nlt_f32_e32 vcc, s25, v25
	s_nop 1
	v_cndmask_b32_e32 v25, v21, v26, vcc
	v_add_f32_e32 v25, 1.0, v25
	v_rcp_f32_e32 v25, v25
	s_nop 0
	v_fma_f32 v25, v25, -2.0, 1.0
.LBB590_17:                             ;   in Loop: Header=BB590_3 Depth=1
	s_andn2_saveexec_b64 s[20:21], s[20:21]
; %bb.18:                               ;   in Loop: Header=BB590_3 Depth=1
	v_mul_f32_e32 v25, v24, v24
	v_fmamk_f32 v26, v25, 0xbbbac73d, v20
	v_fmaak_f32 v26, v25, v26, 0xbd5c1c4e
	v_fmaak_f32 v26, v25, v26, 0x3e088382
	;; [unrolled: 1-line block ×3, first 2 shown]
	v_mul_f32_e64 v26, |v24|, v26
	v_fma_f32 v25, v25, v26, |v24|
; %bb.19:                               ;   in Loop: Header=BB590_3 Depth=1
	s_or_b64 exec, exec, s[20:21]
	v_bfi_b32 v12, s26, v23, v12
	v_mul_f32_e32 v8, 0.5, v8
	v_add_f32_e32 v12, 1.0, v12
	v_mul_f32_e32 v8, v8, v12
	v_bfi_b32 v12, s26, v25, v24
	v_and_b32_e32 v27, 0xffff0000, v9
	v_lshlrev_b32_e32 v26, 16, v9
	v_mul_f32_e32 v9, 0.5, v13
	v_add_f32_e32 v12, 1.0, v12
	v_mul_f32_e32 v9, v9, v12
	v_lshlrev_b32_e32 v12, 16, v14
	v_mul_f32_e32 v13, v12, v12
	v_mul_f32_e32 v13, v13, v12
	v_fmamk_f32 v13, v13, 0x3d372713, v12
	v_mul_f32_e32 v13, 0x3f4c422a, v13
	v_cmp_nlt_f32_e64 s[20:21], |v13|, s22
	;;#ASMSTART
	v_pk_mul_f32 v[8:9], v[8:9], v[26:27]
	;;#ASMEND
                                        ; implicit-def: $vgpr23
	s_and_saveexec_b64 s[28:29], s[20:21]
	s_xor_b64 s[20:21], exec, s[28:29]
	s_cbranch_execz .LBB590_21
; %bb.20:                               ;   in Loop: Header=BB590_3 Depth=1
	v_add_f32_e64 v23, |v13|, |v13|
	v_mul_f32_e32 v24, 0x3fb8aa3b, v23
	v_rndne_f32_e32 v25, v24
	v_sub_f32_e32 v26, v24, v25
	v_fma_f32 v24, v23, s23, -v24
	v_fmac_f32_e32 v24, 0x32a5705f, v23
	v_add_f32_e32 v24, v26, v24
	v_cvt_i32_f32_e32 v25, v25
	v_exp_f32_e32 v24, v24
	v_cmp_ngt_f32_e32 vcc, s24, v23
	v_ldexp_f32 v24, v24, v25
	s_nop 0
	v_cndmask_b32_e32 v24, 0, v24, vcc
	v_cmp_nlt_f32_e32 vcc, s25, v23
	s_nop 1
	v_cndmask_b32_e32 v23, v21, v24, vcc
	v_add_f32_e32 v23, 1.0, v23
	v_rcp_f32_e32 v23, v23
	s_nop 0
	v_fma_f32 v23, v23, -2.0, 1.0
.LBB590_21:                             ;   in Loop: Header=BB590_3 Depth=1
	s_andn2_saveexec_b64 s[20:21], s[20:21]
; %bb.22:                               ;   in Loop: Header=BB590_3 Depth=1
	v_mul_f32_e32 v23, v13, v13
	v_fmamk_f32 v24, v23, 0xbbbac73d, v20
	v_fmaak_f32 v24, v23, v24, 0xbd5c1c4e
	v_fmaak_f32 v24, v23, v24, 0x3e088382
	;; [unrolled: 1-line block ×3, first 2 shown]
	v_mul_f32_e64 v24, |v13|, v24
	v_fma_f32 v23, v23, v24, |v13|
; %bb.23:                               ;   in Loop: Header=BB590_3 Depth=1
	s_or_b64 exec, exec, s[20:21]
	v_and_b32_e32 v14, 0xffff0000, v14
	v_mul_f32_e32 v24, v14, v14
	v_mul_f32_e32 v24, v24, v14
	v_fmamk_f32 v24, v24, 0x3d372713, v14
	v_mul_f32_e32 v24, 0x3f4c422a, v24
	v_cmp_nlt_f32_e64 s[20:21], |v24|, s22
                                        ; implicit-def: $vgpr25
	s_and_saveexec_b64 s[28:29], s[20:21]
	s_xor_b64 s[20:21], exec, s[28:29]
	s_cbranch_execz .LBB590_25
; %bb.24:                               ;   in Loop: Header=BB590_3 Depth=1
	v_add_f32_e64 v25, |v24|, |v24|
	v_mul_f32_e32 v26, 0x3fb8aa3b, v25
	v_rndne_f32_e32 v27, v26
	v_sub_f32_e32 v28, v26, v27
	v_fma_f32 v26, v25, s23, -v26
	v_fmac_f32_e32 v26, 0x32a5705f, v25
	v_add_f32_e32 v26, v28, v26
	v_cvt_i32_f32_e32 v27, v27
	v_exp_f32_e32 v26, v26
	v_cmp_ngt_f32_e32 vcc, s24, v25
	v_ldexp_f32 v26, v26, v27
	s_nop 0
	v_cndmask_b32_e32 v26, 0, v26, vcc
	v_cmp_nlt_f32_e32 vcc, s25, v25
	s_nop 1
	v_cndmask_b32_e32 v25, v21, v26, vcc
	v_add_f32_e32 v25, 1.0, v25
	v_rcp_f32_e32 v25, v25
	s_nop 0
	v_fma_f32 v25, v25, -2.0, 1.0
.LBB590_25:                             ;   in Loop: Header=BB590_3 Depth=1
	s_andn2_saveexec_b64 s[20:21], s[20:21]
; %bb.26:                               ;   in Loop: Header=BB590_3 Depth=1
	v_mul_f32_e32 v25, v24, v24
	v_fmamk_f32 v26, v25, 0xbbbac73d, v20
	v_fmaak_f32 v26, v25, v26, 0xbd5c1c4e
	v_fmaak_f32 v26, v25, v26, 0x3e088382
	;; [unrolled: 1-line block ×3, first 2 shown]
	v_mul_f32_e64 v26, |v24|, v26
	v_fma_f32 v25, v25, v26, |v24|
; %bb.27:                               ;   in Loop: Header=BB590_3 Depth=1
	s_or_b64 exec, exec, s[20:21]
	v_bfi_b32 v13, s26, v23, v13
	v_mul_f32_e32 v12, 0.5, v12
	v_add_f32_e32 v13, 1.0, v13
	v_mul_f32_e32 v12, v12, v13
	v_bfi_b32 v13, s26, v25, v24
	v_and_b32_e32 v27, 0xffff0000, v10
	v_lshlrev_b32_e32 v26, 16, v10
	v_mul_f32_e32 v10, 0.5, v14
	v_add_f32_e32 v13, 1.0, v13
	v_mul_f32_e32 v13, v10, v13
	v_lshlrev_b32_e32 v10, 16, v15
	v_mul_f32_e32 v14, v10, v10
	v_mul_f32_e32 v14, v14, v10
	v_fmamk_f32 v14, v14, 0x3d372713, v10
	v_mul_f32_e32 v14, 0x3f4c422a, v14
	v_cmp_nlt_f32_e64 s[20:21], |v14|, s22
	;;#ASMSTART
	v_pk_mul_f32 v[12:13], v[12:13], v[26:27]
	;;#ASMEND
                                        ; implicit-def: $vgpr23
	s_and_saveexec_b64 s[28:29], s[20:21]
	s_xor_b64 s[20:21], exec, s[28:29]
	s_cbranch_execz .LBB590_29
; %bb.28:                               ;   in Loop: Header=BB590_3 Depth=1
	v_add_f32_e64 v23, |v14|, |v14|
	v_mul_f32_e32 v24, 0x3fb8aa3b, v23
	v_rndne_f32_e32 v25, v24
	v_sub_f32_e32 v26, v24, v25
	v_fma_f32 v24, v23, s23, -v24
	v_fmac_f32_e32 v24, 0x32a5705f, v23
	v_add_f32_e32 v24, v26, v24
	v_cvt_i32_f32_e32 v25, v25
	v_exp_f32_e32 v24, v24
	v_cmp_ngt_f32_e32 vcc, s24, v23
	v_ldexp_f32 v24, v24, v25
	s_nop 0
	v_cndmask_b32_e32 v24, 0, v24, vcc
	v_cmp_nlt_f32_e32 vcc, s25, v23
	s_nop 1
	v_cndmask_b32_e32 v23, v21, v24, vcc
	v_add_f32_e32 v23, 1.0, v23
	v_rcp_f32_e32 v23, v23
	s_nop 0
	v_fma_f32 v23, v23, -2.0, 1.0
.LBB590_29:                             ;   in Loop: Header=BB590_3 Depth=1
	s_andn2_saveexec_b64 s[20:21], s[20:21]
; %bb.30:                               ;   in Loop: Header=BB590_3 Depth=1
	v_mul_f32_e32 v23, v14, v14
	v_fmamk_f32 v24, v23, 0xbbbac73d, v20
	v_fmaak_f32 v24, v23, v24, 0xbd5c1c4e
	v_fmaak_f32 v24, v23, v24, 0x3e088382
	;; [unrolled: 1-line block ×3, first 2 shown]
	v_mul_f32_e64 v24, |v14|, v24
	v_fma_f32 v23, v23, v24, |v14|
; %bb.31:                               ;   in Loop: Header=BB590_3 Depth=1
	s_or_b64 exec, exec, s[20:21]
	v_and_b32_e32 v15, 0xffff0000, v15
	v_mul_f32_e32 v24, v15, v15
	v_mul_f32_e32 v24, v24, v15
	v_fmamk_f32 v24, v24, 0x3d372713, v15
	v_mul_f32_e32 v24, 0x3f4c422a, v24
	v_cmp_nlt_f32_e64 s[20:21], |v24|, s22
                                        ; implicit-def: $vgpr25
	s_and_saveexec_b64 s[28:29], s[20:21]
	s_xor_b64 s[20:21], exec, s[28:29]
	s_cbranch_execz .LBB590_33
; %bb.32:                               ;   in Loop: Header=BB590_3 Depth=1
	v_add_f32_e64 v25, |v24|, |v24|
	v_mul_f32_e32 v26, 0x3fb8aa3b, v25
	v_rndne_f32_e32 v27, v26
	v_sub_f32_e32 v28, v26, v27
	v_fma_f32 v26, v25, s23, -v26
	v_fmac_f32_e32 v26, 0x32a5705f, v25
	v_add_f32_e32 v26, v28, v26
	v_cvt_i32_f32_e32 v27, v27
	v_exp_f32_e32 v26, v26
	v_cmp_ngt_f32_e32 vcc, s24, v25
	v_ldexp_f32 v26, v26, v27
	s_nop 0
	v_cndmask_b32_e32 v26, 0, v26, vcc
	v_cmp_nlt_f32_e32 vcc, s25, v25
	s_nop 1
	v_cndmask_b32_e32 v25, v21, v26, vcc
	v_add_f32_e32 v25, 1.0, v25
	v_rcp_f32_e32 v25, v25
	s_nop 0
	v_fma_f32 v25, v25, -2.0, 1.0
.LBB590_33:                             ;   in Loop: Header=BB590_3 Depth=1
	s_andn2_saveexec_b64 s[20:21], s[20:21]
; %bb.34:                               ;   in Loop: Header=BB590_3 Depth=1
	v_mul_f32_e32 v25, v24, v24
	v_fmamk_f32 v26, v25, 0xbbbac73d, v20
	v_fmaak_f32 v26, v25, v26, 0xbd5c1c4e
	v_fmaak_f32 v26, v25, v26, 0x3e088382
	;; [unrolled: 1-line block ×3, first 2 shown]
	v_mul_f32_e64 v26, |v24|, v26
	v_fma_f32 v25, v25, v26, |v24|
; %bb.35:                               ;   in Loop: Header=BB590_3 Depth=1
	s_or_b64 exec, exec, s[20:21]
	v_bfi_b32 v14, s26, v23, v14
	v_mul_f32_e32 v10, 0.5, v10
	v_add_f32_e32 v14, 1.0, v14
	v_mul_f32_e32 v10, v10, v14
	v_bfi_b32 v14, s26, v25, v24
	v_and_b32_e32 v27, 0xffff0000, v11
	v_lshlrev_b32_e32 v26, 16, v11
	v_mul_f32_e32 v11, 0.5, v15
	v_add_f32_e32 v14, 1.0, v14
	v_mul_f32_e32 v11, v11, v14
	v_lshlrev_b32_e32 v14, 16, v4
	v_mul_f32_e32 v15, v14, v14
	v_mul_f32_e32 v15, v15, v14
	v_fmamk_f32 v15, v15, 0x3d372713, v14
	v_mul_f32_e32 v15, 0x3f4c422a, v15
	v_cmp_nlt_f32_e64 s[20:21], |v15|, s22
	;;#ASMSTART
	v_pk_mul_f32 v[10:11], v[10:11], v[26:27]
	;;#ASMEND
                                        ; implicit-def: $vgpr23
	s_and_saveexec_b64 s[28:29], s[20:21]
	s_xor_b64 s[20:21], exec, s[28:29]
	s_cbranch_execz .LBB590_37
; %bb.36:                               ;   in Loop: Header=BB590_3 Depth=1
	v_add_f32_e64 v23, |v15|, |v15|
	v_mul_f32_e32 v24, 0x3fb8aa3b, v23
	v_rndne_f32_e32 v25, v24
	v_sub_f32_e32 v26, v24, v25
	v_fma_f32 v24, v23, s23, -v24
	v_fmac_f32_e32 v24, 0x32a5705f, v23
	v_add_f32_e32 v24, v26, v24
	v_cvt_i32_f32_e32 v25, v25
	v_exp_f32_e32 v24, v24
	v_cmp_ngt_f32_e32 vcc, s24, v23
	v_ldexp_f32 v24, v24, v25
	s_nop 0
	v_cndmask_b32_e32 v24, 0, v24, vcc
	v_cmp_nlt_f32_e32 vcc, s25, v23
	s_nop 1
	v_cndmask_b32_e32 v23, v21, v24, vcc
	v_add_f32_e32 v23, 1.0, v23
	v_rcp_f32_e32 v23, v23
	s_nop 0
	v_fma_f32 v23, v23, -2.0, 1.0
.LBB590_37:                             ;   in Loop: Header=BB590_3 Depth=1
	s_andn2_saveexec_b64 s[20:21], s[20:21]
; %bb.38:                               ;   in Loop: Header=BB590_3 Depth=1
	v_mul_f32_e32 v23, v15, v15
	v_fmamk_f32 v24, v23, 0xbbbac73d, v20
	v_fmaak_f32 v24, v23, v24, 0xbd5c1c4e
	v_fmaak_f32 v24, v23, v24, 0x3e088382
	;; [unrolled: 1-line block ×3, first 2 shown]
	v_mul_f32_e64 v24, |v15|, v24
	v_fma_f32 v23, v23, v24, |v15|
; %bb.39:                               ;   in Loop: Header=BB590_3 Depth=1
	s_or_b64 exec, exec, s[20:21]
	v_and_b32_e32 v4, 0xffff0000, v4
	v_mul_f32_e32 v24, v4, v4
	v_mul_f32_e32 v24, v24, v4
	v_fmamk_f32 v24, v24, 0x3d372713, v4
	v_mul_f32_e32 v24, 0x3f4c422a, v24
	v_cmp_nlt_f32_e64 s[20:21], |v24|, s22
                                        ; implicit-def: $vgpr25
	s_and_saveexec_b64 s[28:29], s[20:21]
	s_xor_b64 s[20:21], exec, s[28:29]
	s_cbranch_execz .LBB590_41
; %bb.40:                               ;   in Loop: Header=BB590_3 Depth=1
	v_add_f32_e64 v25, |v24|, |v24|
	v_mul_f32_e32 v26, 0x3fb8aa3b, v25
	v_rndne_f32_e32 v27, v26
	v_sub_f32_e32 v28, v26, v27
	v_fma_f32 v26, v25, s23, -v26
	v_fmac_f32_e32 v26, 0x32a5705f, v25
	v_add_f32_e32 v26, v28, v26
	v_cvt_i32_f32_e32 v27, v27
	v_exp_f32_e32 v26, v26
	v_cmp_ngt_f32_e32 vcc, s24, v25
	v_ldexp_f32 v26, v26, v27
	s_nop 0
	v_cndmask_b32_e32 v26, 0, v26, vcc
	v_cmp_nlt_f32_e32 vcc, s25, v25
	s_nop 1
	v_cndmask_b32_e32 v25, v21, v26, vcc
	v_add_f32_e32 v25, 1.0, v25
	v_rcp_f32_e32 v25, v25
	s_nop 0
	v_fma_f32 v25, v25, -2.0, 1.0
.LBB590_41:                             ;   in Loop: Header=BB590_3 Depth=1
	s_andn2_saveexec_b64 s[20:21], s[20:21]
; %bb.42:                               ;   in Loop: Header=BB590_3 Depth=1
	v_mul_f32_e32 v25, v24, v24
	v_fmamk_f32 v26, v25, 0xbbbac73d, v20
	v_fmaak_f32 v26, v25, v26, 0xbd5c1c4e
	v_fmaak_f32 v26, v25, v26, 0x3e088382
	;; [unrolled: 1-line block ×3, first 2 shown]
	v_mul_f32_e64 v26, |v24|, v26
	v_fma_f32 v25, v25, v26, |v24|
; %bb.43:                               ;   in Loop: Header=BB590_3 Depth=1
	s_or_b64 exec, exec, s[20:21]
	v_bfi_b32 v15, s26, v23, v15
	s_waitcnt vmcnt(0)
	v_and_b32_e32 v27, 0xffff0000, v0
	v_lshlrev_b32_e32 v26, 16, v0
	v_mul_f32_e32 v0, 0.5, v4
	v_bfi_b32 v4, s26, v25, v24
	v_mul_f32_e32 v14, 0.5, v14
	v_add_f32_e32 v15, 1.0, v15
	v_add_f32_e32 v4, 1.0, v4
	v_mul_f32_e32 v14, v14, v15
	v_mul_f32_e32 v15, v0, v4
	v_lshlrev_b32_e32 v0, 16, v5
	v_mul_f32_e32 v4, v0, v0
	v_mul_f32_e32 v4, v4, v0
	v_fmamk_f32 v4, v4, 0x3d372713, v0
	v_mul_f32_e32 v4, 0x3f4c422a, v4
	v_cmp_nlt_f32_e64 s[20:21], |v4|, s22
	;;#ASMSTART
	v_pk_mul_f32 v[14:15], v[14:15], v[26:27]
	;;#ASMEND
                                        ; implicit-def: $vgpr23
	s_and_saveexec_b64 s[28:29], s[20:21]
	s_xor_b64 s[20:21], exec, s[28:29]
	s_cbranch_execz .LBB590_45
; %bb.44:                               ;   in Loop: Header=BB590_3 Depth=1
	v_add_f32_e64 v23, |v4|, |v4|
	v_mul_f32_e32 v24, 0x3fb8aa3b, v23
	v_rndne_f32_e32 v25, v24
	v_sub_f32_e32 v26, v24, v25
	v_fma_f32 v24, v23, s23, -v24
	v_fmac_f32_e32 v24, 0x32a5705f, v23
	v_add_f32_e32 v24, v26, v24
	v_cvt_i32_f32_e32 v25, v25
	v_exp_f32_e32 v24, v24
	v_cmp_ngt_f32_e32 vcc, s24, v23
	v_ldexp_f32 v24, v24, v25
	s_nop 0
	v_cndmask_b32_e32 v24, 0, v24, vcc
	v_cmp_nlt_f32_e32 vcc, s25, v23
	s_nop 1
	v_cndmask_b32_e32 v23, v21, v24, vcc
	v_add_f32_e32 v23, 1.0, v23
	v_rcp_f32_e32 v23, v23
	s_nop 0
	v_fma_f32 v23, v23, -2.0, 1.0
.LBB590_45:                             ;   in Loop: Header=BB590_3 Depth=1
	s_andn2_saveexec_b64 s[20:21], s[20:21]
; %bb.46:                               ;   in Loop: Header=BB590_3 Depth=1
	v_mul_f32_e32 v23, v4, v4
	v_fmamk_f32 v24, v23, 0xbbbac73d, v20
	v_fmaak_f32 v24, v23, v24, 0xbd5c1c4e
	v_fmaak_f32 v24, v23, v24, 0x3e088382
	v_fmaak_f32 v24, v23, v24, 0xbeaaaa99
	v_mul_f32_e64 v24, |v4|, v24
	v_fma_f32 v23, v23, v24, |v4|
; %bb.47:                               ;   in Loop: Header=BB590_3 Depth=1
	s_or_b64 exec, exec, s[20:21]
	v_and_b32_e32 v5, 0xffff0000, v5
	v_mul_f32_e32 v24, v5, v5
	v_mul_f32_e32 v24, v24, v5
	v_fmamk_f32 v24, v24, 0x3d372713, v5
	v_mul_f32_e32 v24, 0x3f4c422a, v24
	v_cmp_nlt_f32_e64 s[20:21], |v24|, s22
                                        ; implicit-def: $vgpr25
	s_and_saveexec_b64 s[28:29], s[20:21]
	s_xor_b64 s[20:21], exec, s[28:29]
	s_cbranch_execz .LBB590_49
; %bb.48:                               ;   in Loop: Header=BB590_3 Depth=1
	v_add_f32_e64 v25, |v24|, |v24|
	v_mul_f32_e32 v26, 0x3fb8aa3b, v25
	v_rndne_f32_e32 v27, v26
	v_sub_f32_e32 v28, v26, v27
	v_fma_f32 v26, v25, s23, -v26
	v_fmac_f32_e32 v26, 0x32a5705f, v25
	v_add_f32_e32 v26, v28, v26
	v_cvt_i32_f32_e32 v27, v27
	v_exp_f32_e32 v26, v26
	v_cmp_ngt_f32_e32 vcc, s24, v25
	v_ldexp_f32 v26, v26, v27
	s_nop 0
	v_cndmask_b32_e32 v26, 0, v26, vcc
	v_cmp_nlt_f32_e32 vcc, s25, v25
	s_nop 1
	v_cndmask_b32_e32 v25, v21, v26, vcc
	v_add_f32_e32 v25, 1.0, v25
	v_rcp_f32_e32 v25, v25
	s_nop 0
	v_fma_f32 v25, v25, -2.0, 1.0
.LBB590_49:                             ;   in Loop: Header=BB590_3 Depth=1
	s_andn2_saveexec_b64 s[20:21], s[20:21]
; %bb.50:                               ;   in Loop: Header=BB590_3 Depth=1
	v_mul_f32_e32 v25, v24, v24
	v_fmamk_f32 v26, v25, 0xbbbac73d, v20
	v_fmaak_f32 v26, v25, v26, 0xbd5c1c4e
	v_fmaak_f32 v26, v25, v26, 0x3e088382
	;; [unrolled: 1-line block ×3, first 2 shown]
	v_mul_f32_e64 v26, |v24|, v26
	v_fma_f32 v25, v25, v26, |v24|
; %bb.51:                               ;   in Loop: Header=BB590_3 Depth=1
	s_or_b64 exec, exec, s[20:21]
	v_bfi_b32 v4, s26, v23, v4
	v_mul_f32_e32 v0, 0.5, v0
	v_add_f32_e32 v4, 1.0, v4
	v_mul_f32_e32 v0, v0, v4
	v_bfi_b32 v4, s26, v25, v24
	v_and_b32_e32 v27, 0xffff0000, v1
	v_lshlrev_b32_e32 v26, 16, v1
	v_mul_f32_e32 v1, 0.5, v5
	v_add_f32_e32 v4, 1.0, v4
	v_mul_f32_e32 v1, v1, v4
	v_lshlrev_b32_e32 v4, 16, v6
	v_mul_f32_e32 v5, v4, v4
	v_mul_f32_e32 v5, v5, v4
	v_fmamk_f32 v5, v5, 0x3d372713, v4
	v_mul_f32_e32 v5, 0x3f4c422a, v5
	v_cmp_nlt_f32_e64 s[20:21], |v5|, s22
	;;#ASMSTART
	v_pk_mul_f32 v[0:1], v[0:1], v[26:27]
	;;#ASMEND
                                        ; implicit-def: $vgpr23
	s_and_saveexec_b64 s[28:29], s[20:21]
	s_xor_b64 s[20:21], exec, s[28:29]
	s_cbranch_execz .LBB590_53
; %bb.52:                               ;   in Loop: Header=BB590_3 Depth=1
	v_add_f32_e64 v23, |v5|, |v5|
	v_mul_f32_e32 v24, 0x3fb8aa3b, v23
	v_rndne_f32_e32 v25, v24
	v_sub_f32_e32 v26, v24, v25
	v_fma_f32 v24, v23, s23, -v24
	v_fmac_f32_e32 v24, 0x32a5705f, v23
	v_add_f32_e32 v24, v26, v24
	v_cvt_i32_f32_e32 v25, v25
	v_exp_f32_e32 v24, v24
	v_cmp_ngt_f32_e32 vcc, s24, v23
	v_ldexp_f32 v24, v24, v25
	s_nop 0
	v_cndmask_b32_e32 v24, 0, v24, vcc
	v_cmp_nlt_f32_e32 vcc, s25, v23
	s_nop 1
	v_cndmask_b32_e32 v23, v21, v24, vcc
	v_add_f32_e32 v23, 1.0, v23
	v_rcp_f32_e32 v23, v23
	s_nop 0
	v_fma_f32 v23, v23, -2.0, 1.0
.LBB590_53:                             ;   in Loop: Header=BB590_3 Depth=1
	s_andn2_saveexec_b64 s[20:21], s[20:21]
; %bb.54:                               ;   in Loop: Header=BB590_3 Depth=1
	v_mul_f32_e32 v23, v5, v5
	v_fmamk_f32 v24, v23, 0xbbbac73d, v20
	v_fmaak_f32 v24, v23, v24, 0xbd5c1c4e
	v_fmaak_f32 v24, v23, v24, 0x3e088382
	;; [unrolled: 1-line block ×3, first 2 shown]
	v_mul_f32_e64 v24, |v5|, v24
	v_fma_f32 v23, v23, v24, |v5|
; %bb.55:                               ;   in Loop: Header=BB590_3 Depth=1
	s_or_b64 exec, exec, s[20:21]
	v_and_b32_e32 v6, 0xffff0000, v6
	v_mul_f32_e32 v24, v6, v6
	v_mul_f32_e32 v24, v24, v6
	v_fmamk_f32 v24, v24, 0x3d372713, v6
	v_mul_f32_e32 v24, 0x3f4c422a, v24
	v_cmp_nlt_f32_e64 s[20:21], |v24|, s22
                                        ; implicit-def: $vgpr25
	s_and_saveexec_b64 s[28:29], s[20:21]
	s_xor_b64 s[20:21], exec, s[28:29]
	s_cbranch_execz .LBB590_57
; %bb.56:                               ;   in Loop: Header=BB590_3 Depth=1
	v_add_f32_e64 v25, |v24|, |v24|
	v_mul_f32_e32 v26, 0x3fb8aa3b, v25
	v_rndne_f32_e32 v27, v26
	v_sub_f32_e32 v28, v26, v27
	v_fma_f32 v26, v25, s23, -v26
	v_fmac_f32_e32 v26, 0x32a5705f, v25
	v_add_f32_e32 v26, v28, v26
	v_cvt_i32_f32_e32 v27, v27
	v_exp_f32_e32 v26, v26
	v_cmp_ngt_f32_e32 vcc, s24, v25
	v_ldexp_f32 v26, v26, v27
	s_nop 0
	v_cndmask_b32_e32 v26, 0, v26, vcc
	v_cmp_nlt_f32_e32 vcc, s25, v25
	s_nop 1
	v_cndmask_b32_e32 v25, v21, v26, vcc
	v_add_f32_e32 v25, 1.0, v25
	v_rcp_f32_e32 v25, v25
	s_nop 0
	v_fma_f32 v25, v25, -2.0, 1.0
.LBB590_57:                             ;   in Loop: Header=BB590_3 Depth=1
	s_andn2_saveexec_b64 s[20:21], s[20:21]
; %bb.58:                               ;   in Loop: Header=BB590_3 Depth=1
	v_mul_f32_e32 v25, v24, v24
	v_fmamk_f32 v26, v25, 0xbbbac73d, v20
	v_fmaak_f32 v26, v25, v26, 0xbd5c1c4e
	v_fmaak_f32 v26, v25, v26, 0x3e088382
	;; [unrolled: 1-line block ×3, first 2 shown]
	v_mul_f32_e64 v26, |v24|, v26
	v_fma_f32 v25, v25, v26, |v24|
; %bb.59:                               ;   in Loop: Header=BB590_3 Depth=1
	s_or_b64 exec, exec, s[20:21]
	v_bfi_b32 v5, s26, v23, v5
	v_mul_f32_e32 v4, 0.5, v4
	v_add_f32_e32 v5, 1.0, v5
	v_mul_f32_e32 v4, v4, v5
	v_bfi_b32 v5, s26, v25, v24
	v_and_b32_e32 v27, 0xffff0000, v2
	v_lshlrev_b32_e32 v26, 16, v2
	v_mul_f32_e32 v2, 0.5, v6
	v_add_f32_e32 v5, 1.0, v5
	v_mul_f32_e32 v5, v2, v5
	v_lshlrev_b32_e32 v2, 16, v7
	v_mul_f32_e32 v6, v2, v2
	v_mul_f32_e32 v6, v6, v2
	v_fmamk_f32 v6, v6, 0x3d372713, v2
	v_mul_f32_e32 v6, 0x3f4c422a, v6
	v_cmp_nlt_f32_e64 s[20:21], |v6|, s22
	;;#ASMSTART
	v_pk_mul_f32 v[4:5], v[4:5], v[26:27]
	;;#ASMEND
                                        ; implicit-def: $vgpr23
	s_and_saveexec_b64 s[28:29], s[20:21]
	s_xor_b64 s[20:21], exec, s[28:29]
	s_cbranch_execz .LBB590_61
; %bb.60:                               ;   in Loop: Header=BB590_3 Depth=1
	v_add_f32_e64 v23, |v6|, |v6|
	v_mul_f32_e32 v24, 0x3fb8aa3b, v23
	v_rndne_f32_e32 v25, v24
	v_sub_f32_e32 v26, v24, v25
	v_fma_f32 v24, v23, s23, -v24
	v_fmac_f32_e32 v24, 0x32a5705f, v23
	v_add_f32_e32 v24, v26, v24
	v_cvt_i32_f32_e32 v25, v25
	v_exp_f32_e32 v24, v24
	v_cmp_ngt_f32_e32 vcc, s24, v23
	v_ldexp_f32 v24, v24, v25
	s_nop 0
	v_cndmask_b32_e32 v24, 0, v24, vcc
	v_cmp_nlt_f32_e32 vcc, s25, v23
	s_nop 1
	v_cndmask_b32_e32 v23, v21, v24, vcc
	v_add_f32_e32 v23, 1.0, v23
	v_rcp_f32_e32 v23, v23
	s_nop 0
	v_fma_f32 v23, v23, -2.0, 1.0
.LBB590_61:                             ;   in Loop: Header=BB590_3 Depth=1
	s_andn2_saveexec_b64 s[20:21], s[20:21]
; %bb.62:                               ;   in Loop: Header=BB590_3 Depth=1
	v_mul_f32_e32 v23, v6, v6
	v_fmamk_f32 v24, v23, 0xbbbac73d, v20
	v_fmaak_f32 v24, v23, v24, 0xbd5c1c4e
	v_fmaak_f32 v24, v23, v24, 0x3e088382
	v_fmaak_f32 v24, v23, v24, 0xbeaaaa99
	v_mul_f32_e64 v24, |v6|, v24
	v_fma_f32 v23, v23, v24, |v6|
; %bb.63:                               ;   in Loop: Header=BB590_3 Depth=1
	s_or_b64 exec, exec, s[20:21]
	v_and_b32_e32 v7, 0xffff0000, v7
	v_mul_f32_e32 v24, v7, v7
	v_mul_f32_e32 v24, v24, v7
	v_fmamk_f32 v24, v24, 0x3d372713, v7
	v_mul_f32_e32 v24, 0x3f4c422a, v24
	v_cmp_nlt_f32_e64 s[20:21], |v24|, s22
                                        ; implicit-def: $vgpr25
	s_and_saveexec_b64 s[28:29], s[20:21]
	s_xor_b64 s[20:21], exec, s[28:29]
	s_cbranch_execz .LBB590_65
; %bb.64:                               ;   in Loop: Header=BB590_3 Depth=1
	v_add_f32_e64 v25, |v24|, |v24|
	v_mul_f32_e32 v26, 0x3fb8aa3b, v25
	v_rndne_f32_e32 v27, v26
	v_sub_f32_e32 v28, v26, v27
	v_fma_f32 v26, v25, s23, -v26
	v_fmac_f32_e32 v26, 0x32a5705f, v25
	v_add_f32_e32 v26, v28, v26
	v_cvt_i32_f32_e32 v27, v27
	v_exp_f32_e32 v26, v26
	v_cmp_ngt_f32_e32 vcc, s24, v25
	v_ldexp_f32 v26, v26, v27
	s_nop 0
	v_cndmask_b32_e32 v26, 0, v26, vcc
	v_cmp_nlt_f32_e32 vcc, s25, v25
	s_nop 1
	v_cndmask_b32_e32 v25, v21, v26, vcc
	v_add_f32_e32 v25, 1.0, v25
	v_rcp_f32_e32 v25, v25
	s_nop 0
	v_fma_f32 v25, v25, -2.0, 1.0
.LBB590_65:                             ;   in Loop: Header=BB590_3 Depth=1
	s_andn2_saveexec_b64 s[20:21], s[20:21]
	s_cbranch_execz .LBB590_2
; %bb.66:                               ;   in Loop: Header=BB590_3 Depth=1
	v_mul_f32_e32 v25, v24, v24
	v_fmamk_f32 v26, v25, 0xbbbac73d, v20
	v_fmaak_f32 v26, v25, v26, 0xbd5c1c4e
	v_fmaak_f32 v26, v25, v26, 0x3e088382
	;; [unrolled: 1-line block ×3, first 2 shown]
	v_mul_f32_e64 v26, |v24|, v26
	v_fma_f32 v25, v25, v26, |v24|
	s_branch .LBB590_2
.LBB590_67:
	s_endpgm
	.section	.rodata,"a",@progbits
	.p2align	6, 0x0
	.amdhsa_kernel _ZN5aiter18act_and_mul_kernelIttTnPFfRKT_EXadL_ZNS_16gelu_tanh_kernelItEEfS3_EELi16ELb0ELi3EEEvPT0_PS2_if
		.amdhsa_group_segment_fixed_size 0
		.amdhsa_private_segment_fixed_size 0
		.amdhsa_kernarg_size 280
		.amdhsa_user_sgpr_count 2
		.amdhsa_user_sgpr_dispatch_ptr 0
		.amdhsa_user_sgpr_queue_ptr 0
		.amdhsa_user_sgpr_kernarg_segment_ptr 1
		.amdhsa_user_sgpr_dispatch_id 0
		.amdhsa_user_sgpr_kernarg_preload_length 0
		.amdhsa_user_sgpr_kernarg_preload_offset 0
		.amdhsa_user_sgpr_private_segment_size 0
		.amdhsa_uses_dynamic_stack 0
		.amdhsa_enable_private_segment 0
		.amdhsa_system_sgpr_workgroup_id_x 1
		.amdhsa_system_sgpr_workgroup_id_y 0
		.amdhsa_system_sgpr_workgroup_id_z 0
		.amdhsa_system_sgpr_workgroup_info 0
		.amdhsa_system_vgpr_workitem_id 0
		.amdhsa_next_free_vgpr 29
		.amdhsa_next_free_sgpr 30
		.amdhsa_accum_offset 32
		.amdhsa_reserve_vcc 1
		.amdhsa_float_round_mode_32 0
		.amdhsa_float_round_mode_16_64 0
		.amdhsa_float_denorm_mode_32 3
		.amdhsa_float_denorm_mode_16_64 3
		.amdhsa_dx10_clamp 1
		.amdhsa_ieee_mode 1
		.amdhsa_fp16_overflow 0
		.amdhsa_tg_split 0
		.amdhsa_exception_fp_ieee_invalid_op 0
		.amdhsa_exception_fp_denorm_src 0
		.amdhsa_exception_fp_ieee_div_zero 0
		.amdhsa_exception_fp_ieee_overflow 0
		.amdhsa_exception_fp_ieee_underflow 0
		.amdhsa_exception_fp_ieee_inexact 0
		.amdhsa_exception_int_div_zero 0
	.end_amdhsa_kernel
	.section	.text._ZN5aiter18act_and_mul_kernelIttTnPFfRKT_EXadL_ZNS_16gelu_tanh_kernelItEEfS3_EELi16ELb0ELi3EEEvPT0_PS2_if,"axG",@progbits,_ZN5aiter18act_and_mul_kernelIttTnPFfRKT_EXadL_ZNS_16gelu_tanh_kernelItEEfS3_EELi16ELb0ELi3EEEvPT0_PS2_if,comdat
.Lfunc_end590:
	.size	_ZN5aiter18act_and_mul_kernelIttTnPFfRKT_EXadL_ZNS_16gelu_tanh_kernelItEEfS3_EELi16ELb0ELi3EEEvPT0_PS2_if, .Lfunc_end590-_ZN5aiter18act_and_mul_kernelIttTnPFfRKT_EXadL_ZNS_16gelu_tanh_kernelItEEfS3_EELi16ELb0ELi3EEEvPT0_PS2_if
                                        ; -- End function
	.section	.AMDGPU.csdata,"",@progbits
; Kernel info:
; codeLenInByte = 4340
; NumSgprs: 36
; NumVgprs: 29
; NumAgprs: 0
; TotalNumVgprs: 29
; ScratchSize: 0
; MemoryBound: 0
; FloatMode: 240
; IeeeMode: 1
; LDSByteSize: 0 bytes/workgroup (compile time only)
; SGPRBlocks: 4
; VGPRBlocks: 3
; NumSGPRsForWavesPerEU: 36
; NumVGPRsForWavesPerEU: 29
; AccumOffset: 32
; Occupancy: 8
; WaveLimiterHint : 0
; COMPUTE_PGM_RSRC2:SCRATCH_EN: 0
; COMPUTE_PGM_RSRC2:USER_SGPR: 2
; COMPUTE_PGM_RSRC2:TRAP_HANDLER: 0
; COMPUTE_PGM_RSRC2:TGID_X_EN: 1
; COMPUTE_PGM_RSRC2:TGID_Y_EN: 0
; COMPUTE_PGM_RSRC2:TGID_Z_EN: 0
; COMPUTE_PGM_RSRC2:TIDIG_COMP_CNT: 0
; COMPUTE_PGM_RSRC3_GFX90A:ACCUM_OFFSET: 7
; COMPUTE_PGM_RSRC3_GFX90A:TG_SPLIT: 0
	.section	.text._ZN5aiter18act_and_mul_kernelIttTnPFfRKT_EXadL_ZNS_16gelu_tanh_kernelItEEfS3_EELi8ELb0ELi3EEEvPT0_PS2_if,"axG",@progbits,_ZN5aiter18act_and_mul_kernelIttTnPFfRKT_EXadL_ZNS_16gelu_tanh_kernelItEEfS3_EELi8ELb0ELi3EEEvPT0_PS2_if,comdat
	.protected	_ZN5aiter18act_and_mul_kernelIttTnPFfRKT_EXadL_ZNS_16gelu_tanh_kernelItEEfS3_EELi8ELb0ELi3EEEvPT0_PS2_if ; -- Begin function _ZN5aiter18act_and_mul_kernelIttTnPFfRKT_EXadL_ZNS_16gelu_tanh_kernelItEEfS3_EELi8ELb0ELi3EEEvPT0_PS2_if
	.globl	_ZN5aiter18act_and_mul_kernelIttTnPFfRKT_EXadL_ZNS_16gelu_tanh_kernelItEEfS3_EELi8ELb0ELi3EEEvPT0_PS2_if
	.p2align	8
	.type	_ZN5aiter18act_and_mul_kernelIttTnPFfRKT_EXadL_ZNS_16gelu_tanh_kernelItEEfS3_EELi8ELb0ELi3EEEvPT0_PS2_if,@function
_ZN5aiter18act_and_mul_kernelIttTnPFfRKT_EXadL_ZNS_16gelu_tanh_kernelItEEfS3_EELi8ELb0ELi3EEEvPT0_PS2_if: ; @_ZN5aiter18act_and_mul_kernelIttTnPFfRKT_EXadL_ZNS_16gelu_tanh_kernelItEEfS3_EELi8ELb0ELi3EEEvPT0_PS2_if
; %bb.0:
	s_load_dword s16, s[0:1], 0x10
	v_lshlrev_b32_e32 v8, 3, v0
	s_waitcnt lgkmcnt(0)
	v_cmp_gt_i32_e32 vcc, s16, v8
	s_and_saveexec_b64 s[4:5], vcc
	s_cbranch_execz .LBB591_35
; %bb.1:
	s_load_dwordx4 s[12:15], s[0:1], 0x0
	s_ashr_i32 s17, s16, 31
	s_mul_hi_u32 s3, s16, s2
	s_mul_i32 s4, s17, s2
	s_add_i32 s3, s3, s4
	s_mul_i32 s2, s16, s2
	s_lshl_b64 s[10:11], s[2:3], 1
	s_lshl_b64 s[2:3], s[2:3], 2
	s_waitcnt lgkmcnt(0)
	s_add_u32 s4, s14, s2
	s_addc_u32 s5, s15, s3
	s_lshl_b64 s[2:3], s[16:17], 1
	s_add_u32 s8, s4, s2
	s_addc_u32 s2, s5, s3
	s_add_i32 s3, s16, 1
	s_lshr_b32 s6, s3, 31
	s_add_i32 s3, s3, s6
	s_lshl_b32 s3, s3, 1
	s_and_b32 s6, s3, -4
	s_and_b32 s5, s5, 0xffff
	s_and_b32 s9, s2, 0xffff
	s_add_u32 s12, s12, s10
	s_addc_u32 s2, s13, s11
	s_and_b32 s13, s2, 0xffff
	s_mov_b32 s7, 0x20000
	s_add_u32 s0, s0, 24
	v_mov_b32_e32 v9, 0
	s_addc_u32 s1, s1, 0
	s_mov_b64 s[2:3], 0
	s_mov_b32 s19, 0
	s_mov_b32 s10, s6
	s_mov_b32 s11, s7
	s_mov_b32 s22, 0x3f200000
	s_mov_b32 s23, 0x3fb8aa3b
	s_mov_b32 s24, 0xc2ce8ed0
	s_mov_b32 s25, 0x42b17218
	v_mov_b32_e32 v12, 0x3ca908c9
	s_brev_b32 s26, -2
	s_mov_b32 s27, 0x7060302
	v_mov_b32_e32 v13, 0x7f800000
	s_mov_b32 s14, s6
	s_mov_b32 s15, s7
                                        ; implicit-def: $vgpr0
                                        ; implicit-def: $vgpr0
	;; [unrolled: 1-line block ×3, first 2 shown]
	s_branch .LBB591_3
.LBB591_2:                              ;   in Loop: Header=BB591_3 Depth=1
	s_or_b64 exec, exec, s[20:21]
	v_bfi_b32 v6, s26, v15, v6
	v_mul_f32_e32 v2, 0.5, v2
	v_add_f32_e32 v6, 1.0, v6
	v_mul_f32_e32 v2, v2, v6
	v_bfi_b32 v6, s26, v17, v16
	v_and_b32_e32 v19, 0xffff0000, v3
	v_lshlrev_b32_e32 v18, 16, v3
	v_mul_f32_e32 v3, 0.5, v7
	v_add_f32_e32 v6, 1.0, v6
	v_mul_f32_e32 v3, v3, v6
	;;#ASMSTART
	v_pk_mul_f32 v[2:3], v[2:3], v[18:19]
	;;#ASMEND
	s_load_dword s18, s[0:1], 0xc
	v_perm_b32 v3, v3, v2, s27
	v_perm_b32 v2, v5, v4, s27
	;; [unrolled: 1-line block ×4, first 2 shown]
	s_waitcnt lgkmcnt(0)
	s_and_b32 s18, s18, 0xffff
	s_lshl_b32 s18, s18, 3
	v_lshl_add_u64 v[8:9], s[18:19], 0, v[8:9]
	v_cmp_le_i64_e32 vcc, s[16:17], v[8:9]
	s_or_b64 s[2:3], vcc, s[2:3]
	buffer_store_dwordx4 v[0:3], v14, s[12:15], 0 offen
	s_andn2_b64 exec, exec, s[2:3]
	s_cbranch_execz .LBB591_35
.LBB591_3:                              ; =>This Inner Loop Header: Depth=1
	v_lshlrev_b32_e32 v14, 1, v8
	buffer_load_dwordx4 v[4:7], v14, s[4:7], 0 offen sc0 nt
	buffer_load_dwordx4 v[0:3], v14, s[8:11], 0 offen sc0 nt
                                        ; implicit-def: $vgpr15
	s_waitcnt vmcnt(1)
	v_lshlrev_b32_e32 v10, 16, v4
	v_mul_f32_e32 v11, v10, v10
	v_mul_f32_e32 v11, v11, v10
	v_fmamk_f32 v11, v11, 0x3d372713, v10
	v_mul_f32_e32 v11, 0x3f4c422a, v11
	v_cmp_nlt_f32_e64 s[20:21], |v11|, s22
	s_and_saveexec_b64 s[28:29], s[20:21]
	s_xor_b64 s[20:21], exec, s[28:29]
	s_cbranch_execz .LBB591_5
; %bb.4:                                ;   in Loop: Header=BB591_3 Depth=1
	v_add_f32_e64 v15, |v11|, |v11|
	v_mul_f32_e32 v16, 0x3fb8aa3b, v15
	v_rndne_f32_e32 v17, v16
	v_sub_f32_e32 v18, v16, v17
	v_fma_f32 v16, v15, s23, -v16
	v_fmac_f32_e32 v16, 0x32a5705f, v15
	v_add_f32_e32 v16, v18, v16
	v_cvt_i32_f32_e32 v17, v17
	v_exp_f32_e32 v16, v16
	v_cmp_ngt_f32_e32 vcc, s24, v15
	v_ldexp_f32 v16, v16, v17
	s_nop 0
	v_cndmask_b32_e32 v16, 0, v16, vcc
	v_cmp_nlt_f32_e32 vcc, s25, v15
	s_nop 1
	v_cndmask_b32_e32 v15, v13, v16, vcc
	v_add_f32_e32 v15, 1.0, v15
	v_rcp_f32_e32 v15, v15
	s_nop 0
	v_fma_f32 v15, v15, -2.0, 1.0
.LBB591_5:                              ;   in Loop: Header=BB591_3 Depth=1
	s_andn2_saveexec_b64 s[20:21], s[20:21]
; %bb.6:                                ;   in Loop: Header=BB591_3 Depth=1
	v_mul_f32_e32 v15, v11, v11
	v_fmamk_f32 v16, v15, 0xbbbac73d, v12
	v_fmaak_f32 v16, v15, v16, 0xbd5c1c4e
	v_fmaak_f32 v16, v15, v16, 0x3e088382
	;; [unrolled: 1-line block ×3, first 2 shown]
	v_mul_f32_e64 v16, |v11|, v16
	v_fma_f32 v15, v15, v16, |v11|
; %bb.7:                                ;   in Loop: Header=BB591_3 Depth=1
	s_or_b64 exec, exec, s[20:21]
	v_and_b32_e32 v4, 0xffff0000, v4
	v_mul_f32_e32 v16, v4, v4
	v_mul_f32_e32 v16, v16, v4
	v_fmamk_f32 v16, v16, 0x3d372713, v4
	v_mul_f32_e32 v16, 0x3f4c422a, v16
	v_cmp_nlt_f32_e64 s[20:21], |v16|, s22
                                        ; implicit-def: $vgpr17
	s_and_saveexec_b64 s[28:29], s[20:21]
	s_xor_b64 s[20:21], exec, s[28:29]
	s_cbranch_execz .LBB591_9
; %bb.8:                                ;   in Loop: Header=BB591_3 Depth=1
	v_add_f32_e64 v17, |v16|, |v16|
	v_mul_f32_e32 v18, 0x3fb8aa3b, v17
	v_rndne_f32_e32 v19, v18
	v_sub_f32_e32 v20, v18, v19
	v_fma_f32 v18, v17, s23, -v18
	v_fmac_f32_e32 v18, 0x32a5705f, v17
	v_add_f32_e32 v18, v20, v18
	v_cvt_i32_f32_e32 v19, v19
	v_exp_f32_e32 v18, v18
	v_cmp_ngt_f32_e32 vcc, s24, v17
	v_ldexp_f32 v18, v18, v19
	s_nop 0
	v_cndmask_b32_e32 v18, 0, v18, vcc
	v_cmp_nlt_f32_e32 vcc, s25, v17
	s_nop 1
	v_cndmask_b32_e32 v17, v13, v18, vcc
	v_add_f32_e32 v17, 1.0, v17
	v_rcp_f32_e32 v17, v17
	s_nop 0
	v_fma_f32 v17, v17, -2.0, 1.0
.LBB591_9:                              ;   in Loop: Header=BB591_3 Depth=1
	s_andn2_saveexec_b64 s[20:21], s[20:21]
; %bb.10:                               ;   in Loop: Header=BB591_3 Depth=1
	v_mul_f32_e32 v17, v16, v16
	v_fmamk_f32 v18, v17, 0xbbbac73d, v12
	v_fmaak_f32 v18, v17, v18, 0xbd5c1c4e
	v_fmaak_f32 v18, v17, v18, 0x3e088382
	;; [unrolled: 1-line block ×3, first 2 shown]
	v_mul_f32_e64 v18, |v16|, v18
	v_fma_f32 v17, v17, v18, |v16|
; %bb.11:                               ;   in Loop: Header=BB591_3 Depth=1
	s_or_b64 exec, exec, s[20:21]
	v_bfi_b32 v11, s26, v15, v11
	s_waitcnt vmcnt(0)
	v_and_b32_e32 v19, 0xffff0000, v0
	v_lshlrev_b32_e32 v18, 16, v0
	v_mul_f32_e32 v0, 0.5, v4
	v_bfi_b32 v4, s26, v17, v16
	v_mul_f32_e32 v10, 0.5, v10
	v_add_f32_e32 v11, 1.0, v11
	v_add_f32_e32 v4, 1.0, v4
	v_mul_f32_e32 v10, v10, v11
	v_mul_f32_e32 v11, v0, v4
	v_lshlrev_b32_e32 v0, 16, v5
	v_mul_f32_e32 v4, v0, v0
	v_mul_f32_e32 v4, v4, v0
	v_fmamk_f32 v4, v4, 0x3d372713, v0
	v_mul_f32_e32 v4, 0x3f4c422a, v4
	v_cmp_nlt_f32_e64 s[20:21], |v4|, s22
	;;#ASMSTART
	v_pk_mul_f32 v[10:11], v[10:11], v[18:19]
	;;#ASMEND
                                        ; implicit-def: $vgpr15
	s_and_saveexec_b64 s[28:29], s[20:21]
	s_xor_b64 s[20:21], exec, s[28:29]
	s_cbranch_execz .LBB591_13
; %bb.12:                               ;   in Loop: Header=BB591_3 Depth=1
	v_add_f32_e64 v15, |v4|, |v4|
	v_mul_f32_e32 v16, 0x3fb8aa3b, v15
	v_rndne_f32_e32 v17, v16
	v_sub_f32_e32 v18, v16, v17
	v_fma_f32 v16, v15, s23, -v16
	v_fmac_f32_e32 v16, 0x32a5705f, v15
	v_add_f32_e32 v16, v18, v16
	v_cvt_i32_f32_e32 v17, v17
	v_exp_f32_e32 v16, v16
	v_cmp_ngt_f32_e32 vcc, s24, v15
	v_ldexp_f32 v16, v16, v17
	s_nop 0
	v_cndmask_b32_e32 v16, 0, v16, vcc
	v_cmp_nlt_f32_e32 vcc, s25, v15
	s_nop 1
	v_cndmask_b32_e32 v15, v13, v16, vcc
	v_add_f32_e32 v15, 1.0, v15
	v_rcp_f32_e32 v15, v15
	s_nop 0
	v_fma_f32 v15, v15, -2.0, 1.0
.LBB591_13:                             ;   in Loop: Header=BB591_3 Depth=1
	s_andn2_saveexec_b64 s[20:21], s[20:21]
; %bb.14:                               ;   in Loop: Header=BB591_3 Depth=1
	v_mul_f32_e32 v15, v4, v4
	v_fmamk_f32 v16, v15, 0xbbbac73d, v12
	v_fmaak_f32 v16, v15, v16, 0xbd5c1c4e
	v_fmaak_f32 v16, v15, v16, 0x3e088382
	;; [unrolled: 1-line block ×3, first 2 shown]
	v_mul_f32_e64 v16, |v4|, v16
	v_fma_f32 v15, v15, v16, |v4|
; %bb.15:                               ;   in Loop: Header=BB591_3 Depth=1
	s_or_b64 exec, exec, s[20:21]
	v_and_b32_e32 v5, 0xffff0000, v5
	v_mul_f32_e32 v16, v5, v5
	v_mul_f32_e32 v16, v16, v5
	v_fmamk_f32 v16, v16, 0x3d372713, v5
	v_mul_f32_e32 v16, 0x3f4c422a, v16
	v_cmp_nlt_f32_e64 s[20:21], |v16|, s22
                                        ; implicit-def: $vgpr17
	s_and_saveexec_b64 s[28:29], s[20:21]
	s_xor_b64 s[20:21], exec, s[28:29]
	s_cbranch_execz .LBB591_17
; %bb.16:                               ;   in Loop: Header=BB591_3 Depth=1
	v_add_f32_e64 v17, |v16|, |v16|
	v_mul_f32_e32 v18, 0x3fb8aa3b, v17
	v_rndne_f32_e32 v19, v18
	v_sub_f32_e32 v20, v18, v19
	v_fma_f32 v18, v17, s23, -v18
	v_fmac_f32_e32 v18, 0x32a5705f, v17
	v_add_f32_e32 v18, v20, v18
	v_cvt_i32_f32_e32 v19, v19
	v_exp_f32_e32 v18, v18
	v_cmp_ngt_f32_e32 vcc, s24, v17
	v_ldexp_f32 v18, v18, v19
	s_nop 0
	v_cndmask_b32_e32 v18, 0, v18, vcc
	v_cmp_nlt_f32_e32 vcc, s25, v17
	s_nop 1
	v_cndmask_b32_e32 v17, v13, v18, vcc
	v_add_f32_e32 v17, 1.0, v17
	v_rcp_f32_e32 v17, v17
	s_nop 0
	v_fma_f32 v17, v17, -2.0, 1.0
.LBB591_17:                             ;   in Loop: Header=BB591_3 Depth=1
	s_andn2_saveexec_b64 s[20:21], s[20:21]
; %bb.18:                               ;   in Loop: Header=BB591_3 Depth=1
	v_mul_f32_e32 v17, v16, v16
	v_fmamk_f32 v18, v17, 0xbbbac73d, v12
	v_fmaak_f32 v18, v17, v18, 0xbd5c1c4e
	v_fmaak_f32 v18, v17, v18, 0x3e088382
	;; [unrolled: 1-line block ×3, first 2 shown]
	v_mul_f32_e64 v18, |v16|, v18
	v_fma_f32 v17, v17, v18, |v16|
; %bb.19:                               ;   in Loop: Header=BB591_3 Depth=1
	s_or_b64 exec, exec, s[20:21]
	v_bfi_b32 v4, s26, v15, v4
	v_mul_f32_e32 v0, 0.5, v0
	v_add_f32_e32 v4, 1.0, v4
	v_mul_f32_e32 v0, v0, v4
	v_bfi_b32 v4, s26, v17, v16
	v_and_b32_e32 v19, 0xffff0000, v1
	v_lshlrev_b32_e32 v18, 16, v1
	v_mul_f32_e32 v1, 0.5, v5
	v_add_f32_e32 v4, 1.0, v4
	v_mul_f32_e32 v1, v1, v4
	v_lshlrev_b32_e32 v4, 16, v6
	v_mul_f32_e32 v5, v4, v4
	v_mul_f32_e32 v5, v5, v4
	v_fmamk_f32 v5, v5, 0x3d372713, v4
	v_mul_f32_e32 v5, 0x3f4c422a, v5
	v_cmp_nlt_f32_e64 s[20:21], |v5|, s22
	;;#ASMSTART
	v_pk_mul_f32 v[0:1], v[0:1], v[18:19]
	;;#ASMEND
                                        ; implicit-def: $vgpr15
	s_and_saveexec_b64 s[28:29], s[20:21]
	s_xor_b64 s[20:21], exec, s[28:29]
	s_cbranch_execz .LBB591_21
; %bb.20:                               ;   in Loop: Header=BB591_3 Depth=1
	v_add_f32_e64 v15, |v5|, |v5|
	v_mul_f32_e32 v16, 0x3fb8aa3b, v15
	v_rndne_f32_e32 v17, v16
	v_sub_f32_e32 v18, v16, v17
	v_fma_f32 v16, v15, s23, -v16
	v_fmac_f32_e32 v16, 0x32a5705f, v15
	v_add_f32_e32 v16, v18, v16
	v_cvt_i32_f32_e32 v17, v17
	v_exp_f32_e32 v16, v16
	v_cmp_ngt_f32_e32 vcc, s24, v15
	v_ldexp_f32 v16, v16, v17
	s_nop 0
	v_cndmask_b32_e32 v16, 0, v16, vcc
	v_cmp_nlt_f32_e32 vcc, s25, v15
	s_nop 1
	v_cndmask_b32_e32 v15, v13, v16, vcc
	v_add_f32_e32 v15, 1.0, v15
	v_rcp_f32_e32 v15, v15
	s_nop 0
	v_fma_f32 v15, v15, -2.0, 1.0
.LBB591_21:                             ;   in Loop: Header=BB591_3 Depth=1
	s_andn2_saveexec_b64 s[20:21], s[20:21]
; %bb.22:                               ;   in Loop: Header=BB591_3 Depth=1
	v_mul_f32_e32 v15, v5, v5
	v_fmamk_f32 v16, v15, 0xbbbac73d, v12
	v_fmaak_f32 v16, v15, v16, 0xbd5c1c4e
	v_fmaak_f32 v16, v15, v16, 0x3e088382
	;; [unrolled: 1-line block ×3, first 2 shown]
	v_mul_f32_e64 v16, |v5|, v16
	v_fma_f32 v15, v15, v16, |v5|
; %bb.23:                               ;   in Loop: Header=BB591_3 Depth=1
	s_or_b64 exec, exec, s[20:21]
	v_and_b32_e32 v6, 0xffff0000, v6
	v_mul_f32_e32 v16, v6, v6
	v_mul_f32_e32 v16, v16, v6
	v_fmamk_f32 v16, v16, 0x3d372713, v6
	v_mul_f32_e32 v16, 0x3f4c422a, v16
	v_cmp_nlt_f32_e64 s[20:21], |v16|, s22
                                        ; implicit-def: $vgpr17
	s_and_saveexec_b64 s[28:29], s[20:21]
	s_xor_b64 s[20:21], exec, s[28:29]
	s_cbranch_execz .LBB591_25
; %bb.24:                               ;   in Loop: Header=BB591_3 Depth=1
	v_add_f32_e64 v17, |v16|, |v16|
	v_mul_f32_e32 v18, 0x3fb8aa3b, v17
	v_rndne_f32_e32 v19, v18
	v_sub_f32_e32 v20, v18, v19
	v_fma_f32 v18, v17, s23, -v18
	v_fmac_f32_e32 v18, 0x32a5705f, v17
	v_add_f32_e32 v18, v20, v18
	v_cvt_i32_f32_e32 v19, v19
	v_exp_f32_e32 v18, v18
	v_cmp_ngt_f32_e32 vcc, s24, v17
	v_ldexp_f32 v18, v18, v19
	s_nop 0
	v_cndmask_b32_e32 v18, 0, v18, vcc
	v_cmp_nlt_f32_e32 vcc, s25, v17
	s_nop 1
	v_cndmask_b32_e32 v17, v13, v18, vcc
	v_add_f32_e32 v17, 1.0, v17
	v_rcp_f32_e32 v17, v17
	s_nop 0
	v_fma_f32 v17, v17, -2.0, 1.0
.LBB591_25:                             ;   in Loop: Header=BB591_3 Depth=1
	s_andn2_saveexec_b64 s[20:21], s[20:21]
; %bb.26:                               ;   in Loop: Header=BB591_3 Depth=1
	v_mul_f32_e32 v17, v16, v16
	v_fmamk_f32 v18, v17, 0xbbbac73d, v12
	v_fmaak_f32 v18, v17, v18, 0xbd5c1c4e
	v_fmaak_f32 v18, v17, v18, 0x3e088382
	;; [unrolled: 1-line block ×3, first 2 shown]
	v_mul_f32_e64 v18, |v16|, v18
	v_fma_f32 v17, v17, v18, |v16|
; %bb.27:                               ;   in Loop: Header=BB591_3 Depth=1
	s_or_b64 exec, exec, s[20:21]
	v_bfi_b32 v5, s26, v15, v5
	v_mul_f32_e32 v4, 0.5, v4
	v_add_f32_e32 v5, 1.0, v5
	v_mul_f32_e32 v4, v4, v5
	v_bfi_b32 v5, s26, v17, v16
	v_and_b32_e32 v19, 0xffff0000, v2
	v_lshlrev_b32_e32 v18, 16, v2
	v_mul_f32_e32 v2, 0.5, v6
	v_add_f32_e32 v5, 1.0, v5
	v_mul_f32_e32 v5, v2, v5
	v_lshlrev_b32_e32 v2, 16, v7
	v_mul_f32_e32 v6, v2, v2
	v_mul_f32_e32 v6, v6, v2
	v_fmamk_f32 v6, v6, 0x3d372713, v2
	v_mul_f32_e32 v6, 0x3f4c422a, v6
	v_cmp_nlt_f32_e64 s[20:21], |v6|, s22
	;;#ASMSTART
	v_pk_mul_f32 v[4:5], v[4:5], v[18:19]
	;;#ASMEND
                                        ; implicit-def: $vgpr15
	s_and_saveexec_b64 s[28:29], s[20:21]
	s_xor_b64 s[20:21], exec, s[28:29]
	s_cbranch_execz .LBB591_29
; %bb.28:                               ;   in Loop: Header=BB591_3 Depth=1
	v_add_f32_e64 v15, |v6|, |v6|
	v_mul_f32_e32 v16, 0x3fb8aa3b, v15
	v_rndne_f32_e32 v17, v16
	v_sub_f32_e32 v18, v16, v17
	v_fma_f32 v16, v15, s23, -v16
	v_fmac_f32_e32 v16, 0x32a5705f, v15
	v_add_f32_e32 v16, v18, v16
	v_cvt_i32_f32_e32 v17, v17
	v_exp_f32_e32 v16, v16
	v_cmp_ngt_f32_e32 vcc, s24, v15
	v_ldexp_f32 v16, v16, v17
	s_nop 0
	v_cndmask_b32_e32 v16, 0, v16, vcc
	v_cmp_nlt_f32_e32 vcc, s25, v15
	s_nop 1
	v_cndmask_b32_e32 v15, v13, v16, vcc
	v_add_f32_e32 v15, 1.0, v15
	v_rcp_f32_e32 v15, v15
	s_nop 0
	v_fma_f32 v15, v15, -2.0, 1.0
.LBB591_29:                             ;   in Loop: Header=BB591_3 Depth=1
	s_andn2_saveexec_b64 s[20:21], s[20:21]
; %bb.30:                               ;   in Loop: Header=BB591_3 Depth=1
	v_mul_f32_e32 v15, v6, v6
	v_fmamk_f32 v16, v15, 0xbbbac73d, v12
	v_fmaak_f32 v16, v15, v16, 0xbd5c1c4e
	v_fmaak_f32 v16, v15, v16, 0x3e088382
	;; [unrolled: 1-line block ×3, first 2 shown]
	v_mul_f32_e64 v16, |v6|, v16
	v_fma_f32 v15, v15, v16, |v6|
; %bb.31:                               ;   in Loop: Header=BB591_3 Depth=1
	s_or_b64 exec, exec, s[20:21]
	v_and_b32_e32 v7, 0xffff0000, v7
	v_mul_f32_e32 v16, v7, v7
	v_mul_f32_e32 v16, v16, v7
	v_fmamk_f32 v16, v16, 0x3d372713, v7
	v_mul_f32_e32 v16, 0x3f4c422a, v16
	v_cmp_nlt_f32_e64 s[20:21], |v16|, s22
                                        ; implicit-def: $vgpr17
	s_and_saveexec_b64 s[28:29], s[20:21]
	s_xor_b64 s[20:21], exec, s[28:29]
	s_cbranch_execz .LBB591_33
; %bb.32:                               ;   in Loop: Header=BB591_3 Depth=1
	v_add_f32_e64 v17, |v16|, |v16|
	v_mul_f32_e32 v18, 0x3fb8aa3b, v17
	v_rndne_f32_e32 v19, v18
	v_sub_f32_e32 v20, v18, v19
	v_fma_f32 v18, v17, s23, -v18
	v_fmac_f32_e32 v18, 0x32a5705f, v17
	v_add_f32_e32 v18, v20, v18
	v_cvt_i32_f32_e32 v19, v19
	v_exp_f32_e32 v18, v18
	v_cmp_ngt_f32_e32 vcc, s24, v17
	v_ldexp_f32 v18, v18, v19
	s_nop 0
	v_cndmask_b32_e32 v18, 0, v18, vcc
	v_cmp_nlt_f32_e32 vcc, s25, v17
	s_nop 1
	v_cndmask_b32_e32 v17, v13, v18, vcc
	v_add_f32_e32 v17, 1.0, v17
	v_rcp_f32_e32 v17, v17
	s_nop 0
	v_fma_f32 v17, v17, -2.0, 1.0
.LBB591_33:                             ;   in Loop: Header=BB591_3 Depth=1
	s_andn2_saveexec_b64 s[20:21], s[20:21]
	s_cbranch_execz .LBB591_2
; %bb.34:                               ;   in Loop: Header=BB591_3 Depth=1
	v_mul_f32_e32 v17, v16, v16
	v_fmamk_f32 v18, v17, 0xbbbac73d, v12
	v_fmaak_f32 v18, v17, v18, 0xbd5c1c4e
	v_fmaak_f32 v18, v17, v18, 0x3e088382
	;; [unrolled: 1-line block ×3, first 2 shown]
	v_mul_f32_e64 v18, |v16|, v18
	v_fma_f32 v17, v17, v18, |v16|
	s_branch .LBB591_2
.LBB591_35:
	s_endpgm
	.section	.rodata,"a",@progbits
	.p2align	6, 0x0
	.amdhsa_kernel _ZN5aiter18act_and_mul_kernelIttTnPFfRKT_EXadL_ZNS_16gelu_tanh_kernelItEEfS3_EELi8ELb0ELi3EEEvPT0_PS2_if
		.amdhsa_group_segment_fixed_size 0
		.amdhsa_private_segment_fixed_size 0
		.amdhsa_kernarg_size 280
		.amdhsa_user_sgpr_count 2
		.amdhsa_user_sgpr_dispatch_ptr 0
		.amdhsa_user_sgpr_queue_ptr 0
		.amdhsa_user_sgpr_kernarg_segment_ptr 1
		.amdhsa_user_sgpr_dispatch_id 0
		.amdhsa_user_sgpr_kernarg_preload_length 0
		.amdhsa_user_sgpr_kernarg_preload_offset 0
		.amdhsa_user_sgpr_private_segment_size 0
		.amdhsa_uses_dynamic_stack 0
		.amdhsa_enable_private_segment 0
		.amdhsa_system_sgpr_workgroup_id_x 1
		.amdhsa_system_sgpr_workgroup_id_y 0
		.amdhsa_system_sgpr_workgroup_id_z 0
		.amdhsa_system_sgpr_workgroup_info 0
		.amdhsa_system_vgpr_workitem_id 0
		.amdhsa_next_free_vgpr 21
		.amdhsa_next_free_sgpr 30
		.amdhsa_accum_offset 24
		.amdhsa_reserve_vcc 1
		.amdhsa_float_round_mode_32 0
		.amdhsa_float_round_mode_16_64 0
		.amdhsa_float_denorm_mode_32 3
		.amdhsa_float_denorm_mode_16_64 3
		.amdhsa_dx10_clamp 1
		.amdhsa_ieee_mode 1
		.amdhsa_fp16_overflow 0
		.amdhsa_tg_split 0
		.amdhsa_exception_fp_ieee_invalid_op 0
		.amdhsa_exception_fp_denorm_src 0
		.amdhsa_exception_fp_ieee_div_zero 0
		.amdhsa_exception_fp_ieee_overflow 0
		.amdhsa_exception_fp_ieee_underflow 0
		.amdhsa_exception_fp_ieee_inexact 0
		.amdhsa_exception_int_div_zero 0
	.end_amdhsa_kernel
	.section	.text._ZN5aiter18act_and_mul_kernelIttTnPFfRKT_EXadL_ZNS_16gelu_tanh_kernelItEEfS3_EELi8ELb0ELi3EEEvPT0_PS2_if,"axG",@progbits,_ZN5aiter18act_and_mul_kernelIttTnPFfRKT_EXadL_ZNS_16gelu_tanh_kernelItEEfS3_EELi8ELb0ELi3EEEvPT0_PS2_if,comdat
.Lfunc_end591:
	.size	_ZN5aiter18act_and_mul_kernelIttTnPFfRKT_EXadL_ZNS_16gelu_tanh_kernelItEEfS3_EELi8ELb0ELi3EEEvPT0_PS2_if, .Lfunc_end591-_ZN5aiter18act_and_mul_kernelIttTnPFfRKT_EXadL_ZNS_16gelu_tanh_kernelItEEfS3_EELi8ELb0ELi3EEEvPT0_PS2_if
                                        ; -- End function
	.section	.AMDGPU.csdata,"",@progbits
; Kernel info:
; codeLenInByte = 2328
; NumSgprs: 36
; NumVgprs: 21
; NumAgprs: 0
; TotalNumVgprs: 21
; ScratchSize: 0
; MemoryBound: 0
; FloatMode: 240
; IeeeMode: 1
; LDSByteSize: 0 bytes/workgroup (compile time only)
; SGPRBlocks: 4
; VGPRBlocks: 2
; NumSGPRsForWavesPerEU: 36
; NumVGPRsForWavesPerEU: 21
; AccumOffset: 24
; Occupancy: 8
; WaveLimiterHint : 0
; COMPUTE_PGM_RSRC2:SCRATCH_EN: 0
; COMPUTE_PGM_RSRC2:USER_SGPR: 2
; COMPUTE_PGM_RSRC2:TRAP_HANDLER: 0
; COMPUTE_PGM_RSRC2:TGID_X_EN: 1
; COMPUTE_PGM_RSRC2:TGID_Y_EN: 0
; COMPUTE_PGM_RSRC2:TGID_Z_EN: 0
; COMPUTE_PGM_RSRC2:TIDIG_COMP_CNT: 0
; COMPUTE_PGM_RSRC3_GFX90A:ACCUM_OFFSET: 5
; COMPUTE_PGM_RSRC3_GFX90A:TG_SPLIT: 0
	.section	.text._ZN5aiter18act_and_mul_kernelIttTnPFfRKT_EXadL_ZNS_16gelu_tanh_kernelItEEfS3_EELi4ELb0ELi3EEEvPT0_PS2_if,"axG",@progbits,_ZN5aiter18act_and_mul_kernelIttTnPFfRKT_EXadL_ZNS_16gelu_tanh_kernelItEEfS3_EELi4ELb0ELi3EEEvPT0_PS2_if,comdat
	.protected	_ZN5aiter18act_and_mul_kernelIttTnPFfRKT_EXadL_ZNS_16gelu_tanh_kernelItEEfS3_EELi4ELb0ELi3EEEvPT0_PS2_if ; -- Begin function _ZN5aiter18act_and_mul_kernelIttTnPFfRKT_EXadL_ZNS_16gelu_tanh_kernelItEEfS3_EELi4ELb0ELi3EEEvPT0_PS2_if
	.globl	_ZN5aiter18act_and_mul_kernelIttTnPFfRKT_EXadL_ZNS_16gelu_tanh_kernelItEEfS3_EELi4ELb0ELi3EEEvPT0_PS2_if
	.p2align	8
	.type	_ZN5aiter18act_and_mul_kernelIttTnPFfRKT_EXadL_ZNS_16gelu_tanh_kernelItEEfS3_EELi4ELb0ELi3EEEvPT0_PS2_if,@function
_ZN5aiter18act_and_mul_kernelIttTnPFfRKT_EXadL_ZNS_16gelu_tanh_kernelItEEfS3_EELi4ELb0ELi3EEEvPT0_PS2_if: ; @_ZN5aiter18act_and_mul_kernelIttTnPFfRKT_EXadL_ZNS_16gelu_tanh_kernelItEEfS3_EELi4ELb0ELi3EEEvPT0_PS2_if
; %bb.0:
	s_load_dword s16, s[0:1], 0x10
	v_lshlrev_b32_e32 v0, 2, v0
	s_waitcnt lgkmcnt(0)
	v_cmp_gt_i32_e32 vcc, s16, v0
	s_and_saveexec_b64 s[4:5], vcc
	s_cbranch_execz .LBB592_19
; %bb.1:
	s_load_dwordx4 s[12:15], s[0:1], 0x0
	s_ashr_i32 s17, s16, 31
	s_mul_hi_u32 s3, s16, s2
	s_mul_i32 s4, s17, s2
	s_add_i32 s3, s3, s4
	s_mul_i32 s2, s16, s2
	s_lshl_b64 s[10:11], s[2:3], 1
	s_lshl_b64 s[2:3], s[2:3], 2
	s_waitcnt lgkmcnt(0)
	s_add_u32 s4, s14, s2
	s_addc_u32 s5, s15, s3
	s_lshl_b64 s[2:3], s[16:17], 1
	s_add_u32 s8, s4, s2
	s_addc_u32 s2, s5, s3
	s_add_i32 s3, s16, 1
	s_lshr_b32 s6, s3, 31
	s_add_i32 s3, s3, s6
	s_lshl_b32 s3, s3, 1
	s_and_b32 s6, s3, -4
	s_and_b32 s5, s5, 0xffff
	s_and_b32 s9, s2, 0xffff
	s_add_u32 s12, s12, s10
	s_addc_u32 s2, s13, s11
	s_and_b32 s13, s2, 0xffff
	s_mov_b32 s7, 0x20000
	s_add_u32 s0, s0, 24
	v_mov_b32_e32 v1, 0
	s_addc_u32 s1, s1, 0
	s_mov_b64 s[2:3], 0
	s_mov_b32 s19, 0
	s_mov_b32 s10, s6
	;; [unrolled: 1-line block ×7, first 2 shown]
	v_mov_b32_e32 v8, 0x3ca908c9
	s_brev_b32 s26, -2
	s_mov_b32 s27, 0x7060302
	v_mov_b32_e32 v9, 0x7f800000
	s_mov_b32 s14, s6
	s_mov_b32 s15, s7
                                        ; implicit-def: $vgpr2
                                        ; implicit-def: $vgpr2
	;; [unrolled: 1-line block ×3, first 2 shown]
	s_branch .LBB592_3
.LBB592_2:                              ;   in Loop: Header=BB592_3 Depth=1
	s_or_b64 exec, exec, s[20:21]
	v_bfi_b32 v4, s26, v11, v4
	v_mul_f32_e32 v2, 0.5, v2
	v_add_f32_e32 v4, 1.0, v4
	v_mul_f32_e32 v2, v2, v4
	v_bfi_b32 v4, s26, v13, v12
	v_and_b32_e32 v15, 0xffff0000, v3
	v_lshlrev_b32_e32 v14, 16, v3
	v_mul_f32_e32 v3, 0.5, v5
	v_add_f32_e32 v4, 1.0, v4
	v_mul_f32_e32 v3, v3, v4
	;;#ASMSTART
	v_pk_mul_f32 v[2:3], v[2:3], v[14:15]
	;;#ASMEND
	s_load_dword s18, s[0:1], 0xc
	v_perm_b32 v3, v3, v2, s27
	v_perm_b32 v2, v7, v6, s27
	buffer_store_dwordx2 v[2:3], v10, s[12:15], 0 offen
	s_waitcnt lgkmcnt(0)
	s_and_b32 s18, s18, 0xffff
	s_lshl_b32 s18, s18, 2
	v_lshl_add_u64 v[0:1], s[18:19], 0, v[0:1]
	v_cmp_le_i64_e32 vcc, s[16:17], v[0:1]
	s_or_b64 s[2:3], vcc, s[2:3]
	s_andn2_b64 exec, exec, s[2:3]
	s_cbranch_execz .LBB592_19
.LBB592_3:                              ; =>This Inner Loop Header: Depth=1
	v_lshlrev_b32_e32 v10, 1, v0
	buffer_load_dwordx2 v[4:5], v10, s[4:7], 0 offen sc0 nt
	buffer_load_dwordx2 v[2:3], v10, s[8:11], 0 offen sc0 nt
                                        ; implicit-def: $vgpr11
	s_waitcnt vmcnt(1)
	v_lshlrev_b32_e32 v6, 16, v4
	v_mul_f32_e32 v7, v6, v6
	v_mul_f32_e32 v7, v7, v6
	v_fmamk_f32 v7, v7, 0x3d372713, v6
	v_mul_f32_e32 v7, 0x3f4c422a, v7
	v_cmp_nlt_f32_e64 s[20:21], |v7|, s22
	s_and_saveexec_b64 s[28:29], s[20:21]
	s_xor_b64 s[20:21], exec, s[28:29]
	s_cbranch_execz .LBB592_5
; %bb.4:                                ;   in Loop: Header=BB592_3 Depth=1
	v_add_f32_e64 v11, |v7|, |v7|
	v_mul_f32_e32 v12, 0x3fb8aa3b, v11
	v_rndne_f32_e32 v13, v12
	v_sub_f32_e32 v14, v12, v13
	v_fma_f32 v12, v11, s23, -v12
	v_fmac_f32_e32 v12, 0x32a5705f, v11
	v_add_f32_e32 v12, v14, v12
	v_cvt_i32_f32_e32 v13, v13
	v_exp_f32_e32 v12, v12
	v_cmp_ngt_f32_e32 vcc, s24, v11
	v_ldexp_f32 v12, v12, v13
	s_nop 0
	v_cndmask_b32_e32 v12, 0, v12, vcc
	v_cmp_nlt_f32_e32 vcc, s25, v11
	s_nop 1
	v_cndmask_b32_e32 v11, v9, v12, vcc
	v_add_f32_e32 v11, 1.0, v11
	v_rcp_f32_e32 v11, v11
	s_nop 0
	v_fma_f32 v11, v11, -2.0, 1.0
.LBB592_5:                              ;   in Loop: Header=BB592_3 Depth=1
	s_andn2_saveexec_b64 s[20:21], s[20:21]
; %bb.6:                                ;   in Loop: Header=BB592_3 Depth=1
	v_mul_f32_e32 v11, v7, v7
	v_fmamk_f32 v12, v11, 0xbbbac73d, v8
	v_fmaak_f32 v12, v11, v12, 0xbd5c1c4e
	v_fmaak_f32 v12, v11, v12, 0x3e088382
	;; [unrolled: 1-line block ×3, first 2 shown]
	v_mul_f32_e64 v12, |v7|, v12
	v_fma_f32 v11, v11, v12, |v7|
; %bb.7:                                ;   in Loop: Header=BB592_3 Depth=1
	s_or_b64 exec, exec, s[20:21]
	v_and_b32_e32 v4, 0xffff0000, v4
	v_mul_f32_e32 v12, v4, v4
	v_mul_f32_e32 v12, v12, v4
	v_fmamk_f32 v12, v12, 0x3d372713, v4
	v_mul_f32_e32 v12, 0x3f4c422a, v12
	v_cmp_nlt_f32_e64 s[20:21], |v12|, s22
                                        ; implicit-def: $vgpr13
	s_and_saveexec_b64 s[28:29], s[20:21]
	s_xor_b64 s[20:21], exec, s[28:29]
	s_cbranch_execz .LBB592_9
; %bb.8:                                ;   in Loop: Header=BB592_3 Depth=1
	v_add_f32_e64 v13, |v12|, |v12|
	v_mul_f32_e32 v14, 0x3fb8aa3b, v13
	v_rndne_f32_e32 v15, v14
	v_sub_f32_e32 v16, v14, v15
	v_fma_f32 v14, v13, s23, -v14
	v_fmac_f32_e32 v14, 0x32a5705f, v13
	v_add_f32_e32 v14, v16, v14
	v_cvt_i32_f32_e32 v15, v15
	v_exp_f32_e32 v14, v14
	v_cmp_ngt_f32_e32 vcc, s24, v13
	v_ldexp_f32 v14, v14, v15
	s_nop 0
	v_cndmask_b32_e32 v14, 0, v14, vcc
	v_cmp_nlt_f32_e32 vcc, s25, v13
	s_nop 1
	v_cndmask_b32_e32 v13, v9, v14, vcc
	v_add_f32_e32 v13, 1.0, v13
	v_rcp_f32_e32 v13, v13
	s_nop 0
	v_fma_f32 v13, v13, -2.0, 1.0
.LBB592_9:                              ;   in Loop: Header=BB592_3 Depth=1
	s_andn2_saveexec_b64 s[20:21], s[20:21]
; %bb.10:                               ;   in Loop: Header=BB592_3 Depth=1
	v_mul_f32_e32 v13, v12, v12
	v_fmamk_f32 v14, v13, 0xbbbac73d, v8
	v_fmaak_f32 v14, v13, v14, 0xbd5c1c4e
	v_fmaak_f32 v14, v13, v14, 0x3e088382
	;; [unrolled: 1-line block ×3, first 2 shown]
	v_mul_f32_e64 v14, |v12|, v14
	v_fma_f32 v13, v13, v14, |v12|
; %bb.11:                               ;   in Loop: Header=BB592_3 Depth=1
	s_or_b64 exec, exec, s[20:21]
	v_bfi_b32 v7, s26, v11, v7
	s_waitcnt vmcnt(0)
	v_and_b32_e32 v15, 0xffff0000, v2
	v_lshlrev_b32_e32 v14, 16, v2
	v_mul_f32_e32 v2, 0.5, v4
	v_bfi_b32 v4, s26, v13, v12
	v_mul_f32_e32 v6, 0.5, v6
	v_add_f32_e32 v7, 1.0, v7
	v_add_f32_e32 v4, 1.0, v4
	v_mul_f32_e32 v6, v6, v7
	v_mul_f32_e32 v7, v2, v4
	v_lshlrev_b32_e32 v2, 16, v5
	v_mul_f32_e32 v4, v2, v2
	v_mul_f32_e32 v4, v4, v2
	v_fmamk_f32 v4, v4, 0x3d372713, v2
	v_mul_f32_e32 v4, 0x3f4c422a, v4
	v_cmp_nlt_f32_e64 s[20:21], |v4|, s22
	;;#ASMSTART
	v_pk_mul_f32 v[6:7], v[6:7], v[14:15]
	;;#ASMEND
                                        ; implicit-def: $vgpr11
	s_and_saveexec_b64 s[28:29], s[20:21]
	s_xor_b64 s[20:21], exec, s[28:29]
	s_cbranch_execz .LBB592_13
; %bb.12:                               ;   in Loop: Header=BB592_3 Depth=1
	v_add_f32_e64 v11, |v4|, |v4|
	v_mul_f32_e32 v12, 0x3fb8aa3b, v11
	v_rndne_f32_e32 v13, v12
	v_sub_f32_e32 v14, v12, v13
	v_fma_f32 v12, v11, s23, -v12
	v_fmac_f32_e32 v12, 0x32a5705f, v11
	v_add_f32_e32 v12, v14, v12
	v_cvt_i32_f32_e32 v13, v13
	v_exp_f32_e32 v12, v12
	v_cmp_ngt_f32_e32 vcc, s24, v11
	v_ldexp_f32 v12, v12, v13
	s_nop 0
	v_cndmask_b32_e32 v12, 0, v12, vcc
	v_cmp_nlt_f32_e32 vcc, s25, v11
	s_nop 1
	v_cndmask_b32_e32 v11, v9, v12, vcc
	v_add_f32_e32 v11, 1.0, v11
	v_rcp_f32_e32 v11, v11
	s_nop 0
	v_fma_f32 v11, v11, -2.0, 1.0
.LBB592_13:                             ;   in Loop: Header=BB592_3 Depth=1
	s_andn2_saveexec_b64 s[20:21], s[20:21]
; %bb.14:                               ;   in Loop: Header=BB592_3 Depth=1
	v_mul_f32_e32 v11, v4, v4
	v_fmamk_f32 v12, v11, 0xbbbac73d, v8
	v_fmaak_f32 v12, v11, v12, 0xbd5c1c4e
	v_fmaak_f32 v12, v11, v12, 0x3e088382
	;; [unrolled: 1-line block ×3, first 2 shown]
	v_mul_f32_e64 v12, |v4|, v12
	v_fma_f32 v11, v11, v12, |v4|
; %bb.15:                               ;   in Loop: Header=BB592_3 Depth=1
	s_or_b64 exec, exec, s[20:21]
	v_and_b32_e32 v5, 0xffff0000, v5
	v_mul_f32_e32 v12, v5, v5
	v_mul_f32_e32 v12, v12, v5
	v_fmamk_f32 v12, v12, 0x3d372713, v5
	v_mul_f32_e32 v12, 0x3f4c422a, v12
	v_cmp_nlt_f32_e64 s[20:21], |v12|, s22
                                        ; implicit-def: $vgpr13
	s_and_saveexec_b64 s[28:29], s[20:21]
	s_xor_b64 s[20:21], exec, s[28:29]
	s_cbranch_execz .LBB592_17
; %bb.16:                               ;   in Loop: Header=BB592_3 Depth=1
	v_add_f32_e64 v13, |v12|, |v12|
	v_mul_f32_e32 v14, 0x3fb8aa3b, v13
	v_rndne_f32_e32 v15, v14
	v_sub_f32_e32 v16, v14, v15
	v_fma_f32 v14, v13, s23, -v14
	v_fmac_f32_e32 v14, 0x32a5705f, v13
	v_add_f32_e32 v14, v16, v14
	v_cvt_i32_f32_e32 v15, v15
	v_exp_f32_e32 v14, v14
	v_cmp_ngt_f32_e32 vcc, s24, v13
	v_ldexp_f32 v14, v14, v15
	s_nop 0
	v_cndmask_b32_e32 v14, 0, v14, vcc
	v_cmp_nlt_f32_e32 vcc, s25, v13
	s_nop 1
	v_cndmask_b32_e32 v13, v9, v14, vcc
	v_add_f32_e32 v13, 1.0, v13
	v_rcp_f32_e32 v13, v13
	s_nop 0
	v_fma_f32 v13, v13, -2.0, 1.0
.LBB592_17:                             ;   in Loop: Header=BB592_3 Depth=1
	s_andn2_saveexec_b64 s[20:21], s[20:21]
	s_cbranch_execz .LBB592_2
; %bb.18:                               ;   in Loop: Header=BB592_3 Depth=1
	v_mul_f32_e32 v13, v12, v12
	v_fmamk_f32 v14, v13, 0xbbbac73d, v8
	v_fmaak_f32 v14, v13, v14, 0xbd5c1c4e
	v_fmaak_f32 v14, v13, v14, 0x3e088382
	;; [unrolled: 1-line block ×3, first 2 shown]
	v_mul_f32_e64 v14, |v12|, v14
	v_fma_f32 v13, v13, v14, |v12|
	s_branch .LBB592_2
.LBB592_19:
	s_endpgm
	.section	.rodata,"a",@progbits
	.p2align	6, 0x0
	.amdhsa_kernel _ZN5aiter18act_and_mul_kernelIttTnPFfRKT_EXadL_ZNS_16gelu_tanh_kernelItEEfS3_EELi4ELb0ELi3EEEvPT0_PS2_if
		.amdhsa_group_segment_fixed_size 0
		.amdhsa_private_segment_fixed_size 0
		.amdhsa_kernarg_size 280
		.amdhsa_user_sgpr_count 2
		.amdhsa_user_sgpr_dispatch_ptr 0
		.amdhsa_user_sgpr_queue_ptr 0
		.amdhsa_user_sgpr_kernarg_segment_ptr 1
		.amdhsa_user_sgpr_dispatch_id 0
		.amdhsa_user_sgpr_kernarg_preload_length 0
		.amdhsa_user_sgpr_kernarg_preload_offset 0
		.amdhsa_user_sgpr_private_segment_size 0
		.amdhsa_uses_dynamic_stack 0
		.amdhsa_enable_private_segment 0
		.amdhsa_system_sgpr_workgroup_id_x 1
		.amdhsa_system_sgpr_workgroup_id_y 0
		.amdhsa_system_sgpr_workgroup_id_z 0
		.amdhsa_system_sgpr_workgroup_info 0
		.amdhsa_system_vgpr_workitem_id 0
		.amdhsa_next_free_vgpr 17
		.amdhsa_next_free_sgpr 30
		.amdhsa_accum_offset 20
		.amdhsa_reserve_vcc 1
		.amdhsa_float_round_mode_32 0
		.amdhsa_float_round_mode_16_64 0
		.amdhsa_float_denorm_mode_32 3
		.amdhsa_float_denorm_mode_16_64 3
		.amdhsa_dx10_clamp 1
		.amdhsa_ieee_mode 1
		.amdhsa_fp16_overflow 0
		.amdhsa_tg_split 0
		.amdhsa_exception_fp_ieee_invalid_op 0
		.amdhsa_exception_fp_denorm_src 0
		.amdhsa_exception_fp_ieee_div_zero 0
		.amdhsa_exception_fp_ieee_overflow 0
		.amdhsa_exception_fp_ieee_underflow 0
		.amdhsa_exception_fp_ieee_inexact 0
		.amdhsa_exception_int_div_zero 0
	.end_amdhsa_kernel
	.section	.text._ZN5aiter18act_and_mul_kernelIttTnPFfRKT_EXadL_ZNS_16gelu_tanh_kernelItEEfS3_EELi4ELb0ELi3EEEvPT0_PS2_if,"axG",@progbits,_ZN5aiter18act_and_mul_kernelIttTnPFfRKT_EXadL_ZNS_16gelu_tanh_kernelItEEfS3_EELi4ELb0ELi3EEEvPT0_PS2_if,comdat
.Lfunc_end592:
	.size	_ZN5aiter18act_and_mul_kernelIttTnPFfRKT_EXadL_ZNS_16gelu_tanh_kernelItEEfS3_EELi4ELb0ELi3EEEvPT0_PS2_if, .Lfunc_end592-_ZN5aiter18act_and_mul_kernelIttTnPFfRKT_EXadL_ZNS_16gelu_tanh_kernelItEEfS3_EELi4ELb0ELi3EEEvPT0_PS2_if
                                        ; -- End function
	.section	.AMDGPU.csdata,"",@progbits
; Kernel info:
; codeLenInByte = 1336
; NumSgprs: 36
; NumVgprs: 17
; NumAgprs: 0
; TotalNumVgprs: 17
; ScratchSize: 0
; MemoryBound: 0
; FloatMode: 240
; IeeeMode: 1
; LDSByteSize: 0 bytes/workgroup (compile time only)
; SGPRBlocks: 4
; VGPRBlocks: 2
; NumSGPRsForWavesPerEU: 36
; NumVGPRsForWavesPerEU: 17
; AccumOffset: 20
; Occupancy: 8
; WaveLimiterHint : 0
; COMPUTE_PGM_RSRC2:SCRATCH_EN: 0
; COMPUTE_PGM_RSRC2:USER_SGPR: 2
; COMPUTE_PGM_RSRC2:TRAP_HANDLER: 0
; COMPUTE_PGM_RSRC2:TGID_X_EN: 1
; COMPUTE_PGM_RSRC2:TGID_Y_EN: 0
; COMPUTE_PGM_RSRC2:TGID_Z_EN: 0
; COMPUTE_PGM_RSRC2:TIDIG_COMP_CNT: 0
; COMPUTE_PGM_RSRC3_GFX90A:ACCUM_OFFSET: 4
; COMPUTE_PGM_RSRC3_GFX90A:TG_SPLIT: 0
	.section	.text._ZN5aiter18act_and_mul_kernelIttTnPFfRKT_EXadL_ZNS_16gelu_tanh_kernelItEEfS3_EELi2ELb0ELi3EEEvPT0_PS2_if,"axG",@progbits,_ZN5aiter18act_and_mul_kernelIttTnPFfRKT_EXadL_ZNS_16gelu_tanh_kernelItEEfS3_EELi2ELb0ELi3EEEvPT0_PS2_if,comdat
	.protected	_ZN5aiter18act_and_mul_kernelIttTnPFfRKT_EXadL_ZNS_16gelu_tanh_kernelItEEfS3_EELi2ELb0ELi3EEEvPT0_PS2_if ; -- Begin function _ZN5aiter18act_and_mul_kernelIttTnPFfRKT_EXadL_ZNS_16gelu_tanh_kernelItEEfS3_EELi2ELb0ELi3EEEvPT0_PS2_if
	.globl	_ZN5aiter18act_and_mul_kernelIttTnPFfRKT_EXadL_ZNS_16gelu_tanh_kernelItEEfS3_EELi2ELb0ELi3EEEvPT0_PS2_if
	.p2align	8
	.type	_ZN5aiter18act_and_mul_kernelIttTnPFfRKT_EXadL_ZNS_16gelu_tanh_kernelItEEfS3_EELi2ELb0ELi3EEEvPT0_PS2_if,@function
_ZN5aiter18act_and_mul_kernelIttTnPFfRKT_EXadL_ZNS_16gelu_tanh_kernelItEEfS3_EELi2ELb0ELi3EEEvPT0_PS2_if: ; @_ZN5aiter18act_and_mul_kernelIttTnPFfRKT_EXadL_ZNS_16gelu_tanh_kernelItEEfS3_EELi2ELb0ELi3EEEvPT0_PS2_if
; %bb.0:
	s_load_dword s16, s[0:1], 0x10
	v_lshlrev_b32_e32 v0, 1, v0
	s_waitcnt lgkmcnt(0)
	v_cmp_gt_i32_e32 vcc, s16, v0
	s_and_saveexec_b64 s[4:5], vcc
	s_cbranch_execz .LBB593_7
; %bb.1:
	s_load_dwordx4 s[12:15], s[0:1], 0x0
	s_ashr_i32 s17, s16, 31
	s_mul_hi_u32 s3, s16, s2
	s_mul_i32 s4, s17, s2
	s_add_i32 s3, s3, s4
	s_mul_i32 s2, s16, s2
	s_lshl_b64 s[10:11], s[2:3], 1
	s_lshl_b64 s[2:3], s[2:3], 2
	s_waitcnt lgkmcnt(0)
	s_add_u32 s4, s14, s2
	s_addc_u32 s5, s15, s3
	s_lshl_b64 s[2:3], s[16:17], 1
	s_add_u32 s8, s4, s2
	s_addc_u32 s2, s5, s3
	s_add_i32 s3, s16, 1
	s_lshr_b32 s6, s3, 31
	s_add_i32 s3, s3, s6
	s_lshl_b32 s3, s3, 1
	s_and_b32 s6, s3, -4
	s_and_b32 s5, s5, 0xffff
	s_and_b32 s9, s2, 0xffff
	s_add_u32 s12, s12, s10
	s_addc_u32 s2, s13, s11
	s_and_b32 s13, s2, 0xffff
	s_mov_b32 s7, 0x20000
	s_add_u32 s0, s0, 24
	v_mov_b32_e32 v1, 0
	s_addc_u32 s1, s1, 0
	s_mov_b64 s[2:3], 0
	s_mov_b32 s19, 0
	s_mov_b32 s10, s6
	;; [unrolled: 1-line block ×9, first 2 shown]
	v_mov_b32_e32 v8, 0x3ca908c9
	v_mov_b32_e32 v9, 0x7f800000
	s_brev_b32 s28, -2
	s_mov_b32 s29, 0x7060302
	s_mov_b32 s14, s6
	;; [unrolled: 1-line block ×3, first 2 shown]
                                        ; implicit-def: $vgpr2
                                        ; implicit-def: $vgpr2
	;; [unrolled: 1-line block ×3, first 2 shown]
	s_branch .LBB593_3
.LBB593_2:                              ;   in Loop: Header=BB593_3 Depth=1
	s_or_b64 exec, exec, s[24:25]
	v_add_f32_e64 v6, |v5|, |v5|
	v_mul_f32_e32 v13, 0x3fb8aa3b, v6
	v_rndne_f32_e32 v14, v13
	v_sub_f32_e32 v15, v13, v14
	v_fma_f32 v13, v6, s23, -v13
	v_fmac_f32_e32 v13, 0x32a5705f, v6
	v_add_f32_e32 v13, v15, v13
	v_cvt_i32_f32_e32 v14, v14
	v_exp_f32_e32 v13, v13
	v_cmp_ngt_f32_e32 vcc, s26, v6
	s_waitcnt vmcnt(0)
	v_and_b32_e32 v15, 0xffff0000, v11
	v_bfi_b32 v4, s28, v12, v4
	v_ldexp_f32 v13, v13, v14
	v_cndmask_b32_e32 v13, 0, v13, vcc
	v_cmp_nlt_f32_e32 vcc, s27, v6
	v_lshlrev_b32_e32 v14, 16, v11
	v_fmamk_f32 v11, v7, 0xbbbac73d, v8
	v_cndmask_b32_e32 v6, v9, v13, vcc
	v_add_f32_e32 v6, 1.0, v6
	v_rcp_f32_e32 v6, v6
	v_fmaak_f32 v11, v7, v11, 0xbd5c1c4e
	v_fmaak_f32 v11, v7, v11, 0x3e088382
	;; [unrolled: 1-line block ×3, first 2 shown]
	v_mul_f32_e64 v11, |v5|, v11
	v_fma_f32 v6, v6, -2.0, 1.0
	v_fma_f32 v7, v7, v11, |v5|
	v_cmp_lt_f32_e64 vcc, |v5|, s21
	v_mul_f32_e32 v3, 0.5, v3
	v_mul_f32_e32 v2, 0.5, v2
	v_cndmask_b32_e32 v6, v6, v7, vcc
	v_bfi_b32 v5, s28, v6, v5
	v_pk_add_f32 v[4:5], v[4:5], 1.0 op_sel_hi:[1,0]
	s_nop 0
	v_pk_mul_f32 v[2:3], v[2:3], v[4:5]
	s_nop 0
	;;#ASMSTART
	v_pk_mul_f32 v[2:3], v[2:3], v[14:15]
	;;#ASMEND
	s_load_dword s18, s[0:1], 0xc
	v_perm_b32 v2, v3, v2, s29
	buffer_store_dword v2, v10, s[12:15], 0 offen
	s_waitcnt lgkmcnt(0)
	s_and_b32 s18, s18, 0xffff
	s_lshl_b32 s18, s18, 1
	v_lshl_add_u64 v[0:1], s[18:19], 0, v[0:1]
	v_cmp_le_i64_e32 vcc, s[16:17], v[0:1]
	s_or_b64 s[2:3], vcc, s[2:3]
	s_andn2_b64 exec, exec, s[2:3]
	s_cbranch_execz .LBB593_7
.LBB593_3:                              ; =>This Inner Loop Header: Depth=1
	v_lshlrev_b32_e32 v10, 1, v0
	buffer_load_dword v2, v10, s[4:7], 0 offen sc0 nt
	buffer_load_dword v11, v10, s[8:11], 0 offen sc0 nt
                                        ; implicit-def: $vgpr12
	s_waitcnt vmcnt(1)
	v_and_b32_e32 v3, 0xffff0000, v2
	v_lshlrev_b32_e32 v2, 16, v2
	v_pk_mul_f32 v[4:5], v[2:3], v[2:3]
	s_nop 0
	v_pk_mul_f32 v[4:5], v[4:5], v[2:3]
	s_nop 0
	v_pk_fma_f32 v[4:5], v[4:5], s[20:21], v[2:3] op_sel_hi:[1,0,1]
	s_nop 0
	v_pk_mul_f32 v[4:5], v[4:5], s[22:23] op_sel_hi:[1,0]
	s_nop 0
	v_cmp_nlt_f32_e64 s[24:25], |v4|, s21
	s_and_saveexec_b64 s[30:31], s[24:25]
	s_xor_b64 s[24:25], exec, s[30:31]
	s_cbranch_execz .LBB593_5
; %bb.4:                                ;   in Loop: Header=BB593_3 Depth=1
	v_add_f32_e64 v6, |v4|, |v4|
	v_mul_f32_e32 v7, 0x3fb8aa3b, v6
	v_rndne_f32_e32 v12, v7
	v_sub_f32_e32 v13, v7, v12
	v_fma_f32 v7, v6, s23, -v7
	v_fmac_f32_e32 v7, 0x32a5705f, v6
	v_add_f32_e32 v7, v13, v7
	v_cvt_i32_f32_e32 v12, v12
	v_exp_f32_e32 v7, v7
	v_cmp_ngt_f32_e32 vcc, s26, v6
	v_ldexp_f32 v7, v7, v12
	s_nop 0
	v_cndmask_b32_e32 v7, 0, v7, vcc
	v_cmp_nlt_f32_e32 vcc, s27, v6
	s_nop 1
	v_cndmask_b32_e32 v6, v9, v7, vcc
	v_add_f32_e32 v6, 1.0, v6
	v_rcp_f32_e32 v6, v6
	s_nop 0
	v_fma_f32 v12, v6, -2.0, 1.0
.LBB593_5:                              ;   in Loop: Header=BB593_3 Depth=1
	s_or_saveexec_b64 s[24:25], s[24:25]
	v_pk_mul_f32 v[6:7], v[4:5], v[4:5]
	s_xor_b64 exec, exec, s[24:25]
	s_cbranch_execz .LBB593_2
; %bb.6:                                ;   in Loop: Header=BB593_3 Depth=1
	v_fmamk_f32 v12, v6, 0xbbbac73d, v8
	v_fmaak_f32 v12, v6, v12, 0xbd5c1c4e
	v_fmaak_f32 v12, v6, v12, 0x3e088382
	;; [unrolled: 1-line block ×3, first 2 shown]
	v_mul_f32_e64 v12, |v4|, v12
	v_fma_f32 v12, v6, v12, |v4|
	s_branch .LBB593_2
.LBB593_7:
	s_endpgm
	.section	.rodata,"a",@progbits
	.p2align	6, 0x0
	.amdhsa_kernel _ZN5aiter18act_and_mul_kernelIttTnPFfRKT_EXadL_ZNS_16gelu_tanh_kernelItEEfS3_EELi2ELb0ELi3EEEvPT0_PS2_if
		.amdhsa_group_segment_fixed_size 0
		.amdhsa_private_segment_fixed_size 0
		.amdhsa_kernarg_size 280
		.amdhsa_user_sgpr_count 2
		.amdhsa_user_sgpr_dispatch_ptr 0
		.amdhsa_user_sgpr_queue_ptr 0
		.amdhsa_user_sgpr_kernarg_segment_ptr 1
		.amdhsa_user_sgpr_dispatch_id 0
		.amdhsa_user_sgpr_kernarg_preload_length 0
		.amdhsa_user_sgpr_kernarg_preload_offset 0
		.amdhsa_user_sgpr_private_segment_size 0
		.amdhsa_uses_dynamic_stack 0
		.amdhsa_enable_private_segment 0
		.amdhsa_system_sgpr_workgroup_id_x 1
		.amdhsa_system_sgpr_workgroup_id_y 0
		.amdhsa_system_sgpr_workgroup_id_z 0
		.amdhsa_system_sgpr_workgroup_info 0
		.amdhsa_system_vgpr_workitem_id 0
		.amdhsa_next_free_vgpr 16
		.amdhsa_next_free_sgpr 32
		.amdhsa_accum_offset 16
		.amdhsa_reserve_vcc 1
		.amdhsa_float_round_mode_32 0
		.amdhsa_float_round_mode_16_64 0
		.amdhsa_float_denorm_mode_32 3
		.amdhsa_float_denorm_mode_16_64 3
		.amdhsa_dx10_clamp 1
		.amdhsa_ieee_mode 1
		.amdhsa_fp16_overflow 0
		.amdhsa_tg_split 0
		.amdhsa_exception_fp_ieee_invalid_op 0
		.amdhsa_exception_fp_denorm_src 0
		.amdhsa_exception_fp_ieee_div_zero 0
		.amdhsa_exception_fp_ieee_overflow 0
		.amdhsa_exception_fp_ieee_underflow 0
		.amdhsa_exception_fp_ieee_inexact 0
		.amdhsa_exception_int_div_zero 0
	.end_amdhsa_kernel
	.section	.text._ZN5aiter18act_and_mul_kernelIttTnPFfRKT_EXadL_ZNS_16gelu_tanh_kernelItEEfS3_EELi2ELb0ELi3EEEvPT0_PS2_if,"axG",@progbits,_ZN5aiter18act_and_mul_kernelIttTnPFfRKT_EXadL_ZNS_16gelu_tanh_kernelItEEfS3_EELi2ELb0ELi3EEEvPT0_PS2_if,comdat
.Lfunc_end593:
	.size	_ZN5aiter18act_and_mul_kernelIttTnPFfRKT_EXadL_ZNS_16gelu_tanh_kernelItEEfS3_EELi2ELb0ELi3EEEvPT0_PS2_if, .Lfunc_end593-_ZN5aiter18act_and_mul_kernelIttTnPFfRKT_EXadL_ZNS_16gelu_tanh_kernelItEEfS3_EELi2ELb0ELi3EEEvPT0_PS2_if
                                        ; -- End function
	.section	.AMDGPU.csdata,"",@progbits
; Kernel info:
; codeLenInByte = 840
; NumSgprs: 38
; NumVgprs: 16
; NumAgprs: 0
; TotalNumVgprs: 16
; ScratchSize: 0
; MemoryBound: 0
; FloatMode: 240
; IeeeMode: 1
; LDSByteSize: 0 bytes/workgroup (compile time only)
; SGPRBlocks: 4
; VGPRBlocks: 1
; NumSGPRsForWavesPerEU: 38
; NumVGPRsForWavesPerEU: 16
; AccumOffset: 16
; Occupancy: 8
; WaveLimiterHint : 0
; COMPUTE_PGM_RSRC2:SCRATCH_EN: 0
; COMPUTE_PGM_RSRC2:USER_SGPR: 2
; COMPUTE_PGM_RSRC2:TRAP_HANDLER: 0
; COMPUTE_PGM_RSRC2:TGID_X_EN: 1
; COMPUTE_PGM_RSRC2:TGID_Y_EN: 0
; COMPUTE_PGM_RSRC2:TGID_Z_EN: 0
; COMPUTE_PGM_RSRC2:TIDIG_COMP_CNT: 0
; COMPUTE_PGM_RSRC3_GFX90A:ACCUM_OFFSET: 3
; COMPUTE_PGM_RSRC3_GFX90A:TG_SPLIT: 0
	.section	.text._ZN5aiter18act_and_mul_kernelIttTnPFfRKT_EXadL_ZNS_16gelu_tanh_kernelItEEfS3_EELi1ELb0ELi3EEEvPT0_PS2_if,"axG",@progbits,_ZN5aiter18act_and_mul_kernelIttTnPFfRKT_EXadL_ZNS_16gelu_tanh_kernelItEEfS3_EELi1ELb0ELi3EEEvPT0_PS2_if,comdat
	.protected	_ZN5aiter18act_and_mul_kernelIttTnPFfRKT_EXadL_ZNS_16gelu_tanh_kernelItEEfS3_EELi1ELb0ELi3EEEvPT0_PS2_if ; -- Begin function _ZN5aiter18act_and_mul_kernelIttTnPFfRKT_EXadL_ZNS_16gelu_tanh_kernelItEEfS3_EELi1ELb0ELi3EEEvPT0_PS2_if
	.globl	_ZN5aiter18act_and_mul_kernelIttTnPFfRKT_EXadL_ZNS_16gelu_tanh_kernelItEEfS3_EELi1ELb0ELi3EEEvPT0_PS2_if
	.p2align	8
	.type	_ZN5aiter18act_and_mul_kernelIttTnPFfRKT_EXadL_ZNS_16gelu_tanh_kernelItEEfS3_EELi1ELb0ELi3EEEvPT0_PS2_if,@function
_ZN5aiter18act_and_mul_kernelIttTnPFfRKT_EXadL_ZNS_16gelu_tanh_kernelItEEfS3_EELi1ELb0ELi3EEEvPT0_PS2_if: ; @_ZN5aiter18act_and_mul_kernelIttTnPFfRKT_EXadL_ZNS_16gelu_tanh_kernelItEEfS3_EELi1ELb0ELi3EEEvPT0_PS2_if
; %bb.0:
	s_load_dword s12, s[0:1], 0x10
	s_waitcnt lgkmcnt(0)
	v_cmp_gt_i32_e32 vcc, s12, v0
	s_and_saveexec_b64 s[4:5], vcc
	s_cbranch_execz .LBB594_7
; %bb.1:
	s_load_dwordx4 s[8:11], s[0:1], 0x0
	s_load_dword s14, s[0:1], 0x24
	s_ashr_i32 s13, s12, 31
	s_mul_hi_u32 s3, s12, s2
	s_mul_i32 s4, s13, s2
	s_add_i32 s3, s3, s4
	s_mul_i32 s2, s12, s2
	s_lshl_b64 s[6:7], s[2:3], 1
	s_lshl_b64 s[2:3], s[2:3], 2
	s_waitcnt lgkmcnt(0)
	s_add_u32 s0, s10, s2
	s_addc_u32 s1, s11, s3
	s_lshl_b64 s[2:3], s[12:13], 1
	s_add_u32 s4, s0, s2
	s_addc_u32 s5, s1, s3
	s_add_i32 s2, s12, 1
	s_lshr_b32 s3, s2, 31
	s_add_i32 s2, s2, s3
	s_lshl_b32 s2, s2, 1
	s_and_b32 s2, s2, -4
	s_and_b32 s1, s1, 0xffff
	s_and_b32 s5, s5, 0xffff
	s_add_u32 s8, s8, s6
	s_mov_b32 s3, 0x20000
	s_addc_u32 s6, s9, s7
	s_and_b32 s14, s14, 0xffff
                                        ; implicit-def: $vgpr4
                                        ; implicit-def: $vgpr4
	;; [unrolled: 1-line block ×3, first 2 shown]
	s_and_b32 s9, s6, 0xffff
	s_mov_b32 s15, 0
	v_mov_b32_e32 v1, 0
	v_lshlrev_b32_e32 v2, 1, v0
	s_lshl_b32 s20, s14, 1
	s_mov_b64 s[16:17], 0
	s_mov_b32 s6, s2
	s_mov_b32 s7, s3
	;; [unrolled: 1-line block ×6, first 2 shown]
	v_mov_b32_e32 v3, 0x3ca908c9
	s_brev_b32 s25, -2
	v_mov_b32_e32 v4, 0x7f800000
	s_mov_b32 s10, s2
	s_mov_b32 s11, s3
	s_branch .LBB594_3
.LBB594_2:                              ;   in Loop: Header=BB594_3 Depth=1
	s_or_b64 exec, exec, s[18:19]
	v_bfi_b32 v7, s25, v8, v7
	v_mul_f32_e32 v5, 0.5, v5
	v_add_f32_e32 v7, 1.0, v7
	s_waitcnt vmcnt(0)
	v_lshlrev_b32_e32 v6, 16, v6
	v_mul_f32_e32 v5, v5, v7
	v_mul_f32_e32 v5, v5, v6
	v_lshl_add_u64 v[0:1], v[0:1], 0, s[14:15]
	v_lshrrev_b32_e32 v5, 16, v5
	v_cmp_le_i64_e32 vcc, s[12:13], v[0:1]
	buffer_store_short v5, v2, s[8:11], 0 offen
	s_or_b64 s[16:17], vcc, s[16:17]
	v_add_u32_e32 v2, s20, v2
	s_andn2_b64 exec, exec, s[16:17]
	s_cbranch_execz .LBB594_7
.LBB594_3:                              ; =>This Inner Loop Header: Depth=1
	buffer_load_ushort v5, v2, s[0:3], 0 offen sc0 nt
	buffer_load_ushort v6, v2, s[4:7], 0 offen sc0 nt
                                        ; implicit-def: $vgpr8
	s_waitcnt vmcnt(1)
	v_lshlrev_b32_e32 v5, 16, v5
	v_mul_f32_e32 v7, v5, v5
	v_mul_f32_e32 v7, v7, v5
	v_fmamk_f32 v7, v7, 0x3d372713, v5
	v_mul_f32_e32 v7, 0x3f4c422a, v7
	v_cmp_nlt_f32_e64 s[18:19], |v7|, s21
	s_and_saveexec_b64 s[26:27], s[18:19]
	s_xor_b64 s[18:19], exec, s[26:27]
	s_cbranch_execz .LBB594_5
; %bb.4:                                ;   in Loop: Header=BB594_3 Depth=1
	v_add_f32_e64 v8, |v7|, |v7|
	v_mul_f32_e32 v9, 0x3fb8aa3b, v8
	v_rndne_f32_e32 v10, v9
	v_sub_f32_e32 v11, v9, v10
	v_fma_f32 v9, v8, s22, -v9
	v_fmac_f32_e32 v9, 0x32a5705f, v8
	v_add_f32_e32 v9, v11, v9
	v_cvt_i32_f32_e32 v10, v10
	v_exp_f32_e32 v9, v9
	v_cmp_ngt_f32_e32 vcc, s23, v8
	v_ldexp_f32 v9, v9, v10
	s_nop 0
	v_cndmask_b32_e32 v9, 0, v9, vcc
	v_cmp_nlt_f32_e32 vcc, s24, v8
	s_nop 1
	v_cndmask_b32_e32 v8, v4, v9, vcc
	v_add_f32_e32 v8, 1.0, v8
	v_rcp_f32_e32 v8, v8
	s_nop 0
	v_fma_f32 v8, v8, -2.0, 1.0
.LBB594_5:                              ;   in Loop: Header=BB594_3 Depth=1
	s_andn2_saveexec_b64 s[18:19], s[18:19]
	s_cbranch_execz .LBB594_2
; %bb.6:                                ;   in Loop: Header=BB594_3 Depth=1
	v_mul_f32_e32 v8, v7, v7
	v_fmamk_f32 v9, v8, 0xbbbac73d, v3
	v_fmaak_f32 v9, v8, v9, 0xbd5c1c4e
	v_fmaak_f32 v9, v8, v9, 0x3e088382
	;; [unrolled: 1-line block ×3, first 2 shown]
	v_mul_f32_e64 v9, |v7|, v9
	v_fma_f32 v8, v8, v9, |v7|
	s_branch .LBB594_2
.LBB594_7:
	s_endpgm
	.section	.rodata,"a",@progbits
	.p2align	6, 0x0
	.amdhsa_kernel _ZN5aiter18act_and_mul_kernelIttTnPFfRKT_EXadL_ZNS_16gelu_tanh_kernelItEEfS3_EELi1ELb0ELi3EEEvPT0_PS2_if
		.amdhsa_group_segment_fixed_size 0
		.amdhsa_private_segment_fixed_size 0
		.amdhsa_kernarg_size 280
		.amdhsa_user_sgpr_count 2
		.amdhsa_user_sgpr_dispatch_ptr 0
		.amdhsa_user_sgpr_queue_ptr 0
		.amdhsa_user_sgpr_kernarg_segment_ptr 1
		.amdhsa_user_sgpr_dispatch_id 0
		.amdhsa_user_sgpr_kernarg_preload_length 0
		.amdhsa_user_sgpr_kernarg_preload_offset 0
		.amdhsa_user_sgpr_private_segment_size 0
		.amdhsa_uses_dynamic_stack 0
		.amdhsa_enable_private_segment 0
		.amdhsa_system_sgpr_workgroup_id_x 1
		.amdhsa_system_sgpr_workgroup_id_y 0
		.amdhsa_system_sgpr_workgroup_id_z 0
		.amdhsa_system_sgpr_workgroup_info 0
		.amdhsa_system_vgpr_workitem_id 0
		.amdhsa_next_free_vgpr 12
		.amdhsa_next_free_sgpr 28
		.amdhsa_accum_offset 12
		.amdhsa_reserve_vcc 1
		.amdhsa_float_round_mode_32 0
		.amdhsa_float_round_mode_16_64 0
		.amdhsa_float_denorm_mode_32 3
		.amdhsa_float_denorm_mode_16_64 3
		.amdhsa_dx10_clamp 1
		.amdhsa_ieee_mode 1
		.amdhsa_fp16_overflow 0
		.amdhsa_tg_split 0
		.amdhsa_exception_fp_ieee_invalid_op 0
		.amdhsa_exception_fp_denorm_src 0
		.amdhsa_exception_fp_ieee_div_zero 0
		.amdhsa_exception_fp_ieee_overflow 0
		.amdhsa_exception_fp_ieee_underflow 0
		.amdhsa_exception_fp_ieee_inexact 0
		.amdhsa_exception_int_div_zero 0
	.end_amdhsa_kernel
	.section	.text._ZN5aiter18act_and_mul_kernelIttTnPFfRKT_EXadL_ZNS_16gelu_tanh_kernelItEEfS3_EELi1ELb0ELi3EEEvPT0_PS2_if,"axG",@progbits,_ZN5aiter18act_and_mul_kernelIttTnPFfRKT_EXadL_ZNS_16gelu_tanh_kernelItEEfS3_EELi1ELb0ELi3EEEvPT0_PS2_if,comdat
.Lfunc_end594:
	.size	_ZN5aiter18act_and_mul_kernelIttTnPFfRKT_EXadL_ZNS_16gelu_tanh_kernelItEEfS3_EELi1ELb0ELi3EEEvPT0_PS2_if, .Lfunc_end594-_ZN5aiter18act_and_mul_kernelIttTnPFfRKT_EXadL_ZNS_16gelu_tanh_kernelItEEfS3_EELi1ELb0ELi3EEEvPT0_PS2_if
                                        ; -- End function
	.section	.AMDGPU.csdata,"",@progbits
; Kernel info:
; codeLenInByte = 568
; NumSgprs: 34
; NumVgprs: 12
; NumAgprs: 0
; TotalNumVgprs: 12
; ScratchSize: 0
; MemoryBound: 0
; FloatMode: 240
; IeeeMode: 1
; LDSByteSize: 0 bytes/workgroup (compile time only)
; SGPRBlocks: 4
; VGPRBlocks: 1
; NumSGPRsForWavesPerEU: 34
; NumVGPRsForWavesPerEU: 12
; AccumOffset: 12
; Occupancy: 8
; WaveLimiterHint : 0
; COMPUTE_PGM_RSRC2:SCRATCH_EN: 0
; COMPUTE_PGM_RSRC2:USER_SGPR: 2
; COMPUTE_PGM_RSRC2:TRAP_HANDLER: 0
; COMPUTE_PGM_RSRC2:TGID_X_EN: 1
; COMPUTE_PGM_RSRC2:TGID_Y_EN: 0
; COMPUTE_PGM_RSRC2:TGID_Z_EN: 0
; COMPUTE_PGM_RSRC2:TIDIG_COMP_CNT: 0
; COMPUTE_PGM_RSRC3_GFX90A:ACCUM_OFFSET: 2
; COMPUTE_PGM_RSRC3_GFX90A:TG_SPLIT: 0
	.section	.text._ZN5aiter21activation_kernel_vecIDF16_TnPFfRKT_EXadL_ZNS_16gelu_fast_kernelIDF16_EEfS3_EELi32EEEvPS1_PS2_l,"axG",@progbits,_ZN5aiter21activation_kernel_vecIDF16_TnPFfRKT_EXadL_ZNS_16gelu_fast_kernelIDF16_EEfS3_EELi32EEEvPS1_PS2_l,comdat
	.protected	_ZN5aiter21activation_kernel_vecIDF16_TnPFfRKT_EXadL_ZNS_16gelu_fast_kernelIDF16_EEfS3_EELi32EEEvPS1_PS2_l ; -- Begin function _ZN5aiter21activation_kernel_vecIDF16_TnPFfRKT_EXadL_ZNS_16gelu_fast_kernelIDF16_EEfS3_EELi32EEEvPS1_PS2_l
	.globl	_ZN5aiter21activation_kernel_vecIDF16_TnPFfRKT_EXadL_ZNS_16gelu_fast_kernelIDF16_EEfS3_EELi32EEEvPS1_PS2_l
	.p2align	8
	.type	_ZN5aiter21activation_kernel_vecIDF16_TnPFfRKT_EXadL_ZNS_16gelu_fast_kernelIDF16_EEfS3_EELi32EEEvPS1_PS2_l,@function
_ZN5aiter21activation_kernel_vecIDF16_TnPFfRKT_EXadL_ZNS_16gelu_fast_kernelIDF16_EEfS3_EELi32EEEvPS1_PS2_l: ; @_ZN5aiter21activation_kernel_vecIDF16_TnPFfRKT_EXadL_ZNS_16gelu_fast_kernelIDF16_EEfS3_EELi32EEEvPS1_PS2_l
; %bb.0:
	s_load_dword s3, s[0:1], 0x24
	s_load_dwordx2 s[8:9], s[0:1], 0x10
	s_add_u32 s10, s0, 24
	s_addc_u32 s11, s1, 0
	v_mov_b32_e32 v33, 0
	s_waitcnt lgkmcnt(0)
	s_and_b32 s12, s3, 0xffff
	s_mul_i32 s2, s2, s12
	v_add_lshl_u32 v32, s2, v0, 6
	s_mov_b32 s18, 0xffff
	v_cmp_gt_i64_e32 vcc, s[8:9], v[32:33]
	s_and_saveexec_b64 s[2:3], vcc
	s_cbranch_execz .LBB595_327
; %bb.1:
	s_load_dword s2, s[10:11], 0x0
	s_load_dwordx4 s[4:7], s[0:1], 0x0
	s_mov_b32 s3, 0
	v_lshl_add_u64 v[34:35], v[32:33], 1, 64
	s_mov_b64 s[10:11], 0
	s_waitcnt lgkmcnt(0)
	s_mul_i32 s2, s2, s12
	s_lshl_b32 s2, s2, 6
	s_lshl_b64 s[12:13], s[2:3], 1
	s_mov_b32 s19, 0x40733333
	s_brev_b32 s20, -2
                                        ; implicit-def: $vgpr0
                                        ; implicit-def: $vgpr0
	;; [unrolled: 1-line block ×3, first 2 shown]
	v_mov_b32_e32 v38, 0x4544e000
                                        ; implicit-def: $vgpr0
	s_mov_b32 s21, 0.5
                                        ; implicit-def: $vgpr0_vgpr1_vgpr2_vgpr3_vgpr4_vgpr5_vgpr6_vgpr7_vgpr8_vgpr9_vgpr10_vgpr11_vgpr12_vgpr13_vgpr14_vgpr15
	s_branch .LBB595_3
.LBB595_2:                              ;   in Loop: Header=BB595_3 Depth=1
	s_or_b64 exec, exec, s[14:15]
	v_lshl_add_u64 v[32:33], v[32:33], 0, s[2:3]
	v_cmp_le_i64_e32 vcc, s[8:9], v[32:33]
	s_or_b64 s[10:11], vcc, s[10:11]
	v_lshl_add_u64 v[34:35], v[34:35], 0, s[12:13]
	s_andn2_b64 exec, exec, s[10:11]
	s_cbranch_execz .LBB595_327
.LBB595_3:                              ; =>This Inner Loop Header: Depth=1
	v_lshl_add_u64 v[36:37], s[6:7], 0, v[34:35]
	global_load_dwordx4 v[16:19], v[36:37], off offset:-16
	global_load_dwordx4 v[20:23], v[36:37], off offset:-32
	;; [unrolled: 1-line block ×4, first 2 shown]
	v_lshl_add_u64 v[40:41], v[32:33], 0, 32
	v_cmp_gt_i64_e64 s[0:1], s[8:9], v[40:41]
	s_and_saveexec_b64 s[14:15], s[0:1]
	s_cbranch_execz .LBB595_5
; %bb.4:                                ;   in Loop: Header=BB595_3 Depth=1
	global_load_dwordx4 v[12:15], v[36:37], off offset:48
	global_load_dwordx4 v[8:11], v[36:37], off offset:32
	;; [unrolled: 1-line block ×3, first 2 shown]
	global_load_dwordx4 v[0:3], v[36:37], off
.LBB595_5:                              ;   in Loop: Header=BB595_3 Depth=1
	s_or_b64 exec, exec, s[14:15]
	s_waitcnt vmcnt(0)
	v_cvt_f32_f16_e32 v36, v28
	v_mul_f32_e32 v37, v36, v36
	v_mul_f32_e32 v37, v37, v36
	;; [unrolled: 1-line block ×3, first 2 shown]
	v_fmac_f32_e32 v39, 0x3d122279, v37
	v_cmp_ge_f32_e64 s[14:15], |v39|, s19
                                        ; implicit-def: $vgpr37
	s_and_saveexec_b64 s[16:17], s[14:15]
	s_xor_b64 s[14:15], exec, s[16:17]
	s_cbranch_execnz .LBB595_8
; %bb.6:                                ;   in Loop: Header=BB595_3 Depth=1
	s_andn2_saveexec_b64 s[14:15], s[14:15]
	s_cbranch_execnz .LBB595_9
.LBB595_7:                              ;   in Loop: Header=BB595_3 Depth=1
	s_or_b64 exec, exec, s[14:15]
	s_and_saveexec_b64 s[14:15], s[0:1]
	s_cbranch_execnz .LBB595_10
	s_branch .LBB595_15
.LBB595_8:                              ;   in Loop: Header=BB595_3 Depth=1
	v_bfi_b32 v37, s20, 1.0, v39
                                        ; implicit-def: $vgpr39
	s_andn2_saveexec_b64 s[14:15], s[14:15]
	s_cbranch_execz .LBB595_7
.LBB595_9:                              ;   in Loop: Header=BB595_3 Depth=1
	v_mul_f32_e32 v37, v39, v39
	v_fmaak_f32 v40, v39, v39, 0x43bd0000
	v_fmaak_f32 v40, v37, v40, 0x46875a00
	v_fmamk_f32 v41, v37, 0x41e00000, v38
	v_fmaak_f32 v40, v37, v40, 0x4803f7c0
	v_fmaak_f32 v41, v37, v41, 0x4773a200
	;; [unrolled: 1-line block ×3, first 2 shown]
	v_mul_f32_e32 v39, v39, v40
	v_div_scale_f32 v40, s[16:17], v37, v37, v39
	v_rcp_f32_e32 v41, v40
	s_nop 0
	v_fma_f32 v42, -v40, v41, 1.0
	v_fmac_f32_e32 v41, v42, v41
	v_div_scale_f32 v42, vcc, v39, v37, v39
	v_mul_f32_e32 v43, v42, v41
	v_fma_f32 v44, -v40, v43, v42
	v_fmac_f32_e32 v43, v44, v41
	v_fma_f32 v40, -v40, v43, v42
	v_div_fmas_f32 v40, v40, v41, v43
	v_div_fixup_f32 v37, v40, v37, v39
	v_med3_f32 v37, v37, -1.0, 1.0
	s_or_b64 exec, exec, s[14:15]
	s_and_saveexec_b64 s[14:15], s[0:1]
	s_cbranch_execz .LBB595_15
.LBB595_10:                             ;   in Loop: Header=BB595_3 Depth=1
	v_cvt_f32_f16_e32 v39, v0
	v_mul_f32_e32 v40, v39, v39
	v_mul_f32_e32 v41, v40, v39
	;; [unrolled: 1-line block ×3, first 2 shown]
	v_fmac_f32_e32 v40, 0x3d122279, v41
	v_cmp_ge_f32_e64 s[16:17], |v40|, s19
                                        ; implicit-def: $vgpr41
	s_and_saveexec_b64 s[22:23], s[16:17]
	s_xor_b64 s[16:17], exec, s[22:23]
; %bb.11:                               ;   in Loop: Header=BB595_3 Depth=1
	v_bfi_b32 v41, s20, 1.0, v40
                                        ; implicit-def: $vgpr40
; %bb.12:                               ;   in Loop: Header=BB595_3 Depth=1
	s_andn2_saveexec_b64 s[16:17], s[16:17]
	s_cbranch_execz .LBB595_14
; %bb.13:                               ;   in Loop: Header=BB595_3 Depth=1
	v_mul_f32_e32 v41, v40, v40
	v_fmaak_f32 v42, v40, v40, 0x43bd0000
	v_fmaak_f32 v42, v41, v42, 0x46875a00
	v_fmamk_f32 v43, v41, 0x41e00000, v38
	v_fmaak_f32 v42, v41, v42, 0x4803f7c0
	v_fmaak_f32 v43, v41, v43, 0x4773a200
	;; [unrolled: 1-line block ×3, first 2 shown]
	v_mul_f32_e32 v40, v40, v42
	v_div_scale_f32 v42, s[22:23], v41, v41, v40
	v_rcp_f32_e32 v43, v42
	s_nop 0
	v_fma_f32 v44, -v42, v43, 1.0
	v_fmac_f32_e32 v43, v44, v43
	v_div_scale_f32 v44, vcc, v40, v41, v40
	v_mul_f32_e32 v45, v44, v43
	v_fma_f32 v46, -v42, v45, v44
	v_fmac_f32_e32 v45, v46, v43
	v_fma_f32 v42, -v42, v45, v44
	v_div_fmas_f32 v42, v42, v43, v45
	v_div_fixup_f32 v40, v42, v41, v40
	v_med3_f32 v41, v40, -1.0, 1.0
.LBB595_14:                             ;   in Loop: Header=BB595_3 Depth=1
	s_or_b64 exec, exec, s[16:17]
	v_fmac_f32_e32 v39, v39, v41
	v_fma_mixlo_f16 v39, v39, s21, 0
	v_bfi_b32 v0, s18, v39, v0
.LBB595_15:                             ;   in Loop: Header=BB595_3 Depth=1
	s_or_b64 exec, exec, s[14:15]
	v_cvt_f32_f16_sdwa v28, v28 dst_sel:DWORD dst_unused:UNUSED_PAD src0_sel:WORD_1
	v_mul_f32_e32 v39, v28, v28
	v_mul_f32_e32 v39, v39, v28
	;; [unrolled: 1-line block ×3, first 2 shown]
	v_fmac_f32_e32 v40, 0x3d122279, v39
	v_cmp_ge_f32_e64 s[14:15], |v40|, s19
                                        ; implicit-def: $vgpr39
	s_and_saveexec_b64 s[16:17], s[14:15]
	s_xor_b64 s[14:15], exec, s[16:17]
	s_cbranch_execnz .LBB595_18
; %bb.16:                               ;   in Loop: Header=BB595_3 Depth=1
	s_andn2_saveexec_b64 s[14:15], s[14:15]
	s_cbranch_execnz .LBB595_19
.LBB595_17:                             ;   in Loop: Header=BB595_3 Depth=1
	s_or_b64 exec, exec, s[14:15]
	s_and_saveexec_b64 s[14:15], s[0:1]
	s_cbranch_execnz .LBB595_20
	s_branch .LBB595_25
.LBB595_18:                             ;   in Loop: Header=BB595_3 Depth=1
	v_bfi_b32 v39, s20, 1.0, v40
                                        ; implicit-def: $vgpr40
	s_andn2_saveexec_b64 s[14:15], s[14:15]
	s_cbranch_execz .LBB595_17
.LBB595_19:                             ;   in Loop: Header=BB595_3 Depth=1
	v_mul_f32_e32 v39, v40, v40
	v_fmaak_f32 v41, v40, v40, 0x43bd0000
	v_fmaak_f32 v41, v39, v41, 0x46875a00
	v_fmamk_f32 v42, v39, 0x41e00000, v38
	v_fmaak_f32 v41, v39, v41, 0x4803f7c0
	v_fmaak_f32 v42, v39, v42, 0x4773a200
	;; [unrolled: 1-line block ×3, first 2 shown]
	v_mul_f32_e32 v40, v40, v41
	v_div_scale_f32 v41, s[16:17], v39, v39, v40
	v_rcp_f32_e32 v42, v41
	s_nop 0
	v_fma_f32 v43, -v41, v42, 1.0
	v_fmac_f32_e32 v42, v43, v42
	v_div_scale_f32 v43, vcc, v40, v39, v40
	v_mul_f32_e32 v44, v43, v42
	v_fma_f32 v45, -v41, v44, v43
	v_fmac_f32_e32 v44, v45, v42
	v_fma_f32 v41, -v41, v44, v43
	v_div_fmas_f32 v41, v41, v42, v44
	v_div_fixup_f32 v39, v41, v39, v40
	v_med3_f32 v39, v39, -1.0, 1.0
	s_or_b64 exec, exec, s[14:15]
	s_and_saveexec_b64 s[14:15], s[0:1]
	s_cbranch_execz .LBB595_25
.LBB595_20:                             ;   in Loop: Header=BB595_3 Depth=1
	v_cvt_f32_f16_sdwa v40, v0 dst_sel:DWORD dst_unused:UNUSED_PAD src0_sel:WORD_1
	v_mul_f32_e32 v41, v40, v40
	v_mul_f32_e32 v42, v41, v40
	;; [unrolled: 1-line block ×3, first 2 shown]
	v_fmac_f32_e32 v41, 0x3d122279, v42
	v_cmp_ge_f32_e64 s[16:17], |v41|, s19
                                        ; implicit-def: $vgpr42
	s_and_saveexec_b64 s[22:23], s[16:17]
	s_xor_b64 s[16:17], exec, s[22:23]
; %bb.21:                               ;   in Loop: Header=BB595_3 Depth=1
	v_bfi_b32 v42, s20, 1.0, v41
                                        ; implicit-def: $vgpr41
; %bb.22:                               ;   in Loop: Header=BB595_3 Depth=1
	s_andn2_saveexec_b64 s[16:17], s[16:17]
	s_cbranch_execz .LBB595_24
; %bb.23:                               ;   in Loop: Header=BB595_3 Depth=1
	v_mul_f32_e32 v42, v41, v41
	v_fmaak_f32 v43, v41, v41, 0x43bd0000
	v_fmaak_f32 v43, v42, v43, 0x46875a00
	v_fmamk_f32 v44, v42, 0x41e00000, v38
	v_fmaak_f32 v43, v42, v43, 0x4803f7c0
	v_fmaak_f32 v44, v42, v44, 0x4773a200
	;; [unrolled: 1-line block ×3, first 2 shown]
	v_mul_f32_e32 v41, v41, v43
	v_div_scale_f32 v43, s[22:23], v42, v42, v41
	v_rcp_f32_e32 v44, v43
	s_nop 0
	v_fma_f32 v45, -v43, v44, 1.0
	v_fmac_f32_e32 v44, v45, v44
	v_div_scale_f32 v45, vcc, v41, v42, v41
	v_mul_f32_e32 v46, v45, v44
	v_fma_f32 v47, -v43, v46, v45
	v_fmac_f32_e32 v46, v47, v44
	v_fma_f32 v43, -v43, v46, v45
	v_div_fmas_f32 v43, v43, v44, v46
	v_div_fixup_f32 v41, v43, v42, v41
	v_med3_f32 v42, v41, -1.0, 1.0
.LBB595_24:                             ;   in Loop: Header=BB595_3 Depth=1
	s_or_b64 exec, exec, s[16:17]
	v_fmac_f32_e32 v40, v40, v42
	v_fma_mixhi_f16 v0, v40, s21, 0
.LBB595_25:                             ;   in Loop: Header=BB595_3 Depth=1
	s_or_b64 exec, exec, s[14:15]
	v_cvt_f32_f16_e32 v40, v29
	v_mul_f32_e32 v41, v40, v40
	v_mul_f32_e32 v41, v41, v40
	;; [unrolled: 1-line block ×3, first 2 shown]
	v_fmac_f32_e32 v42, 0x3d122279, v41
	v_cmp_ge_f32_e64 s[14:15], |v42|, s19
                                        ; implicit-def: $vgpr41
	s_and_saveexec_b64 s[16:17], s[14:15]
	s_xor_b64 s[14:15], exec, s[16:17]
	s_cbranch_execnz .LBB595_28
; %bb.26:                               ;   in Loop: Header=BB595_3 Depth=1
	s_andn2_saveexec_b64 s[14:15], s[14:15]
	s_cbranch_execnz .LBB595_29
.LBB595_27:                             ;   in Loop: Header=BB595_3 Depth=1
	s_or_b64 exec, exec, s[14:15]
	s_and_saveexec_b64 s[14:15], s[0:1]
	s_cbranch_execnz .LBB595_30
	s_branch .LBB595_35
.LBB595_28:                             ;   in Loop: Header=BB595_3 Depth=1
	v_bfi_b32 v41, s20, 1.0, v42
                                        ; implicit-def: $vgpr42
	s_andn2_saveexec_b64 s[14:15], s[14:15]
	s_cbranch_execz .LBB595_27
.LBB595_29:                             ;   in Loop: Header=BB595_3 Depth=1
	v_mul_f32_e32 v41, v42, v42
	v_fmaak_f32 v43, v42, v42, 0x43bd0000
	v_fmaak_f32 v43, v41, v43, 0x46875a00
	v_fmamk_f32 v44, v41, 0x41e00000, v38
	v_fmaak_f32 v43, v41, v43, 0x4803f7c0
	v_fmaak_f32 v44, v41, v44, 0x4773a200
	;; [unrolled: 1-line block ×3, first 2 shown]
	v_mul_f32_e32 v42, v42, v43
	v_div_scale_f32 v43, s[16:17], v41, v41, v42
	v_rcp_f32_e32 v44, v43
	s_nop 0
	v_fma_f32 v45, -v43, v44, 1.0
	v_fmac_f32_e32 v44, v45, v44
	v_div_scale_f32 v45, vcc, v42, v41, v42
	v_mul_f32_e32 v46, v45, v44
	v_fma_f32 v47, -v43, v46, v45
	v_fmac_f32_e32 v46, v47, v44
	v_fma_f32 v43, -v43, v46, v45
	v_div_fmas_f32 v43, v43, v44, v46
	v_div_fixup_f32 v41, v43, v41, v42
	v_med3_f32 v41, v41, -1.0, 1.0
	s_or_b64 exec, exec, s[14:15]
	s_and_saveexec_b64 s[14:15], s[0:1]
	s_cbranch_execz .LBB595_35
.LBB595_30:                             ;   in Loop: Header=BB595_3 Depth=1
	v_cvt_f32_f16_e32 v42, v1
	v_mul_f32_e32 v43, v42, v42
	v_mul_f32_e32 v44, v43, v42
	;; [unrolled: 1-line block ×3, first 2 shown]
	v_fmac_f32_e32 v43, 0x3d122279, v44
	v_cmp_ge_f32_e64 s[16:17], |v43|, s19
                                        ; implicit-def: $vgpr44
	s_and_saveexec_b64 s[22:23], s[16:17]
	s_xor_b64 s[16:17], exec, s[22:23]
; %bb.31:                               ;   in Loop: Header=BB595_3 Depth=1
	v_bfi_b32 v44, s20, 1.0, v43
                                        ; implicit-def: $vgpr43
; %bb.32:                               ;   in Loop: Header=BB595_3 Depth=1
	s_andn2_saveexec_b64 s[16:17], s[16:17]
	s_cbranch_execz .LBB595_34
; %bb.33:                               ;   in Loop: Header=BB595_3 Depth=1
	v_mul_f32_e32 v44, v43, v43
	v_fmaak_f32 v45, v43, v43, 0x43bd0000
	v_fmaak_f32 v45, v44, v45, 0x46875a00
	v_fmamk_f32 v46, v44, 0x41e00000, v38
	v_fmaak_f32 v45, v44, v45, 0x4803f7c0
	v_fmaak_f32 v46, v44, v46, 0x4773a200
	;; [unrolled: 1-line block ×3, first 2 shown]
	v_mul_f32_e32 v43, v43, v45
	v_div_scale_f32 v45, s[22:23], v44, v44, v43
	v_rcp_f32_e32 v46, v45
	s_nop 0
	v_fma_f32 v47, -v45, v46, 1.0
	v_fmac_f32_e32 v46, v47, v46
	v_div_scale_f32 v47, vcc, v43, v44, v43
	v_mul_f32_e32 v48, v47, v46
	v_fma_f32 v49, -v45, v48, v47
	v_fmac_f32_e32 v48, v49, v46
	v_fma_f32 v45, -v45, v48, v47
	v_div_fmas_f32 v45, v45, v46, v48
	v_div_fixup_f32 v43, v45, v44, v43
	v_med3_f32 v44, v43, -1.0, 1.0
.LBB595_34:                             ;   in Loop: Header=BB595_3 Depth=1
	s_or_b64 exec, exec, s[16:17]
	v_fmac_f32_e32 v42, v42, v44
	v_fma_mixlo_f16 v42, v42, s21, 0
	v_bfi_b32 v1, s18, v42, v1
.LBB595_35:                             ;   in Loop: Header=BB595_3 Depth=1
	s_or_b64 exec, exec, s[14:15]
	v_cvt_f32_f16_sdwa v29, v29 dst_sel:DWORD dst_unused:UNUSED_PAD src0_sel:WORD_1
	v_mul_f32_e32 v42, v29, v29
	v_mul_f32_e32 v42, v42, v29
	;; [unrolled: 1-line block ×3, first 2 shown]
	v_fmac_f32_e32 v43, 0x3d122279, v42
	v_cmp_ge_f32_e64 s[14:15], |v43|, s19
                                        ; implicit-def: $vgpr42
	s_and_saveexec_b64 s[16:17], s[14:15]
	s_xor_b64 s[14:15], exec, s[16:17]
	s_cbranch_execnz .LBB595_38
; %bb.36:                               ;   in Loop: Header=BB595_3 Depth=1
	s_andn2_saveexec_b64 s[14:15], s[14:15]
	s_cbranch_execnz .LBB595_39
.LBB595_37:                             ;   in Loop: Header=BB595_3 Depth=1
	s_or_b64 exec, exec, s[14:15]
	s_and_saveexec_b64 s[14:15], s[0:1]
	s_cbranch_execnz .LBB595_40
	s_branch .LBB595_45
.LBB595_38:                             ;   in Loop: Header=BB595_3 Depth=1
	v_bfi_b32 v42, s20, 1.0, v43
                                        ; implicit-def: $vgpr43
	s_andn2_saveexec_b64 s[14:15], s[14:15]
	s_cbranch_execz .LBB595_37
.LBB595_39:                             ;   in Loop: Header=BB595_3 Depth=1
	v_mul_f32_e32 v42, v43, v43
	v_fmaak_f32 v44, v43, v43, 0x43bd0000
	v_fmaak_f32 v44, v42, v44, 0x46875a00
	v_fmamk_f32 v45, v42, 0x41e00000, v38
	v_fmaak_f32 v44, v42, v44, 0x4803f7c0
	v_fmaak_f32 v45, v42, v45, 0x4773a200
	;; [unrolled: 1-line block ×3, first 2 shown]
	v_mul_f32_e32 v43, v43, v44
	v_div_scale_f32 v44, s[16:17], v42, v42, v43
	v_rcp_f32_e32 v45, v44
	s_nop 0
	v_fma_f32 v46, -v44, v45, 1.0
	v_fmac_f32_e32 v45, v46, v45
	v_div_scale_f32 v46, vcc, v43, v42, v43
	v_mul_f32_e32 v47, v46, v45
	v_fma_f32 v48, -v44, v47, v46
	v_fmac_f32_e32 v47, v48, v45
	v_fma_f32 v44, -v44, v47, v46
	v_div_fmas_f32 v44, v44, v45, v47
	v_div_fixup_f32 v42, v44, v42, v43
	v_med3_f32 v42, v42, -1.0, 1.0
	s_or_b64 exec, exec, s[14:15]
	s_and_saveexec_b64 s[14:15], s[0:1]
	s_cbranch_execz .LBB595_45
.LBB595_40:                             ;   in Loop: Header=BB595_3 Depth=1
	v_cvt_f32_f16_sdwa v43, v1 dst_sel:DWORD dst_unused:UNUSED_PAD src0_sel:WORD_1
	v_mul_f32_e32 v44, v43, v43
	v_mul_f32_e32 v45, v44, v43
	;; [unrolled: 1-line block ×3, first 2 shown]
	v_fmac_f32_e32 v44, 0x3d122279, v45
	v_cmp_ge_f32_e64 s[16:17], |v44|, s19
                                        ; implicit-def: $vgpr45
	s_and_saveexec_b64 s[22:23], s[16:17]
	s_xor_b64 s[16:17], exec, s[22:23]
; %bb.41:                               ;   in Loop: Header=BB595_3 Depth=1
	v_bfi_b32 v45, s20, 1.0, v44
                                        ; implicit-def: $vgpr44
; %bb.42:                               ;   in Loop: Header=BB595_3 Depth=1
	s_andn2_saveexec_b64 s[16:17], s[16:17]
	s_cbranch_execz .LBB595_44
; %bb.43:                               ;   in Loop: Header=BB595_3 Depth=1
	v_mul_f32_e32 v45, v44, v44
	v_fmaak_f32 v46, v44, v44, 0x43bd0000
	v_fmaak_f32 v46, v45, v46, 0x46875a00
	v_fmamk_f32 v47, v45, 0x41e00000, v38
	v_fmaak_f32 v46, v45, v46, 0x4803f7c0
	v_fmaak_f32 v47, v45, v47, 0x4773a200
	;; [unrolled: 1-line block ×3, first 2 shown]
	v_mul_f32_e32 v44, v44, v46
	v_div_scale_f32 v46, s[22:23], v45, v45, v44
	v_rcp_f32_e32 v47, v46
	s_nop 0
	v_fma_f32 v48, -v46, v47, 1.0
	v_fmac_f32_e32 v47, v48, v47
	v_div_scale_f32 v48, vcc, v44, v45, v44
	v_mul_f32_e32 v49, v48, v47
	v_fma_f32 v50, -v46, v49, v48
	v_fmac_f32_e32 v49, v50, v47
	v_fma_f32 v46, -v46, v49, v48
	v_div_fmas_f32 v46, v46, v47, v49
	v_div_fixup_f32 v44, v46, v45, v44
	v_med3_f32 v45, v44, -1.0, 1.0
.LBB595_44:                             ;   in Loop: Header=BB595_3 Depth=1
	s_or_b64 exec, exec, s[16:17]
	v_fmac_f32_e32 v43, v43, v45
	v_fma_mixhi_f16 v1, v43, s21, 0
.LBB595_45:                             ;   in Loop: Header=BB595_3 Depth=1
	s_or_b64 exec, exec, s[14:15]
	v_cvt_f32_f16_e32 v43, v30
	v_mul_f32_e32 v44, v43, v43
	v_mul_f32_e32 v44, v44, v43
	;; [unrolled: 1-line block ×3, first 2 shown]
	v_fmac_f32_e32 v45, 0x3d122279, v44
	v_cmp_ge_f32_e64 s[14:15], |v45|, s19
                                        ; implicit-def: $vgpr44
	s_and_saveexec_b64 s[16:17], s[14:15]
	s_xor_b64 s[14:15], exec, s[16:17]
	s_cbranch_execnz .LBB595_48
; %bb.46:                               ;   in Loop: Header=BB595_3 Depth=1
	s_andn2_saveexec_b64 s[14:15], s[14:15]
	s_cbranch_execnz .LBB595_49
.LBB595_47:                             ;   in Loop: Header=BB595_3 Depth=1
	s_or_b64 exec, exec, s[14:15]
	s_and_saveexec_b64 s[14:15], s[0:1]
	s_cbranch_execnz .LBB595_50
	s_branch .LBB595_55
.LBB595_48:                             ;   in Loop: Header=BB595_3 Depth=1
	v_bfi_b32 v44, s20, 1.0, v45
                                        ; implicit-def: $vgpr45
	s_andn2_saveexec_b64 s[14:15], s[14:15]
	s_cbranch_execz .LBB595_47
.LBB595_49:                             ;   in Loop: Header=BB595_3 Depth=1
	v_mul_f32_e32 v44, v45, v45
	v_fmaak_f32 v46, v45, v45, 0x43bd0000
	v_fmaak_f32 v46, v44, v46, 0x46875a00
	v_fmamk_f32 v47, v44, 0x41e00000, v38
	v_fmaak_f32 v46, v44, v46, 0x4803f7c0
	v_fmaak_f32 v47, v44, v47, 0x4773a200
	;; [unrolled: 1-line block ×3, first 2 shown]
	v_mul_f32_e32 v45, v45, v46
	v_div_scale_f32 v46, s[16:17], v44, v44, v45
	v_rcp_f32_e32 v47, v46
	s_nop 0
	v_fma_f32 v48, -v46, v47, 1.0
	v_fmac_f32_e32 v47, v48, v47
	v_div_scale_f32 v48, vcc, v45, v44, v45
	v_mul_f32_e32 v49, v48, v47
	v_fma_f32 v50, -v46, v49, v48
	v_fmac_f32_e32 v49, v50, v47
	v_fma_f32 v46, -v46, v49, v48
	v_div_fmas_f32 v46, v46, v47, v49
	v_div_fixup_f32 v44, v46, v44, v45
	v_med3_f32 v44, v44, -1.0, 1.0
	s_or_b64 exec, exec, s[14:15]
	s_and_saveexec_b64 s[14:15], s[0:1]
	s_cbranch_execz .LBB595_55
.LBB595_50:                             ;   in Loop: Header=BB595_3 Depth=1
	v_cvt_f32_f16_e32 v45, v2
	v_mul_f32_e32 v46, v45, v45
	v_mul_f32_e32 v47, v46, v45
	;; [unrolled: 1-line block ×3, first 2 shown]
	v_fmac_f32_e32 v46, 0x3d122279, v47
	v_cmp_ge_f32_e64 s[16:17], |v46|, s19
                                        ; implicit-def: $vgpr47
	s_and_saveexec_b64 s[22:23], s[16:17]
	s_xor_b64 s[16:17], exec, s[22:23]
; %bb.51:                               ;   in Loop: Header=BB595_3 Depth=1
	v_bfi_b32 v47, s20, 1.0, v46
                                        ; implicit-def: $vgpr46
; %bb.52:                               ;   in Loop: Header=BB595_3 Depth=1
	s_andn2_saveexec_b64 s[16:17], s[16:17]
	s_cbranch_execz .LBB595_54
; %bb.53:                               ;   in Loop: Header=BB595_3 Depth=1
	v_mul_f32_e32 v47, v46, v46
	v_fmaak_f32 v48, v46, v46, 0x43bd0000
	v_fmaak_f32 v48, v47, v48, 0x46875a00
	v_fmamk_f32 v49, v47, 0x41e00000, v38
	v_fmaak_f32 v48, v47, v48, 0x4803f7c0
	v_fmaak_f32 v49, v47, v49, 0x4773a200
	;; [unrolled: 1-line block ×3, first 2 shown]
	v_mul_f32_e32 v46, v46, v48
	v_div_scale_f32 v48, s[22:23], v47, v47, v46
	v_rcp_f32_e32 v49, v48
	s_nop 0
	v_fma_f32 v50, -v48, v49, 1.0
	v_fmac_f32_e32 v49, v50, v49
	v_div_scale_f32 v50, vcc, v46, v47, v46
	v_mul_f32_e32 v51, v50, v49
	v_fma_f32 v52, -v48, v51, v50
	v_fmac_f32_e32 v51, v52, v49
	v_fma_f32 v48, -v48, v51, v50
	v_div_fmas_f32 v48, v48, v49, v51
	v_div_fixup_f32 v46, v48, v47, v46
	v_med3_f32 v47, v46, -1.0, 1.0
.LBB595_54:                             ;   in Loop: Header=BB595_3 Depth=1
	s_or_b64 exec, exec, s[16:17]
	v_fmac_f32_e32 v45, v45, v47
	v_fma_mixlo_f16 v45, v45, s21, 0
	v_bfi_b32 v2, s18, v45, v2
.LBB595_55:                             ;   in Loop: Header=BB595_3 Depth=1
	s_or_b64 exec, exec, s[14:15]
	v_cvt_f32_f16_sdwa v30, v30 dst_sel:DWORD dst_unused:UNUSED_PAD src0_sel:WORD_1
	v_mul_f32_e32 v45, v30, v30
	v_mul_f32_e32 v45, v45, v30
	;; [unrolled: 1-line block ×3, first 2 shown]
	v_fmac_f32_e32 v46, 0x3d122279, v45
	v_cmp_ge_f32_e64 s[14:15], |v46|, s19
                                        ; implicit-def: $vgpr45
	s_and_saveexec_b64 s[16:17], s[14:15]
	s_xor_b64 s[14:15], exec, s[16:17]
	s_cbranch_execnz .LBB595_58
; %bb.56:                               ;   in Loop: Header=BB595_3 Depth=1
	s_andn2_saveexec_b64 s[14:15], s[14:15]
	s_cbranch_execnz .LBB595_59
.LBB595_57:                             ;   in Loop: Header=BB595_3 Depth=1
	s_or_b64 exec, exec, s[14:15]
	s_and_saveexec_b64 s[14:15], s[0:1]
	s_cbranch_execnz .LBB595_60
	s_branch .LBB595_65
.LBB595_58:                             ;   in Loop: Header=BB595_3 Depth=1
	v_bfi_b32 v45, s20, 1.0, v46
                                        ; implicit-def: $vgpr46
	s_andn2_saveexec_b64 s[14:15], s[14:15]
	s_cbranch_execz .LBB595_57
.LBB595_59:                             ;   in Loop: Header=BB595_3 Depth=1
	v_mul_f32_e32 v45, v46, v46
	v_fmaak_f32 v47, v46, v46, 0x43bd0000
	v_fmaak_f32 v47, v45, v47, 0x46875a00
	v_fmamk_f32 v48, v45, 0x41e00000, v38
	v_fmaak_f32 v47, v45, v47, 0x4803f7c0
	v_fmaak_f32 v48, v45, v48, 0x4773a200
	;; [unrolled: 1-line block ×3, first 2 shown]
	v_mul_f32_e32 v46, v46, v47
	v_div_scale_f32 v47, s[16:17], v45, v45, v46
	v_rcp_f32_e32 v48, v47
	s_nop 0
	v_fma_f32 v49, -v47, v48, 1.0
	v_fmac_f32_e32 v48, v49, v48
	v_div_scale_f32 v49, vcc, v46, v45, v46
	v_mul_f32_e32 v50, v49, v48
	v_fma_f32 v51, -v47, v50, v49
	v_fmac_f32_e32 v50, v51, v48
	v_fma_f32 v47, -v47, v50, v49
	v_div_fmas_f32 v47, v47, v48, v50
	v_div_fixup_f32 v45, v47, v45, v46
	v_med3_f32 v45, v45, -1.0, 1.0
	s_or_b64 exec, exec, s[14:15]
	s_and_saveexec_b64 s[14:15], s[0:1]
	s_cbranch_execz .LBB595_65
.LBB595_60:                             ;   in Loop: Header=BB595_3 Depth=1
	v_cvt_f32_f16_sdwa v46, v2 dst_sel:DWORD dst_unused:UNUSED_PAD src0_sel:WORD_1
	v_mul_f32_e32 v47, v46, v46
	v_mul_f32_e32 v48, v47, v46
	;; [unrolled: 1-line block ×3, first 2 shown]
	v_fmac_f32_e32 v47, 0x3d122279, v48
	v_cmp_ge_f32_e64 s[16:17], |v47|, s19
                                        ; implicit-def: $vgpr48
	s_and_saveexec_b64 s[22:23], s[16:17]
	s_xor_b64 s[16:17], exec, s[22:23]
; %bb.61:                               ;   in Loop: Header=BB595_3 Depth=1
	v_bfi_b32 v48, s20, 1.0, v47
                                        ; implicit-def: $vgpr47
; %bb.62:                               ;   in Loop: Header=BB595_3 Depth=1
	s_andn2_saveexec_b64 s[16:17], s[16:17]
	s_cbranch_execz .LBB595_64
; %bb.63:                               ;   in Loop: Header=BB595_3 Depth=1
	v_mul_f32_e32 v48, v47, v47
	v_fmaak_f32 v49, v47, v47, 0x43bd0000
	v_fmaak_f32 v49, v48, v49, 0x46875a00
	v_fmamk_f32 v50, v48, 0x41e00000, v38
	v_fmaak_f32 v49, v48, v49, 0x4803f7c0
	v_fmaak_f32 v50, v48, v50, 0x4773a200
	;; [unrolled: 1-line block ×3, first 2 shown]
	v_mul_f32_e32 v47, v47, v49
	v_div_scale_f32 v49, s[22:23], v48, v48, v47
	v_rcp_f32_e32 v50, v49
	s_nop 0
	v_fma_f32 v51, -v49, v50, 1.0
	v_fmac_f32_e32 v50, v51, v50
	v_div_scale_f32 v51, vcc, v47, v48, v47
	v_mul_f32_e32 v52, v51, v50
	v_fma_f32 v53, -v49, v52, v51
	v_fmac_f32_e32 v52, v53, v50
	v_fma_f32 v49, -v49, v52, v51
	v_div_fmas_f32 v49, v49, v50, v52
	v_div_fixup_f32 v47, v49, v48, v47
	v_med3_f32 v48, v47, -1.0, 1.0
.LBB595_64:                             ;   in Loop: Header=BB595_3 Depth=1
	s_or_b64 exec, exec, s[16:17]
	v_fmac_f32_e32 v46, v46, v48
	v_fma_mixhi_f16 v2, v46, s21, 0
.LBB595_65:                             ;   in Loop: Header=BB595_3 Depth=1
	s_or_b64 exec, exec, s[14:15]
	v_cvt_f32_f16_e32 v46, v31
	v_mul_f32_e32 v47, v46, v46
	v_mul_f32_e32 v47, v47, v46
	v_mul_f32_e32 v48, 0x3f4c422a, v46
	v_fmac_f32_e32 v48, 0x3d122279, v47
	v_cmp_ge_f32_e64 s[14:15], |v48|, s19
                                        ; implicit-def: $vgpr47
	s_and_saveexec_b64 s[16:17], s[14:15]
	s_xor_b64 s[14:15], exec, s[16:17]
	s_cbranch_execnz .LBB595_68
; %bb.66:                               ;   in Loop: Header=BB595_3 Depth=1
	s_andn2_saveexec_b64 s[14:15], s[14:15]
	s_cbranch_execnz .LBB595_69
.LBB595_67:                             ;   in Loop: Header=BB595_3 Depth=1
	s_or_b64 exec, exec, s[14:15]
	s_and_saveexec_b64 s[14:15], s[0:1]
	s_cbranch_execnz .LBB595_70
	s_branch .LBB595_75
.LBB595_68:                             ;   in Loop: Header=BB595_3 Depth=1
	v_bfi_b32 v47, s20, 1.0, v48
                                        ; implicit-def: $vgpr48
	s_andn2_saveexec_b64 s[14:15], s[14:15]
	s_cbranch_execz .LBB595_67
.LBB595_69:                             ;   in Loop: Header=BB595_3 Depth=1
	v_mul_f32_e32 v47, v48, v48
	v_fmaak_f32 v49, v48, v48, 0x43bd0000
	v_fmaak_f32 v49, v47, v49, 0x46875a00
	v_fmamk_f32 v50, v47, 0x41e00000, v38
	v_fmaak_f32 v49, v47, v49, 0x4803f7c0
	v_fmaak_f32 v50, v47, v50, 0x4773a200
	;; [unrolled: 1-line block ×3, first 2 shown]
	v_mul_f32_e32 v48, v48, v49
	v_div_scale_f32 v49, s[16:17], v47, v47, v48
	v_rcp_f32_e32 v50, v49
	s_nop 0
	v_fma_f32 v51, -v49, v50, 1.0
	v_fmac_f32_e32 v50, v51, v50
	v_div_scale_f32 v51, vcc, v48, v47, v48
	v_mul_f32_e32 v52, v51, v50
	v_fma_f32 v53, -v49, v52, v51
	v_fmac_f32_e32 v52, v53, v50
	v_fma_f32 v49, -v49, v52, v51
	v_div_fmas_f32 v49, v49, v50, v52
	v_div_fixup_f32 v47, v49, v47, v48
	v_med3_f32 v47, v47, -1.0, 1.0
	s_or_b64 exec, exec, s[14:15]
	s_and_saveexec_b64 s[14:15], s[0:1]
	s_cbranch_execz .LBB595_75
.LBB595_70:                             ;   in Loop: Header=BB595_3 Depth=1
	v_cvt_f32_f16_e32 v48, v3
	v_mul_f32_e32 v49, v48, v48
	v_mul_f32_e32 v50, v49, v48
	;; [unrolled: 1-line block ×3, first 2 shown]
	v_fmac_f32_e32 v49, 0x3d122279, v50
	v_cmp_ge_f32_e64 s[16:17], |v49|, s19
                                        ; implicit-def: $vgpr50
	s_and_saveexec_b64 s[22:23], s[16:17]
	s_xor_b64 s[16:17], exec, s[22:23]
; %bb.71:                               ;   in Loop: Header=BB595_3 Depth=1
	v_bfi_b32 v50, s20, 1.0, v49
                                        ; implicit-def: $vgpr49
; %bb.72:                               ;   in Loop: Header=BB595_3 Depth=1
	s_andn2_saveexec_b64 s[16:17], s[16:17]
	s_cbranch_execz .LBB595_74
; %bb.73:                               ;   in Loop: Header=BB595_3 Depth=1
	v_mul_f32_e32 v50, v49, v49
	v_fmaak_f32 v51, v49, v49, 0x43bd0000
	v_fmaak_f32 v51, v50, v51, 0x46875a00
	v_fmamk_f32 v52, v50, 0x41e00000, v38
	v_fmaak_f32 v51, v50, v51, 0x4803f7c0
	v_fmaak_f32 v52, v50, v52, 0x4773a200
	;; [unrolled: 1-line block ×3, first 2 shown]
	v_mul_f32_e32 v49, v49, v51
	v_div_scale_f32 v51, s[22:23], v50, v50, v49
	v_rcp_f32_e32 v52, v51
	s_nop 0
	v_fma_f32 v53, -v51, v52, 1.0
	v_fmac_f32_e32 v52, v53, v52
	v_div_scale_f32 v53, vcc, v49, v50, v49
	v_mul_f32_e32 v54, v53, v52
	v_fma_f32 v55, -v51, v54, v53
	v_fmac_f32_e32 v54, v55, v52
	v_fma_f32 v51, -v51, v54, v53
	v_div_fmas_f32 v51, v51, v52, v54
	v_div_fixup_f32 v49, v51, v50, v49
	v_med3_f32 v50, v49, -1.0, 1.0
.LBB595_74:                             ;   in Loop: Header=BB595_3 Depth=1
	s_or_b64 exec, exec, s[16:17]
	v_fmac_f32_e32 v48, v48, v50
	v_fma_mixlo_f16 v48, v48, s21, 0
	v_bfi_b32 v3, s18, v48, v3
.LBB595_75:                             ;   in Loop: Header=BB595_3 Depth=1
	s_or_b64 exec, exec, s[14:15]
	v_cvt_f32_f16_sdwa v31, v31 dst_sel:DWORD dst_unused:UNUSED_PAD src0_sel:WORD_1
	v_mul_f32_e32 v48, v31, v31
	v_mul_f32_e32 v48, v48, v31
	;; [unrolled: 1-line block ×3, first 2 shown]
	v_fmac_f32_e32 v49, 0x3d122279, v48
	v_cmp_ge_f32_e64 s[14:15], |v49|, s19
                                        ; implicit-def: $vgpr48
	s_and_saveexec_b64 s[16:17], s[14:15]
	s_xor_b64 s[14:15], exec, s[16:17]
	s_cbranch_execnz .LBB595_78
; %bb.76:                               ;   in Loop: Header=BB595_3 Depth=1
	s_andn2_saveexec_b64 s[14:15], s[14:15]
	s_cbranch_execnz .LBB595_79
.LBB595_77:                             ;   in Loop: Header=BB595_3 Depth=1
	s_or_b64 exec, exec, s[14:15]
	s_and_saveexec_b64 s[14:15], s[0:1]
	s_cbranch_execnz .LBB595_80
	s_branch .LBB595_85
.LBB595_78:                             ;   in Loop: Header=BB595_3 Depth=1
	v_bfi_b32 v48, s20, 1.0, v49
                                        ; implicit-def: $vgpr49
	s_andn2_saveexec_b64 s[14:15], s[14:15]
	s_cbranch_execz .LBB595_77
.LBB595_79:                             ;   in Loop: Header=BB595_3 Depth=1
	v_mul_f32_e32 v48, v49, v49
	v_fmaak_f32 v50, v49, v49, 0x43bd0000
	v_fmaak_f32 v50, v48, v50, 0x46875a00
	v_fmamk_f32 v51, v48, 0x41e00000, v38
	v_fmaak_f32 v50, v48, v50, 0x4803f7c0
	v_fmaak_f32 v51, v48, v51, 0x4773a200
	;; [unrolled: 1-line block ×3, first 2 shown]
	v_mul_f32_e32 v49, v49, v50
	v_div_scale_f32 v50, s[16:17], v48, v48, v49
	v_rcp_f32_e32 v51, v50
	s_nop 0
	v_fma_f32 v52, -v50, v51, 1.0
	v_fmac_f32_e32 v51, v52, v51
	v_div_scale_f32 v52, vcc, v49, v48, v49
	v_mul_f32_e32 v53, v52, v51
	v_fma_f32 v54, -v50, v53, v52
	v_fmac_f32_e32 v53, v54, v51
	v_fma_f32 v50, -v50, v53, v52
	v_div_fmas_f32 v50, v50, v51, v53
	v_div_fixup_f32 v48, v50, v48, v49
	v_med3_f32 v48, v48, -1.0, 1.0
	s_or_b64 exec, exec, s[14:15]
	s_and_saveexec_b64 s[14:15], s[0:1]
	s_cbranch_execz .LBB595_85
.LBB595_80:                             ;   in Loop: Header=BB595_3 Depth=1
	v_cvt_f32_f16_sdwa v49, v3 dst_sel:DWORD dst_unused:UNUSED_PAD src0_sel:WORD_1
	v_mul_f32_e32 v50, v49, v49
	v_mul_f32_e32 v51, v50, v49
	v_mul_f32_e32 v50, 0x3f4c422a, v49
	v_fmac_f32_e32 v50, 0x3d122279, v51
	v_cmp_ge_f32_e64 s[16:17], |v50|, s19
                                        ; implicit-def: $vgpr51
	s_and_saveexec_b64 s[22:23], s[16:17]
	s_xor_b64 s[16:17], exec, s[22:23]
; %bb.81:                               ;   in Loop: Header=BB595_3 Depth=1
	v_bfi_b32 v51, s20, 1.0, v50
                                        ; implicit-def: $vgpr50
; %bb.82:                               ;   in Loop: Header=BB595_3 Depth=1
	s_andn2_saveexec_b64 s[16:17], s[16:17]
	s_cbranch_execz .LBB595_84
; %bb.83:                               ;   in Loop: Header=BB595_3 Depth=1
	v_mul_f32_e32 v51, v50, v50
	v_fmaak_f32 v52, v50, v50, 0x43bd0000
	v_fmaak_f32 v52, v51, v52, 0x46875a00
	v_fmamk_f32 v53, v51, 0x41e00000, v38
	v_fmaak_f32 v52, v51, v52, 0x4803f7c0
	v_fmaak_f32 v53, v51, v53, 0x4773a200
	;; [unrolled: 1-line block ×3, first 2 shown]
	v_mul_f32_e32 v50, v50, v52
	v_div_scale_f32 v52, s[22:23], v51, v51, v50
	v_rcp_f32_e32 v53, v52
	s_nop 0
	v_fma_f32 v54, -v52, v53, 1.0
	v_fmac_f32_e32 v53, v54, v53
	v_div_scale_f32 v54, vcc, v50, v51, v50
	v_mul_f32_e32 v55, v54, v53
	v_fma_f32 v56, -v52, v55, v54
	v_fmac_f32_e32 v55, v56, v53
	v_fma_f32 v52, -v52, v55, v54
	v_div_fmas_f32 v52, v52, v53, v55
	v_div_fixup_f32 v50, v52, v51, v50
	v_med3_f32 v51, v50, -1.0, 1.0
.LBB595_84:                             ;   in Loop: Header=BB595_3 Depth=1
	s_or_b64 exec, exec, s[16:17]
	v_fmac_f32_e32 v49, v49, v51
	v_fma_mixhi_f16 v3, v49, s21, 0
.LBB595_85:                             ;   in Loop: Header=BB595_3 Depth=1
	s_or_b64 exec, exec, s[14:15]
	v_cvt_f32_f16_e32 v49, v24
	v_mul_f32_e32 v50, v49, v49
	v_mul_f32_e32 v50, v50, v49
	;; [unrolled: 1-line block ×3, first 2 shown]
	v_fmac_f32_e32 v51, 0x3d122279, v50
	v_cmp_ge_f32_e64 s[14:15], |v51|, s19
                                        ; implicit-def: $vgpr50
	s_and_saveexec_b64 s[16:17], s[14:15]
	s_xor_b64 s[14:15], exec, s[16:17]
	s_cbranch_execnz .LBB595_88
; %bb.86:                               ;   in Loop: Header=BB595_3 Depth=1
	s_andn2_saveexec_b64 s[14:15], s[14:15]
	s_cbranch_execnz .LBB595_89
.LBB595_87:                             ;   in Loop: Header=BB595_3 Depth=1
	s_or_b64 exec, exec, s[14:15]
	s_and_saveexec_b64 s[14:15], s[0:1]
	s_cbranch_execnz .LBB595_90
	s_branch .LBB595_95
.LBB595_88:                             ;   in Loop: Header=BB595_3 Depth=1
	v_bfi_b32 v50, s20, 1.0, v51
                                        ; implicit-def: $vgpr51
	s_andn2_saveexec_b64 s[14:15], s[14:15]
	s_cbranch_execz .LBB595_87
.LBB595_89:                             ;   in Loop: Header=BB595_3 Depth=1
	v_mul_f32_e32 v50, v51, v51
	v_fmaak_f32 v52, v51, v51, 0x43bd0000
	v_fmaak_f32 v52, v50, v52, 0x46875a00
	v_fmamk_f32 v53, v50, 0x41e00000, v38
	v_fmaak_f32 v52, v50, v52, 0x4803f7c0
	v_fmaak_f32 v53, v50, v53, 0x4773a200
	;; [unrolled: 1-line block ×3, first 2 shown]
	v_mul_f32_e32 v51, v51, v52
	v_div_scale_f32 v52, s[16:17], v50, v50, v51
	v_rcp_f32_e32 v53, v52
	s_nop 0
	v_fma_f32 v54, -v52, v53, 1.0
	v_fmac_f32_e32 v53, v54, v53
	v_div_scale_f32 v54, vcc, v51, v50, v51
	v_mul_f32_e32 v55, v54, v53
	v_fma_f32 v56, -v52, v55, v54
	v_fmac_f32_e32 v55, v56, v53
	v_fma_f32 v52, -v52, v55, v54
	v_div_fmas_f32 v52, v52, v53, v55
	v_div_fixup_f32 v50, v52, v50, v51
	v_med3_f32 v50, v50, -1.0, 1.0
	s_or_b64 exec, exec, s[14:15]
	s_and_saveexec_b64 s[14:15], s[0:1]
	s_cbranch_execz .LBB595_95
.LBB595_90:                             ;   in Loop: Header=BB595_3 Depth=1
	v_cvt_f32_f16_e32 v51, v4
	v_mul_f32_e32 v52, v51, v51
	v_mul_f32_e32 v53, v52, v51
	;; [unrolled: 1-line block ×3, first 2 shown]
	v_fmac_f32_e32 v52, 0x3d122279, v53
	v_cmp_ge_f32_e64 s[16:17], |v52|, s19
                                        ; implicit-def: $vgpr53
	s_and_saveexec_b64 s[22:23], s[16:17]
	s_xor_b64 s[16:17], exec, s[22:23]
; %bb.91:                               ;   in Loop: Header=BB595_3 Depth=1
	v_bfi_b32 v53, s20, 1.0, v52
                                        ; implicit-def: $vgpr52
; %bb.92:                               ;   in Loop: Header=BB595_3 Depth=1
	s_andn2_saveexec_b64 s[16:17], s[16:17]
	s_cbranch_execz .LBB595_94
; %bb.93:                               ;   in Loop: Header=BB595_3 Depth=1
	v_mul_f32_e32 v53, v52, v52
	v_fmaak_f32 v54, v52, v52, 0x43bd0000
	v_fmaak_f32 v54, v53, v54, 0x46875a00
	v_fmamk_f32 v55, v53, 0x41e00000, v38
	v_fmaak_f32 v54, v53, v54, 0x4803f7c0
	v_fmaak_f32 v55, v53, v55, 0x4773a200
	;; [unrolled: 1-line block ×3, first 2 shown]
	v_mul_f32_e32 v52, v52, v54
	v_div_scale_f32 v54, s[22:23], v53, v53, v52
	v_rcp_f32_e32 v55, v54
	s_nop 0
	v_fma_f32 v56, -v54, v55, 1.0
	v_fmac_f32_e32 v55, v56, v55
	v_div_scale_f32 v56, vcc, v52, v53, v52
	v_mul_f32_e32 v57, v56, v55
	v_fma_f32 v58, -v54, v57, v56
	v_fmac_f32_e32 v57, v58, v55
	v_fma_f32 v54, -v54, v57, v56
	v_div_fmas_f32 v54, v54, v55, v57
	v_div_fixup_f32 v52, v54, v53, v52
	v_med3_f32 v53, v52, -1.0, 1.0
.LBB595_94:                             ;   in Loop: Header=BB595_3 Depth=1
	s_or_b64 exec, exec, s[16:17]
	v_fmac_f32_e32 v51, v51, v53
	v_fma_mixlo_f16 v51, v51, s21, 0
	v_bfi_b32 v4, s18, v51, v4
.LBB595_95:                             ;   in Loop: Header=BB595_3 Depth=1
	s_or_b64 exec, exec, s[14:15]
	v_cvt_f32_f16_sdwa v24, v24 dst_sel:DWORD dst_unused:UNUSED_PAD src0_sel:WORD_1
	v_mul_f32_e32 v51, v24, v24
	v_mul_f32_e32 v51, v51, v24
	;; [unrolled: 1-line block ×3, first 2 shown]
	v_fmac_f32_e32 v52, 0x3d122279, v51
	v_cmp_ge_f32_e64 s[14:15], |v52|, s19
                                        ; implicit-def: $vgpr51
	s_and_saveexec_b64 s[16:17], s[14:15]
	s_xor_b64 s[14:15], exec, s[16:17]
	s_cbranch_execnz .LBB595_98
; %bb.96:                               ;   in Loop: Header=BB595_3 Depth=1
	s_andn2_saveexec_b64 s[14:15], s[14:15]
	s_cbranch_execnz .LBB595_99
.LBB595_97:                             ;   in Loop: Header=BB595_3 Depth=1
	s_or_b64 exec, exec, s[14:15]
	s_and_saveexec_b64 s[14:15], s[0:1]
	s_cbranch_execnz .LBB595_100
	s_branch .LBB595_105
.LBB595_98:                             ;   in Loop: Header=BB595_3 Depth=1
	v_bfi_b32 v51, s20, 1.0, v52
                                        ; implicit-def: $vgpr52
	s_andn2_saveexec_b64 s[14:15], s[14:15]
	s_cbranch_execz .LBB595_97
.LBB595_99:                             ;   in Loop: Header=BB595_3 Depth=1
	v_mul_f32_e32 v51, v52, v52
	v_fmaak_f32 v53, v52, v52, 0x43bd0000
	v_fmaak_f32 v53, v51, v53, 0x46875a00
	v_fmamk_f32 v54, v51, 0x41e00000, v38
	v_fmaak_f32 v53, v51, v53, 0x4803f7c0
	v_fmaak_f32 v54, v51, v54, 0x4773a200
	;; [unrolled: 1-line block ×3, first 2 shown]
	v_mul_f32_e32 v52, v52, v53
	v_div_scale_f32 v53, s[16:17], v51, v51, v52
	v_rcp_f32_e32 v54, v53
	s_nop 0
	v_fma_f32 v55, -v53, v54, 1.0
	v_fmac_f32_e32 v54, v55, v54
	v_div_scale_f32 v55, vcc, v52, v51, v52
	v_mul_f32_e32 v56, v55, v54
	v_fma_f32 v57, -v53, v56, v55
	v_fmac_f32_e32 v56, v57, v54
	v_fma_f32 v53, -v53, v56, v55
	v_div_fmas_f32 v53, v53, v54, v56
	v_div_fixup_f32 v51, v53, v51, v52
	v_med3_f32 v51, v51, -1.0, 1.0
	s_or_b64 exec, exec, s[14:15]
	s_and_saveexec_b64 s[14:15], s[0:1]
	s_cbranch_execz .LBB595_105
.LBB595_100:                            ;   in Loop: Header=BB595_3 Depth=1
	v_cvt_f32_f16_sdwa v52, v4 dst_sel:DWORD dst_unused:UNUSED_PAD src0_sel:WORD_1
	v_mul_f32_e32 v53, v52, v52
	v_mul_f32_e32 v54, v53, v52
	;; [unrolled: 1-line block ×3, first 2 shown]
	v_fmac_f32_e32 v53, 0x3d122279, v54
	v_cmp_ge_f32_e64 s[16:17], |v53|, s19
                                        ; implicit-def: $vgpr54
	s_and_saveexec_b64 s[22:23], s[16:17]
	s_xor_b64 s[16:17], exec, s[22:23]
; %bb.101:                              ;   in Loop: Header=BB595_3 Depth=1
	v_bfi_b32 v54, s20, 1.0, v53
                                        ; implicit-def: $vgpr53
; %bb.102:                              ;   in Loop: Header=BB595_3 Depth=1
	s_andn2_saveexec_b64 s[16:17], s[16:17]
	s_cbranch_execz .LBB595_104
; %bb.103:                              ;   in Loop: Header=BB595_3 Depth=1
	v_mul_f32_e32 v54, v53, v53
	v_fmaak_f32 v55, v53, v53, 0x43bd0000
	v_fmaak_f32 v55, v54, v55, 0x46875a00
	v_fmamk_f32 v56, v54, 0x41e00000, v38
	v_fmaak_f32 v55, v54, v55, 0x4803f7c0
	v_fmaak_f32 v56, v54, v56, 0x4773a200
	;; [unrolled: 1-line block ×3, first 2 shown]
	v_mul_f32_e32 v53, v53, v55
	v_div_scale_f32 v55, s[22:23], v54, v54, v53
	v_rcp_f32_e32 v56, v55
	s_nop 0
	v_fma_f32 v57, -v55, v56, 1.0
	v_fmac_f32_e32 v56, v57, v56
	v_div_scale_f32 v57, vcc, v53, v54, v53
	v_mul_f32_e32 v58, v57, v56
	v_fma_f32 v59, -v55, v58, v57
	v_fmac_f32_e32 v58, v59, v56
	v_fma_f32 v55, -v55, v58, v57
	v_div_fmas_f32 v55, v55, v56, v58
	v_div_fixup_f32 v53, v55, v54, v53
	v_med3_f32 v54, v53, -1.0, 1.0
.LBB595_104:                            ;   in Loop: Header=BB595_3 Depth=1
	s_or_b64 exec, exec, s[16:17]
	v_fmac_f32_e32 v52, v52, v54
	v_fma_mixhi_f16 v4, v52, s21, 0
.LBB595_105:                            ;   in Loop: Header=BB595_3 Depth=1
	s_or_b64 exec, exec, s[14:15]
	v_cvt_f32_f16_e32 v52, v25
	v_mul_f32_e32 v53, v52, v52
	v_mul_f32_e32 v53, v53, v52
	;; [unrolled: 1-line block ×3, first 2 shown]
	v_fmac_f32_e32 v54, 0x3d122279, v53
	v_cmp_ge_f32_e64 s[14:15], |v54|, s19
                                        ; implicit-def: $vgpr53
	s_and_saveexec_b64 s[16:17], s[14:15]
	s_xor_b64 s[14:15], exec, s[16:17]
	s_cbranch_execnz .LBB595_108
; %bb.106:                              ;   in Loop: Header=BB595_3 Depth=1
	s_andn2_saveexec_b64 s[14:15], s[14:15]
	s_cbranch_execnz .LBB595_109
.LBB595_107:                            ;   in Loop: Header=BB595_3 Depth=1
	s_or_b64 exec, exec, s[14:15]
	s_and_saveexec_b64 s[14:15], s[0:1]
	s_cbranch_execnz .LBB595_110
	s_branch .LBB595_115
.LBB595_108:                            ;   in Loop: Header=BB595_3 Depth=1
	v_bfi_b32 v53, s20, 1.0, v54
                                        ; implicit-def: $vgpr54
	s_andn2_saveexec_b64 s[14:15], s[14:15]
	s_cbranch_execz .LBB595_107
.LBB595_109:                            ;   in Loop: Header=BB595_3 Depth=1
	v_mul_f32_e32 v53, v54, v54
	v_fmaak_f32 v55, v54, v54, 0x43bd0000
	v_fmaak_f32 v55, v53, v55, 0x46875a00
	v_fmamk_f32 v56, v53, 0x41e00000, v38
	v_fmaak_f32 v55, v53, v55, 0x4803f7c0
	v_fmaak_f32 v56, v53, v56, 0x4773a200
	;; [unrolled: 1-line block ×3, first 2 shown]
	v_mul_f32_e32 v54, v54, v55
	v_div_scale_f32 v55, s[16:17], v53, v53, v54
	v_rcp_f32_e32 v56, v55
	s_nop 0
	v_fma_f32 v57, -v55, v56, 1.0
	v_fmac_f32_e32 v56, v57, v56
	v_div_scale_f32 v57, vcc, v54, v53, v54
	v_mul_f32_e32 v58, v57, v56
	v_fma_f32 v59, -v55, v58, v57
	v_fmac_f32_e32 v58, v59, v56
	v_fma_f32 v55, -v55, v58, v57
	v_div_fmas_f32 v55, v55, v56, v58
	v_div_fixup_f32 v53, v55, v53, v54
	v_med3_f32 v53, v53, -1.0, 1.0
	s_or_b64 exec, exec, s[14:15]
	s_and_saveexec_b64 s[14:15], s[0:1]
	s_cbranch_execz .LBB595_115
.LBB595_110:                            ;   in Loop: Header=BB595_3 Depth=1
	v_cvt_f32_f16_e32 v54, v5
	v_mul_f32_e32 v55, v54, v54
	v_mul_f32_e32 v56, v55, v54
	;; [unrolled: 1-line block ×3, first 2 shown]
	v_fmac_f32_e32 v55, 0x3d122279, v56
	v_cmp_ge_f32_e64 s[16:17], |v55|, s19
                                        ; implicit-def: $vgpr56
	s_and_saveexec_b64 s[22:23], s[16:17]
	s_xor_b64 s[16:17], exec, s[22:23]
; %bb.111:                              ;   in Loop: Header=BB595_3 Depth=1
	v_bfi_b32 v56, s20, 1.0, v55
                                        ; implicit-def: $vgpr55
; %bb.112:                              ;   in Loop: Header=BB595_3 Depth=1
	s_andn2_saveexec_b64 s[16:17], s[16:17]
	s_cbranch_execz .LBB595_114
; %bb.113:                              ;   in Loop: Header=BB595_3 Depth=1
	v_mul_f32_e32 v56, v55, v55
	v_fmaak_f32 v57, v55, v55, 0x43bd0000
	v_fmaak_f32 v57, v56, v57, 0x46875a00
	v_fmamk_f32 v58, v56, 0x41e00000, v38
	v_fmaak_f32 v57, v56, v57, 0x4803f7c0
	v_fmaak_f32 v58, v56, v58, 0x4773a200
	v_fmaak_f32 v56, v56, v58, 0x4803f7c0
	v_mul_f32_e32 v55, v55, v57
	v_div_scale_f32 v57, s[22:23], v56, v56, v55
	v_rcp_f32_e32 v58, v57
	s_nop 0
	v_fma_f32 v59, -v57, v58, 1.0
	v_fmac_f32_e32 v58, v59, v58
	v_div_scale_f32 v59, vcc, v55, v56, v55
	v_mul_f32_e32 v60, v59, v58
	v_fma_f32 v61, -v57, v60, v59
	v_fmac_f32_e32 v60, v61, v58
	v_fma_f32 v57, -v57, v60, v59
	v_div_fmas_f32 v57, v57, v58, v60
	v_div_fixup_f32 v55, v57, v56, v55
	v_med3_f32 v56, v55, -1.0, 1.0
.LBB595_114:                            ;   in Loop: Header=BB595_3 Depth=1
	s_or_b64 exec, exec, s[16:17]
	v_fmac_f32_e32 v54, v54, v56
	v_fma_mixlo_f16 v54, v54, s21, 0
	v_bfi_b32 v5, s18, v54, v5
.LBB595_115:                            ;   in Loop: Header=BB595_3 Depth=1
	s_or_b64 exec, exec, s[14:15]
	v_cvt_f32_f16_sdwa v25, v25 dst_sel:DWORD dst_unused:UNUSED_PAD src0_sel:WORD_1
	v_mul_f32_e32 v54, v25, v25
	v_mul_f32_e32 v54, v54, v25
	;; [unrolled: 1-line block ×3, first 2 shown]
	v_fmac_f32_e32 v55, 0x3d122279, v54
	v_cmp_ge_f32_e64 s[14:15], |v55|, s19
                                        ; implicit-def: $vgpr54
	s_and_saveexec_b64 s[16:17], s[14:15]
	s_xor_b64 s[14:15], exec, s[16:17]
	s_cbranch_execnz .LBB595_118
; %bb.116:                              ;   in Loop: Header=BB595_3 Depth=1
	s_andn2_saveexec_b64 s[14:15], s[14:15]
	s_cbranch_execnz .LBB595_119
.LBB595_117:                            ;   in Loop: Header=BB595_3 Depth=1
	s_or_b64 exec, exec, s[14:15]
	s_and_saveexec_b64 s[14:15], s[0:1]
	s_cbranch_execnz .LBB595_120
	s_branch .LBB595_125
.LBB595_118:                            ;   in Loop: Header=BB595_3 Depth=1
	v_bfi_b32 v54, s20, 1.0, v55
                                        ; implicit-def: $vgpr55
	s_andn2_saveexec_b64 s[14:15], s[14:15]
	s_cbranch_execz .LBB595_117
.LBB595_119:                            ;   in Loop: Header=BB595_3 Depth=1
	v_mul_f32_e32 v54, v55, v55
	v_fmaak_f32 v56, v55, v55, 0x43bd0000
	v_fmaak_f32 v56, v54, v56, 0x46875a00
	v_fmamk_f32 v57, v54, 0x41e00000, v38
	v_fmaak_f32 v56, v54, v56, 0x4803f7c0
	v_fmaak_f32 v57, v54, v57, 0x4773a200
	;; [unrolled: 1-line block ×3, first 2 shown]
	v_mul_f32_e32 v55, v55, v56
	v_div_scale_f32 v56, s[16:17], v54, v54, v55
	v_rcp_f32_e32 v57, v56
	s_nop 0
	v_fma_f32 v58, -v56, v57, 1.0
	v_fmac_f32_e32 v57, v58, v57
	v_div_scale_f32 v58, vcc, v55, v54, v55
	v_mul_f32_e32 v59, v58, v57
	v_fma_f32 v60, -v56, v59, v58
	v_fmac_f32_e32 v59, v60, v57
	v_fma_f32 v56, -v56, v59, v58
	v_div_fmas_f32 v56, v56, v57, v59
	v_div_fixup_f32 v54, v56, v54, v55
	v_med3_f32 v54, v54, -1.0, 1.0
	s_or_b64 exec, exec, s[14:15]
	s_and_saveexec_b64 s[14:15], s[0:1]
	s_cbranch_execz .LBB595_125
.LBB595_120:                            ;   in Loop: Header=BB595_3 Depth=1
	v_cvt_f32_f16_sdwa v55, v5 dst_sel:DWORD dst_unused:UNUSED_PAD src0_sel:WORD_1
	v_mul_f32_e32 v56, v55, v55
	v_mul_f32_e32 v57, v56, v55
	;; [unrolled: 1-line block ×3, first 2 shown]
	v_fmac_f32_e32 v56, 0x3d122279, v57
	v_cmp_ge_f32_e64 s[16:17], |v56|, s19
                                        ; implicit-def: $vgpr57
	s_and_saveexec_b64 s[22:23], s[16:17]
	s_xor_b64 s[16:17], exec, s[22:23]
; %bb.121:                              ;   in Loop: Header=BB595_3 Depth=1
	v_bfi_b32 v57, s20, 1.0, v56
                                        ; implicit-def: $vgpr56
; %bb.122:                              ;   in Loop: Header=BB595_3 Depth=1
	s_andn2_saveexec_b64 s[16:17], s[16:17]
	s_cbranch_execz .LBB595_124
; %bb.123:                              ;   in Loop: Header=BB595_3 Depth=1
	v_mul_f32_e32 v57, v56, v56
	v_fmaak_f32 v58, v56, v56, 0x43bd0000
	v_fmaak_f32 v58, v57, v58, 0x46875a00
	v_fmamk_f32 v59, v57, 0x41e00000, v38
	v_fmaak_f32 v58, v57, v58, 0x4803f7c0
	v_fmaak_f32 v59, v57, v59, 0x4773a200
	;; [unrolled: 1-line block ×3, first 2 shown]
	v_mul_f32_e32 v56, v56, v58
	v_div_scale_f32 v58, s[22:23], v57, v57, v56
	v_rcp_f32_e32 v59, v58
	s_nop 0
	v_fma_f32 v60, -v58, v59, 1.0
	v_fmac_f32_e32 v59, v60, v59
	v_div_scale_f32 v60, vcc, v56, v57, v56
	v_mul_f32_e32 v61, v60, v59
	v_fma_f32 v62, -v58, v61, v60
	v_fmac_f32_e32 v61, v62, v59
	v_fma_f32 v58, -v58, v61, v60
	v_div_fmas_f32 v58, v58, v59, v61
	v_div_fixup_f32 v56, v58, v57, v56
	v_med3_f32 v57, v56, -1.0, 1.0
.LBB595_124:                            ;   in Loop: Header=BB595_3 Depth=1
	s_or_b64 exec, exec, s[16:17]
	v_fmac_f32_e32 v55, v55, v57
	v_fma_mixhi_f16 v5, v55, s21, 0
.LBB595_125:                            ;   in Loop: Header=BB595_3 Depth=1
	s_or_b64 exec, exec, s[14:15]
	v_cvt_f32_f16_e32 v55, v26
	v_mul_f32_e32 v56, v55, v55
	v_mul_f32_e32 v56, v56, v55
	;; [unrolled: 1-line block ×3, first 2 shown]
	v_fmac_f32_e32 v57, 0x3d122279, v56
	v_cmp_ge_f32_e64 s[14:15], |v57|, s19
                                        ; implicit-def: $vgpr56
	s_and_saveexec_b64 s[16:17], s[14:15]
	s_xor_b64 s[14:15], exec, s[16:17]
	s_cbranch_execnz .LBB595_128
; %bb.126:                              ;   in Loop: Header=BB595_3 Depth=1
	s_andn2_saveexec_b64 s[14:15], s[14:15]
	s_cbranch_execnz .LBB595_129
.LBB595_127:                            ;   in Loop: Header=BB595_3 Depth=1
	s_or_b64 exec, exec, s[14:15]
	s_and_saveexec_b64 s[14:15], s[0:1]
	s_cbranch_execnz .LBB595_130
	s_branch .LBB595_135
.LBB595_128:                            ;   in Loop: Header=BB595_3 Depth=1
	v_bfi_b32 v56, s20, 1.0, v57
                                        ; implicit-def: $vgpr57
	s_andn2_saveexec_b64 s[14:15], s[14:15]
	s_cbranch_execz .LBB595_127
.LBB595_129:                            ;   in Loop: Header=BB595_3 Depth=1
	v_mul_f32_e32 v56, v57, v57
	v_fmaak_f32 v58, v57, v57, 0x43bd0000
	v_fmaak_f32 v58, v56, v58, 0x46875a00
	v_fmamk_f32 v59, v56, 0x41e00000, v38
	v_fmaak_f32 v58, v56, v58, 0x4803f7c0
	v_fmaak_f32 v59, v56, v59, 0x4773a200
	;; [unrolled: 1-line block ×3, first 2 shown]
	v_mul_f32_e32 v57, v57, v58
	v_div_scale_f32 v58, s[16:17], v56, v56, v57
	v_rcp_f32_e32 v59, v58
	s_nop 0
	v_fma_f32 v60, -v58, v59, 1.0
	v_fmac_f32_e32 v59, v60, v59
	v_div_scale_f32 v60, vcc, v57, v56, v57
	v_mul_f32_e32 v61, v60, v59
	v_fma_f32 v62, -v58, v61, v60
	v_fmac_f32_e32 v61, v62, v59
	v_fma_f32 v58, -v58, v61, v60
	v_div_fmas_f32 v58, v58, v59, v61
	v_div_fixup_f32 v56, v58, v56, v57
	v_med3_f32 v56, v56, -1.0, 1.0
	s_or_b64 exec, exec, s[14:15]
	s_and_saveexec_b64 s[14:15], s[0:1]
	s_cbranch_execz .LBB595_135
.LBB595_130:                            ;   in Loop: Header=BB595_3 Depth=1
	v_cvt_f32_f16_e32 v57, v6
	v_mul_f32_e32 v58, v57, v57
	v_mul_f32_e32 v59, v58, v57
	;; [unrolled: 1-line block ×3, first 2 shown]
	v_fmac_f32_e32 v58, 0x3d122279, v59
	v_cmp_ge_f32_e64 s[16:17], |v58|, s19
                                        ; implicit-def: $vgpr59
	s_and_saveexec_b64 s[22:23], s[16:17]
	s_xor_b64 s[16:17], exec, s[22:23]
; %bb.131:                              ;   in Loop: Header=BB595_3 Depth=1
	v_bfi_b32 v59, s20, 1.0, v58
                                        ; implicit-def: $vgpr58
; %bb.132:                              ;   in Loop: Header=BB595_3 Depth=1
	s_andn2_saveexec_b64 s[16:17], s[16:17]
	s_cbranch_execz .LBB595_134
; %bb.133:                              ;   in Loop: Header=BB595_3 Depth=1
	v_mul_f32_e32 v59, v58, v58
	v_fmaak_f32 v60, v58, v58, 0x43bd0000
	v_fmaak_f32 v60, v59, v60, 0x46875a00
	v_fmamk_f32 v61, v59, 0x41e00000, v38
	v_fmaak_f32 v60, v59, v60, 0x4803f7c0
	v_fmaak_f32 v61, v59, v61, 0x4773a200
	;; [unrolled: 1-line block ×3, first 2 shown]
	v_mul_f32_e32 v58, v58, v60
	v_div_scale_f32 v60, s[22:23], v59, v59, v58
	v_rcp_f32_e32 v61, v60
	s_nop 0
	v_fma_f32 v62, -v60, v61, 1.0
	v_fmac_f32_e32 v61, v62, v61
	v_div_scale_f32 v62, vcc, v58, v59, v58
	v_mul_f32_e32 v63, v62, v61
	v_fma_f32 v64, -v60, v63, v62
	v_fmac_f32_e32 v63, v64, v61
	v_fma_f32 v60, -v60, v63, v62
	v_div_fmas_f32 v60, v60, v61, v63
	v_div_fixup_f32 v58, v60, v59, v58
	v_med3_f32 v59, v58, -1.0, 1.0
.LBB595_134:                            ;   in Loop: Header=BB595_3 Depth=1
	s_or_b64 exec, exec, s[16:17]
	v_fmac_f32_e32 v57, v57, v59
	v_fma_mixlo_f16 v57, v57, s21, 0
	v_bfi_b32 v6, s18, v57, v6
.LBB595_135:                            ;   in Loop: Header=BB595_3 Depth=1
	s_or_b64 exec, exec, s[14:15]
	v_cvt_f32_f16_sdwa v26, v26 dst_sel:DWORD dst_unused:UNUSED_PAD src0_sel:WORD_1
	v_mul_f32_e32 v57, v26, v26
	v_mul_f32_e32 v57, v57, v26
	;; [unrolled: 1-line block ×3, first 2 shown]
	v_fmac_f32_e32 v58, 0x3d122279, v57
	v_cmp_ge_f32_e64 s[14:15], |v58|, s19
                                        ; implicit-def: $vgpr57
	s_and_saveexec_b64 s[16:17], s[14:15]
	s_xor_b64 s[14:15], exec, s[16:17]
	s_cbranch_execnz .LBB595_138
; %bb.136:                              ;   in Loop: Header=BB595_3 Depth=1
	s_andn2_saveexec_b64 s[14:15], s[14:15]
	s_cbranch_execnz .LBB595_139
.LBB595_137:                            ;   in Loop: Header=BB595_3 Depth=1
	s_or_b64 exec, exec, s[14:15]
	s_and_saveexec_b64 s[14:15], s[0:1]
	s_cbranch_execnz .LBB595_140
	s_branch .LBB595_145
.LBB595_138:                            ;   in Loop: Header=BB595_3 Depth=1
	v_bfi_b32 v57, s20, 1.0, v58
                                        ; implicit-def: $vgpr58
	s_andn2_saveexec_b64 s[14:15], s[14:15]
	s_cbranch_execz .LBB595_137
.LBB595_139:                            ;   in Loop: Header=BB595_3 Depth=1
	v_mul_f32_e32 v57, v58, v58
	v_fmaak_f32 v59, v58, v58, 0x43bd0000
	v_fmaak_f32 v59, v57, v59, 0x46875a00
	v_fmamk_f32 v60, v57, 0x41e00000, v38
	v_fmaak_f32 v59, v57, v59, 0x4803f7c0
	v_fmaak_f32 v60, v57, v60, 0x4773a200
	;; [unrolled: 1-line block ×3, first 2 shown]
	v_mul_f32_e32 v58, v58, v59
	v_div_scale_f32 v59, s[16:17], v57, v57, v58
	v_rcp_f32_e32 v60, v59
	s_nop 0
	v_fma_f32 v61, -v59, v60, 1.0
	v_fmac_f32_e32 v60, v61, v60
	v_div_scale_f32 v61, vcc, v58, v57, v58
	v_mul_f32_e32 v62, v61, v60
	v_fma_f32 v63, -v59, v62, v61
	v_fmac_f32_e32 v62, v63, v60
	v_fma_f32 v59, -v59, v62, v61
	v_div_fmas_f32 v59, v59, v60, v62
	v_div_fixup_f32 v57, v59, v57, v58
	v_med3_f32 v57, v57, -1.0, 1.0
	s_or_b64 exec, exec, s[14:15]
	s_and_saveexec_b64 s[14:15], s[0:1]
	s_cbranch_execz .LBB595_145
.LBB595_140:                            ;   in Loop: Header=BB595_3 Depth=1
	v_cvt_f32_f16_sdwa v58, v6 dst_sel:DWORD dst_unused:UNUSED_PAD src0_sel:WORD_1
	v_mul_f32_e32 v59, v58, v58
	v_mul_f32_e32 v60, v59, v58
	v_mul_f32_e32 v59, 0x3f4c422a, v58
	v_fmac_f32_e32 v59, 0x3d122279, v60
	v_cmp_ge_f32_e64 s[16:17], |v59|, s19
                                        ; implicit-def: $vgpr60
	s_and_saveexec_b64 s[22:23], s[16:17]
	s_xor_b64 s[16:17], exec, s[22:23]
; %bb.141:                              ;   in Loop: Header=BB595_3 Depth=1
	v_bfi_b32 v60, s20, 1.0, v59
                                        ; implicit-def: $vgpr59
; %bb.142:                              ;   in Loop: Header=BB595_3 Depth=1
	s_andn2_saveexec_b64 s[16:17], s[16:17]
	s_cbranch_execz .LBB595_144
; %bb.143:                              ;   in Loop: Header=BB595_3 Depth=1
	v_mul_f32_e32 v60, v59, v59
	v_fmaak_f32 v61, v59, v59, 0x43bd0000
	v_fmaak_f32 v61, v60, v61, 0x46875a00
	v_fmamk_f32 v62, v60, 0x41e00000, v38
	v_fmaak_f32 v61, v60, v61, 0x4803f7c0
	v_fmaak_f32 v62, v60, v62, 0x4773a200
	;; [unrolled: 1-line block ×3, first 2 shown]
	v_mul_f32_e32 v59, v59, v61
	v_div_scale_f32 v61, s[22:23], v60, v60, v59
	v_rcp_f32_e32 v62, v61
	s_nop 0
	v_fma_f32 v63, -v61, v62, 1.0
	v_fmac_f32_e32 v62, v63, v62
	v_div_scale_f32 v63, vcc, v59, v60, v59
	v_mul_f32_e32 v64, v63, v62
	v_fma_f32 v65, -v61, v64, v63
	v_fmac_f32_e32 v64, v65, v62
	v_fma_f32 v61, -v61, v64, v63
	v_div_fmas_f32 v61, v61, v62, v64
	v_div_fixup_f32 v59, v61, v60, v59
	v_med3_f32 v60, v59, -1.0, 1.0
.LBB595_144:                            ;   in Loop: Header=BB595_3 Depth=1
	s_or_b64 exec, exec, s[16:17]
	v_fmac_f32_e32 v58, v58, v60
	v_fma_mixhi_f16 v6, v58, s21, 0
.LBB595_145:                            ;   in Loop: Header=BB595_3 Depth=1
	s_or_b64 exec, exec, s[14:15]
	v_cvt_f32_f16_e32 v58, v27
	v_mul_f32_e32 v59, v58, v58
	v_mul_f32_e32 v59, v59, v58
	;; [unrolled: 1-line block ×3, first 2 shown]
	v_fmac_f32_e32 v60, 0x3d122279, v59
	v_cmp_ge_f32_e64 s[14:15], |v60|, s19
                                        ; implicit-def: $vgpr59
	s_and_saveexec_b64 s[16:17], s[14:15]
	s_xor_b64 s[14:15], exec, s[16:17]
	s_cbranch_execnz .LBB595_148
; %bb.146:                              ;   in Loop: Header=BB595_3 Depth=1
	s_andn2_saveexec_b64 s[14:15], s[14:15]
	s_cbranch_execnz .LBB595_149
.LBB595_147:                            ;   in Loop: Header=BB595_3 Depth=1
	s_or_b64 exec, exec, s[14:15]
	s_and_saveexec_b64 s[14:15], s[0:1]
	s_cbranch_execnz .LBB595_150
	s_branch .LBB595_155
.LBB595_148:                            ;   in Loop: Header=BB595_3 Depth=1
	v_bfi_b32 v59, s20, 1.0, v60
                                        ; implicit-def: $vgpr60
	s_andn2_saveexec_b64 s[14:15], s[14:15]
	s_cbranch_execz .LBB595_147
.LBB595_149:                            ;   in Loop: Header=BB595_3 Depth=1
	v_mul_f32_e32 v59, v60, v60
	v_fmaak_f32 v61, v60, v60, 0x43bd0000
	v_fmaak_f32 v61, v59, v61, 0x46875a00
	v_fmamk_f32 v62, v59, 0x41e00000, v38
	v_fmaak_f32 v61, v59, v61, 0x4803f7c0
	v_fmaak_f32 v62, v59, v62, 0x4773a200
	;; [unrolled: 1-line block ×3, first 2 shown]
	v_mul_f32_e32 v60, v60, v61
	v_div_scale_f32 v61, s[16:17], v59, v59, v60
	v_rcp_f32_e32 v62, v61
	s_nop 0
	v_fma_f32 v63, -v61, v62, 1.0
	v_fmac_f32_e32 v62, v63, v62
	v_div_scale_f32 v63, vcc, v60, v59, v60
	v_mul_f32_e32 v64, v63, v62
	v_fma_f32 v65, -v61, v64, v63
	v_fmac_f32_e32 v64, v65, v62
	v_fma_f32 v61, -v61, v64, v63
	v_div_fmas_f32 v61, v61, v62, v64
	v_div_fixup_f32 v59, v61, v59, v60
	v_med3_f32 v59, v59, -1.0, 1.0
	s_or_b64 exec, exec, s[14:15]
	s_and_saveexec_b64 s[14:15], s[0:1]
	s_cbranch_execz .LBB595_155
.LBB595_150:                            ;   in Loop: Header=BB595_3 Depth=1
	v_cvt_f32_f16_e32 v60, v7
	v_mul_f32_e32 v61, v60, v60
	v_mul_f32_e32 v62, v61, v60
	;; [unrolled: 1-line block ×3, first 2 shown]
	v_fmac_f32_e32 v61, 0x3d122279, v62
	v_cmp_ge_f32_e64 s[16:17], |v61|, s19
                                        ; implicit-def: $vgpr62
	s_and_saveexec_b64 s[22:23], s[16:17]
	s_xor_b64 s[16:17], exec, s[22:23]
; %bb.151:                              ;   in Loop: Header=BB595_3 Depth=1
	v_bfi_b32 v62, s20, 1.0, v61
                                        ; implicit-def: $vgpr61
; %bb.152:                              ;   in Loop: Header=BB595_3 Depth=1
	s_andn2_saveexec_b64 s[16:17], s[16:17]
	s_cbranch_execz .LBB595_154
; %bb.153:                              ;   in Loop: Header=BB595_3 Depth=1
	v_mul_f32_e32 v62, v61, v61
	v_fmaak_f32 v63, v61, v61, 0x43bd0000
	v_fmaak_f32 v63, v62, v63, 0x46875a00
	v_fmamk_f32 v64, v62, 0x41e00000, v38
	v_fmaak_f32 v63, v62, v63, 0x4803f7c0
	v_fmaak_f32 v64, v62, v64, 0x4773a200
	v_fmaak_f32 v62, v62, v64, 0x4803f7c0
	v_mul_f32_e32 v61, v61, v63
	v_div_scale_f32 v63, s[22:23], v62, v62, v61
	v_rcp_f32_e32 v64, v63
	s_nop 0
	v_fma_f32 v65, -v63, v64, 1.0
	v_fmac_f32_e32 v64, v65, v64
	v_div_scale_f32 v65, vcc, v61, v62, v61
	v_mul_f32_e32 v66, v65, v64
	v_fma_f32 v67, -v63, v66, v65
	v_fmac_f32_e32 v66, v67, v64
	v_fma_f32 v63, -v63, v66, v65
	v_div_fmas_f32 v63, v63, v64, v66
	v_div_fixup_f32 v61, v63, v62, v61
	v_med3_f32 v62, v61, -1.0, 1.0
.LBB595_154:                            ;   in Loop: Header=BB595_3 Depth=1
	s_or_b64 exec, exec, s[16:17]
	v_fmac_f32_e32 v60, v60, v62
	v_fma_mixlo_f16 v60, v60, s21, 0
	v_bfi_b32 v7, s18, v60, v7
.LBB595_155:                            ;   in Loop: Header=BB595_3 Depth=1
	s_or_b64 exec, exec, s[14:15]
	v_cvt_f32_f16_sdwa v27, v27 dst_sel:DWORD dst_unused:UNUSED_PAD src0_sel:WORD_1
	v_mul_f32_e32 v60, v27, v27
	v_mul_f32_e32 v60, v60, v27
	;; [unrolled: 1-line block ×3, first 2 shown]
	v_fmac_f32_e32 v61, 0x3d122279, v60
	v_cmp_ge_f32_e64 s[14:15], |v61|, s19
                                        ; implicit-def: $vgpr60
	s_and_saveexec_b64 s[16:17], s[14:15]
	s_xor_b64 s[14:15], exec, s[16:17]
	s_cbranch_execnz .LBB595_158
; %bb.156:                              ;   in Loop: Header=BB595_3 Depth=1
	s_andn2_saveexec_b64 s[14:15], s[14:15]
	s_cbranch_execnz .LBB595_159
.LBB595_157:                            ;   in Loop: Header=BB595_3 Depth=1
	s_or_b64 exec, exec, s[14:15]
	s_and_saveexec_b64 s[14:15], s[0:1]
	s_cbranch_execnz .LBB595_160
	s_branch .LBB595_165
.LBB595_158:                            ;   in Loop: Header=BB595_3 Depth=1
	v_bfi_b32 v60, s20, 1.0, v61
                                        ; implicit-def: $vgpr61
	s_andn2_saveexec_b64 s[14:15], s[14:15]
	s_cbranch_execz .LBB595_157
.LBB595_159:                            ;   in Loop: Header=BB595_3 Depth=1
	v_mul_f32_e32 v60, v61, v61
	v_fmaak_f32 v62, v61, v61, 0x43bd0000
	v_fmaak_f32 v62, v60, v62, 0x46875a00
	v_fmamk_f32 v63, v60, 0x41e00000, v38
	v_fmaak_f32 v62, v60, v62, 0x4803f7c0
	v_fmaak_f32 v63, v60, v63, 0x4773a200
	;; [unrolled: 1-line block ×3, first 2 shown]
	v_mul_f32_e32 v61, v61, v62
	v_div_scale_f32 v62, s[16:17], v60, v60, v61
	v_rcp_f32_e32 v63, v62
	s_nop 0
	v_fma_f32 v64, -v62, v63, 1.0
	v_fmac_f32_e32 v63, v64, v63
	v_div_scale_f32 v64, vcc, v61, v60, v61
	v_mul_f32_e32 v65, v64, v63
	v_fma_f32 v66, -v62, v65, v64
	v_fmac_f32_e32 v65, v66, v63
	v_fma_f32 v62, -v62, v65, v64
	v_div_fmas_f32 v62, v62, v63, v65
	v_div_fixup_f32 v60, v62, v60, v61
	v_med3_f32 v60, v60, -1.0, 1.0
	s_or_b64 exec, exec, s[14:15]
	s_and_saveexec_b64 s[14:15], s[0:1]
	s_cbranch_execz .LBB595_165
.LBB595_160:                            ;   in Loop: Header=BB595_3 Depth=1
	v_cvt_f32_f16_sdwa v61, v7 dst_sel:DWORD dst_unused:UNUSED_PAD src0_sel:WORD_1
	v_mul_f32_e32 v62, v61, v61
	v_mul_f32_e32 v63, v62, v61
	;; [unrolled: 1-line block ×3, first 2 shown]
	v_fmac_f32_e32 v62, 0x3d122279, v63
	v_cmp_ge_f32_e64 s[16:17], |v62|, s19
                                        ; implicit-def: $vgpr63
	s_and_saveexec_b64 s[22:23], s[16:17]
	s_xor_b64 s[16:17], exec, s[22:23]
; %bb.161:                              ;   in Loop: Header=BB595_3 Depth=1
	v_bfi_b32 v63, s20, 1.0, v62
                                        ; implicit-def: $vgpr62
; %bb.162:                              ;   in Loop: Header=BB595_3 Depth=1
	s_andn2_saveexec_b64 s[16:17], s[16:17]
	s_cbranch_execz .LBB595_164
; %bb.163:                              ;   in Loop: Header=BB595_3 Depth=1
	v_mul_f32_e32 v63, v62, v62
	v_fmaak_f32 v64, v62, v62, 0x43bd0000
	v_fmaak_f32 v64, v63, v64, 0x46875a00
	v_fmamk_f32 v65, v63, 0x41e00000, v38
	v_fmaak_f32 v64, v63, v64, 0x4803f7c0
	v_fmaak_f32 v65, v63, v65, 0x4773a200
	v_fmaak_f32 v63, v63, v65, 0x4803f7c0
	v_mul_f32_e32 v62, v62, v64
	v_div_scale_f32 v64, s[22:23], v63, v63, v62
	v_rcp_f32_e32 v65, v64
	s_nop 0
	v_fma_f32 v66, -v64, v65, 1.0
	v_fmac_f32_e32 v65, v66, v65
	v_div_scale_f32 v66, vcc, v62, v63, v62
	v_mul_f32_e32 v67, v66, v65
	v_fma_f32 v68, -v64, v67, v66
	v_fmac_f32_e32 v67, v68, v65
	v_fma_f32 v64, -v64, v67, v66
	v_div_fmas_f32 v64, v64, v65, v67
	v_div_fixup_f32 v62, v64, v63, v62
	v_med3_f32 v63, v62, -1.0, 1.0
.LBB595_164:                            ;   in Loop: Header=BB595_3 Depth=1
	s_or_b64 exec, exec, s[16:17]
	v_fmac_f32_e32 v61, v61, v63
	v_fma_mixhi_f16 v7, v61, s21, 0
.LBB595_165:                            ;   in Loop: Header=BB595_3 Depth=1
	s_or_b64 exec, exec, s[14:15]
	v_cvt_f32_f16_e32 v61, v20
	v_mul_f32_e32 v62, v61, v61
	v_mul_f32_e32 v62, v62, v61
	;; [unrolled: 1-line block ×3, first 2 shown]
	v_fmac_f32_e32 v63, 0x3d122279, v62
	v_cmp_ge_f32_e64 s[14:15], |v63|, s19
                                        ; implicit-def: $vgpr62
	s_and_saveexec_b64 s[16:17], s[14:15]
	s_xor_b64 s[14:15], exec, s[16:17]
	s_cbranch_execnz .LBB595_168
; %bb.166:                              ;   in Loop: Header=BB595_3 Depth=1
	s_andn2_saveexec_b64 s[14:15], s[14:15]
	s_cbranch_execnz .LBB595_169
.LBB595_167:                            ;   in Loop: Header=BB595_3 Depth=1
	s_or_b64 exec, exec, s[14:15]
	s_and_saveexec_b64 s[14:15], s[0:1]
	s_cbranch_execnz .LBB595_170
	s_branch .LBB595_175
.LBB595_168:                            ;   in Loop: Header=BB595_3 Depth=1
	v_bfi_b32 v62, s20, 1.0, v63
                                        ; implicit-def: $vgpr63
	s_andn2_saveexec_b64 s[14:15], s[14:15]
	s_cbranch_execz .LBB595_167
.LBB595_169:                            ;   in Loop: Header=BB595_3 Depth=1
	v_mul_f32_e32 v62, v63, v63
	v_fmaak_f32 v64, v63, v63, 0x43bd0000
	v_fmaak_f32 v64, v62, v64, 0x46875a00
	v_fmamk_f32 v65, v62, 0x41e00000, v38
	v_fmaak_f32 v64, v62, v64, 0x4803f7c0
	v_fmaak_f32 v65, v62, v65, 0x4773a200
	;; [unrolled: 1-line block ×3, first 2 shown]
	v_mul_f32_e32 v63, v63, v64
	v_div_scale_f32 v64, s[16:17], v62, v62, v63
	v_rcp_f32_e32 v65, v64
	s_nop 0
	v_fma_f32 v66, -v64, v65, 1.0
	v_fmac_f32_e32 v65, v66, v65
	v_div_scale_f32 v66, vcc, v63, v62, v63
	v_mul_f32_e32 v67, v66, v65
	v_fma_f32 v68, -v64, v67, v66
	v_fmac_f32_e32 v67, v68, v65
	v_fma_f32 v64, -v64, v67, v66
	v_div_fmas_f32 v64, v64, v65, v67
	v_div_fixup_f32 v62, v64, v62, v63
	v_med3_f32 v62, v62, -1.0, 1.0
	s_or_b64 exec, exec, s[14:15]
	s_and_saveexec_b64 s[14:15], s[0:1]
	s_cbranch_execz .LBB595_175
.LBB595_170:                            ;   in Loop: Header=BB595_3 Depth=1
	v_cvt_f32_f16_e32 v63, v8
	v_mul_f32_e32 v64, v63, v63
	v_mul_f32_e32 v65, v64, v63
	;; [unrolled: 1-line block ×3, first 2 shown]
	v_fmac_f32_e32 v64, 0x3d122279, v65
	v_cmp_ge_f32_e64 s[16:17], |v64|, s19
                                        ; implicit-def: $vgpr65
	s_and_saveexec_b64 s[22:23], s[16:17]
	s_xor_b64 s[16:17], exec, s[22:23]
; %bb.171:                              ;   in Loop: Header=BB595_3 Depth=1
	v_bfi_b32 v65, s20, 1.0, v64
                                        ; implicit-def: $vgpr64
; %bb.172:                              ;   in Loop: Header=BB595_3 Depth=1
	s_andn2_saveexec_b64 s[16:17], s[16:17]
	s_cbranch_execz .LBB595_174
; %bb.173:                              ;   in Loop: Header=BB595_3 Depth=1
	v_mul_f32_e32 v65, v64, v64
	v_fmaak_f32 v66, v64, v64, 0x43bd0000
	v_fmaak_f32 v66, v65, v66, 0x46875a00
	v_fmamk_f32 v67, v65, 0x41e00000, v38
	v_fmaak_f32 v66, v65, v66, 0x4803f7c0
	v_fmaak_f32 v67, v65, v67, 0x4773a200
	v_fmaak_f32 v65, v65, v67, 0x4803f7c0
	v_mul_f32_e32 v64, v64, v66
	v_div_scale_f32 v66, s[22:23], v65, v65, v64
	v_rcp_f32_e32 v67, v66
	s_nop 0
	v_fma_f32 v68, -v66, v67, 1.0
	v_fmac_f32_e32 v67, v68, v67
	v_div_scale_f32 v68, vcc, v64, v65, v64
	v_mul_f32_e32 v69, v68, v67
	v_fma_f32 v70, -v66, v69, v68
	v_fmac_f32_e32 v69, v70, v67
	v_fma_f32 v66, -v66, v69, v68
	v_div_fmas_f32 v66, v66, v67, v69
	v_div_fixup_f32 v64, v66, v65, v64
	v_med3_f32 v65, v64, -1.0, 1.0
.LBB595_174:                            ;   in Loop: Header=BB595_3 Depth=1
	s_or_b64 exec, exec, s[16:17]
	v_fmac_f32_e32 v63, v63, v65
	v_fma_mixlo_f16 v63, v63, s21, 0
	v_bfi_b32 v8, s18, v63, v8
.LBB595_175:                            ;   in Loop: Header=BB595_3 Depth=1
	s_or_b64 exec, exec, s[14:15]
	v_cvt_f32_f16_sdwa v20, v20 dst_sel:DWORD dst_unused:UNUSED_PAD src0_sel:WORD_1
	v_mul_f32_e32 v63, v20, v20
	v_mul_f32_e32 v63, v63, v20
	;; [unrolled: 1-line block ×3, first 2 shown]
	v_fmac_f32_e32 v64, 0x3d122279, v63
	v_cmp_ge_f32_e64 s[14:15], |v64|, s19
                                        ; implicit-def: $vgpr63
	s_and_saveexec_b64 s[16:17], s[14:15]
	s_xor_b64 s[14:15], exec, s[16:17]
	s_cbranch_execnz .LBB595_178
; %bb.176:                              ;   in Loop: Header=BB595_3 Depth=1
	s_andn2_saveexec_b64 s[14:15], s[14:15]
	s_cbranch_execnz .LBB595_179
.LBB595_177:                            ;   in Loop: Header=BB595_3 Depth=1
	s_or_b64 exec, exec, s[14:15]
	s_and_saveexec_b64 s[14:15], s[0:1]
	s_cbranch_execnz .LBB595_180
	s_branch .LBB595_185
.LBB595_178:                            ;   in Loop: Header=BB595_3 Depth=1
	v_bfi_b32 v63, s20, 1.0, v64
                                        ; implicit-def: $vgpr64
	s_andn2_saveexec_b64 s[14:15], s[14:15]
	s_cbranch_execz .LBB595_177
.LBB595_179:                            ;   in Loop: Header=BB595_3 Depth=1
	v_mul_f32_e32 v63, v64, v64
	v_fmaak_f32 v65, v64, v64, 0x43bd0000
	v_fmaak_f32 v65, v63, v65, 0x46875a00
	v_fmamk_f32 v66, v63, 0x41e00000, v38
	v_fmaak_f32 v65, v63, v65, 0x4803f7c0
	v_fmaak_f32 v66, v63, v66, 0x4773a200
	v_fmaak_f32 v63, v63, v66, 0x4803f7c0
	v_mul_f32_e32 v64, v64, v65
	v_div_scale_f32 v65, s[16:17], v63, v63, v64
	v_rcp_f32_e32 v66, v65
	s_nop 0
	v_fma_f32 v67, -v65, v66, 1.0
	v_fmac_f32_e32 v66, v67, v66
	v_div_scale_f32 v67, vcc, v64, v63, v64
	v_mul_f32_e32 v68, v67, v66
	v_fma_f32 v69, -v65, v68, v67
	v_fmac_f32_e32 v68, v69, v66
	v_fma_f32 v65, -v65, v68, v67
	v_div_fmas_f32 v65, v65, v66, v68
	v_div_fixup_f32 v63, v65, v63, v64
	v_med3_f32 v63, v63, -1.0, 1.0
	s_or_b64 exec, exec, s[14:15]
	s_and_saveexec_b64 s[14:15], s[0:1]
	s_cbranch_execz .LBB595_185
.LBB595_180:                            ;   in Loop: Header=BB595_3 Depth=1
	v_cvt_f32_f16_sdwa v64, v8 dst_sel:DWORD dst_unused:UNUSED_PAD src0_sel:WORD_1
	v_mul_f32_e32 v65, v64, v64
	v_mul_f32_e32 v66, v65, v64
	;; [unrolled: 1-line block ×3, first 2 shown]
	v_fmac_f32_e32 v65, 0x3d122279, v66
	v_cmp_ge_f32_e64 s[16:17], |v65|, s19
                                        ; implicit-def: $vgpr66
	s_and_saveexec_b64 s[22:23], s[16:17]
	s_xor_b64 s[16:17], exec, s[22:23]
; %bb.181:                              ;   in Loop: Header=BB595_3 Depth=1
	v_bfi_b32 v66, s20, 1.0, v65
                                        ; implicit-def: $vgpr65
; %bb.182:                              ;   in Loop: Header=BB595_3 Depth=1
	s_andn2_saveexec_b64 s[16:17], s[16:17]
	s_cbranch_execz .LBB595_184
; %bb.183:                              ;   in Loop: Header=BB595_3 Depth=1
	v_mul_f32_e32 v66, v65, v65
	v_fmaak_f32 v67, v65, v65, 0x43bd0000
	v_fmaak_f32 v67, v66, v67, 0x46875a00
	v_fmamk_f32 v68, v66, 0x41e00000, v38
	v_fmaak_f32 v67, v66, v67, 0x4803f7c0
	v_fmaak_f32 v68, v66, v68, 0x4773a200
	;; [unrolled: 1-line block ×3, first 2 shown]
	v_mul_f32_e32 v65, v65, v67
	v_div_scale_f32 v67, s[22:23], v66, v66, v65
	v_rcp_f32_e32 v68, v67
	s_nop 0
	v_fma_f32 v69, -v67, v68, 1.0
	v_fmac_f32_e32 v68, v69, v68
	v_div_scale_f32 v69, vcc, v65, v66, v65
	v_mul_f32_e32 v70, v69, v68
	v_fma_f32 v71, -v67, v70, v69
	v_fmac_f32_e32 v70, v71, v68
	v_fma_f32 v67, -v67, v70, v69
	v_div_fmas_f32 v67, v67, v68, v70
	v_div_fixup_f32 v65, v67, v66, v65
	v_med3_f32 v66, v65, -1.0, 1.0
.LBB595_184:                            ;   in Loop: Header=BB595_3 Depth=1
	s_or_b64 exec, exec, s[16:17]
	v_fmac_f32_e32 v64, v64, v66
	v_fma_mixhi_f16 v8, v64, s21, 0
.LBB595_185:                            ;   in Loop: Header=BB595_3 Depth=1
	s_or_b64 exec, exec, s[14:15]
	v_cvt_f32_f16_e32 v64, v21
	v_mul_f32_e32 v65, v64, v64
	v_mul_f32_e32 v65, v65, v64
	;; [unrolled: 1-line block ×3, first 2 shown]
	v_fmac_f32_e32 v66, 0x3d122279, v65
	v_cmp_ge_f32_e64 s[14:15], |v66|, s19
                                        ; implicit-def: $vgpr65
	s_and_saveexec_b64 s[16:17], s[14:15]
	s_xor_b64 s[14:15], exec, s[16:17]
	s_cbranch_execnz .LBB595_188
; %bb.186:                              ;   in Loop: Header=BB595_3 Depth=1
	s_andn2_saveexec_b64 s[14:15], s[14:15]
	s_cbranch_execnz .LBB595_189
.LBB595_187:                            ;   in Loop: Header=BB595_3 Depth=1
	s_or_b64 exec, exec, s[14:15]
	s_and_saveexec_b64 s[14:15], s[0:1]
	s_cbranch_execnz .LBB595_190
	s_branch .LBB595_195
.LBB595_188:                            ;   in Loop: Header=BB595_3 Depth=1
	v_bfi_b32 v65, s20, 1.0, v66
                                        ; implicit-def: $vgpr66
	s_andn2_saveexec_b64 s[14:15], s[14:15]
	s_cbranch_execz .LBB595_187
.LBB595_189:                            ;   in Loop: Header=BB595_3 Depth=1
	v_mul_f32_e32 v65, v66, v66
	v_fmaak_f32 v67, v66, v66, 0x43bd0000
	v_fmaak_f32 v67, v65, v67, 0x46875a00
	v_fmamk_f32 v68, v65, 0x41e00000, v38
	v_fmaak_f32 v67, v65, v67, 0x4803f7c0
	v_fmaak_f32 v68, v65, v68, 0x4773a200
	v_fmaak_f32 v65, v65, v68, 0x4803f7c0
	v_mul_f32_e32 v66, v66, v67
	v_div_scale_f32 v67, s[16:17], v65, v65, v66
	v_rcp_f32_e32 v68, v67
	s_nop 0
	v_fma_f32 v69, -v67, v68, 1.0
	v_fmac_f32_e32 v68, v69, v68
	v_div_scale_f32 v69, vcc, v66, v65, v66
	v_mul_f32_e32 v70, v69, v68
	v_fma_f32 v71, -v67, v70, v69
	v_fmac_f32_e32 v70, v71, v68
	v_fma_f32 v67, -v67, v70, v69
	v_div_fmas_f32 v67, v67, v68, v70
	v_div_fixup_f32 v65, v67, v65, v66
	v_med3_f32 v65, v65, -1.0, 1.0
	s_or_b64 exec, exec, s[14:15]
	s_and_saveexec_b64 s[14:15], s[0:1]
	s_cbranch_execz .LBB595_195
.LBB595_190:                            ;   in Loop: Header=BB595_3 Depth=1
	v_cvt_f32_f16_e32 v66, v9
	v_mul_f32_e32 v67, v66, v66
	v_mul_f32_e32 v68, v67, v66
	;; [unrolled: 1-line block ×3, first 2 shown]
	v_fmac_f32_e32 v67, 0x3d122279, v68
	v_cmp_ge_f32_e64 s[16:17], |v67|, s19
                                        ; implicit-def: $vgpr68
	s_and_saveexec_b64 s[22:23], s[16:17]
	s_xor_b64 s[16:17], exec, s[22:23]
; %bb.191:                              ;   in Loop: Header=BB595_3 Depth=1
	v_bfi_b32 v68, s20, 1.0, v67
                                        ; implicit-def: $vgpr67
; %bb.192:                              ;   in Loop: Header=BB595_3 Depth=1
	s_andn2_saveexec_b64 s[16:17], s[16:17]
	s_cbranch_execz .LBB595_194
; %bb.193:                              ;   in Loop: Header=BB595_3 Depth=1
	v_mul_f32_e32 v68, v67, v67
	v_fmaak_f32 v69, v67, v67, 0x43bd0000
	v_fmaak_f32 v69, v68, v69, 0x46875a00
	v_fmamk_f32 v70, v68, 0x41e00000, v38
	v_fmaak_f32 v69, v68, v69, 0x4803f7c0
	v_fmaak_f32 v70, v68, v70, 0x4773a200
	;; [unrolled: 1-line block ×3, first 2 shown]
	v_mul_f32_e32 v67, v67, v69
	v_div_scale_f32 v69, s[22:23], v68, v68, v67
	v_rcp_f32_e32 v70, v69
	s_nop 0
	v_fma_f32 v71, -v69, v70, 1.0
	v_fmac_f32_e32 v70, v71, v70
	v_div_scale_f32 v71, vcc, v67, v68, v67
	v_mul_f32_e32 v72, v71, v70
	v_fma_f32 v73, -v69, v72, v71
	v_fmac_f32_e32 v72, v73, v70
	v_fma_f32 v69, -v69, v72, v71
	v_div_fmas_f32 v69, v69, v70, v72
	v_div_fixup_f32 v67, v69, v68, v67
	v_med3_f32 v68, v67, -1.0, 1.0
.LBB595_194:                            ;   in Loop: Header=BB595_3 Depth=1
	s_or_b64 exec, exec, s[16:17]
	v_fmac_f32_e32 v66, v66, v68
	v_fma_mixlo_f16 v66, v66, s21, 0
	v_bfi_b32 v9, s18, v66, v9
.LBB595_195:                            ;   in Loop: Header=BB595_3 Depth=1
	s_or_b64 exec, exec, s[14:15]
	v_cvt_f32_f16_sdwa v21, v21 dst_sel:DWORD dst_unused:UNUSED_PAD src0_sel:WORD_1
	v_mul_f32_e32 v66, v21, v21
	v_mul_f32_e32 v66, v66, v21
	;; [unrolled: 1-line block ×3, first 2 shown]
	v_fmac_f32_e32 v67, 0x3d122279, v66
	v_cmp_ge_f32_e64 s[14:15], |v67|, s19
                                        ; implicit-def: $vgpr66
	s_and_saveexec_b64 s[16:17], s[14:15]
	s_xor_b64 s[14:15], exec, s[16:17]
	s_cbranch_execnz .LBB595_198
; %bb.196:                              ;   in Loop: Header=BB595_3 Depth=1
	s_andn2_saveexec_b64 s[14:15], s[14:15]
	s_cbranch_execnz .LBB595_199
.LBB595_197:                            ;   in Loop: Header=BB595_3 Depth=1
	s_or_b64 exec, exec, s[14:15]
	s_and_saveexec_b64 s[14:15], s[0:1]
	s_cbranch_execnz .LBB595_200
	s_branch .LBB595_205
.LBB595_198:                            ;   in Loop: Header=BB595_3 Depth=1
	v_bfi_b32 v66, s20, 1.0, v67
                                        ; implicit-def: $vgpr67
	s_andn2_saveexec_b64 s[14:15], s[14:15]
	s_cbranch_execz .LBB595_197
.LBB595_199:                            ;   in Loop: Header=BB595_3 Depth=1
	v_mul_f32_e32 v66, v67, v67
	v_fmaak_f32 v68, v67, v67, 0x43bd0000
	v_fmaak_f32 v68, v66, v68, 0x46875a00
	v_fmamk_f32 v69, v66, 0x41e00000, v38
	v_fmaak_f32 v68, v66, v68, 0x4803f7c0
	v_fmaak_f32 v69, v66, v69, 0x4773a200
	;; [unrolled: 1-line block ×3, first 2 shown]
	v_mul_f32_e32 v67, v67, v68
	v_div_scale_f32 v68, s[16:17], v66, v66, v67
	v_rcp_f32_e32 v69, v68
	s_nop 0
	v_fma_f32 v70, -v68, v69, 1.0
	v_fmac_f32_e32 v69, v70, v69
	v_div_scale_f32 v70, vcc, v67, v66, v67
	v_mul_f32_e32 v71, v70, v69
	v_fma_f32 v72, -v68, v71, v70
	v_fmac_f32_e32 v71, v72, v69
	v_fma_f32 v68, -v68, v71, v70
	v_div_fmas_f32 v68, v68, v69, v71
	v_div_fixup_f32 v66, v68, v66, v67
	v_med3_f32 v66, v66, -1.0, 1.0
	s_or_b64 exec, exec, s[14:15]
	s_and_saveexec_b64 s[14:15], s[0:1]
	s_cbranch_execz .LBB595_205
.LBB595_200:                            ;   in Loop: Header=BB595_3 Depth=1
	v_cvt_f32_f16_sdwa v67, v9 dst_sel:DWORD dst_unused:UNUSED_PAD src0_sel:WORD_1
	v_mul_f32_e32 v68, v67, v67
	v_mul_f32_e32 v69, v68, v67
	;; [unrolled: 1-line block ×3, first 2 shown]
	v_fmac_f32_e32 v68, 0x3d122279, v69
	v_cmp_ge_f32_e64 s[16:17], |v68|, s19
                                        ; implicit-def: $vgpr69
	s_and_saveexec_b64 s[22:23], s[16:17]
	s_xor_b64 s[16:17], exec, s[22:23]
; %bb.201:                              ;   in Loop: Header=BB595_3 Depth=1
	v_bfi_b32 v69, s20, 1.0, v68
                                        ; implicit-def: $vgpr68
; %bb.202:                              ;   in Loop: Header=BB595_3 Depth=1
	s_andn2_saveexec_b64 s[16:17], s[16:17]
	s_cbranch_execz .LBB595_204
; %bb.203:                              ;   in Loop: Header=BB595_3 Depth=1
	v_mul_f32_e32 v69, v68, v68
	v_fmaak_f32 v70, v68, v68, 0x43bd0000
	v_fmaak_f32 v70, v69, v70, 0x46875a00
	v_fmamk_f32 v71, v69, 0x41e00000, v38
	v_fmaak_f32 v70, v69, v70, 0x4803f7c0
	v_fmaak_f32 v71, v69, v71, 0x4773a200
	;; [unrolled: 1-line block ×3, first 2 shown]
	v_mul_f32_e32 v68, v68, v70
	v_div_scale_f32 v70, s[22:23], v69, v69, v68
	v_rcp_f32_e32 v71, v70
	s_nop 0
	v_fma_f32 v72, -v70, v71, 1.0
	v_fmac_f32_e32 v71, v72, v71
	v_div_scale_f32 v72, vcc, v68, v69, v68
	v_mul_f32_e32 v73, v72, v71
	v_fma_f32 v74, -v70, v73, v72
	v_fmac_f32_e32 v73, v74, v71
	v_fma_f32 v70, -v70, v73, v72
	v_div_fmas_f32 v70, v70, v71, v73
	v_div_fixup_f32 v68, v70, v69, v68
	v_med3_f32 v69, v68, -1.0, 1.0
.LBB595_204:                            ;   in Loop: Header=BB595_3 Depth=1
	s_or_b64 exec, exec, s[16:17]
	v_fmac_f32_e32 v67, v67, v69
	v_fma_mixhi_f16 v9, v67, s21, 0
.LBB595_205:                            ;   in Loop: Header=BB595_3 Depth=1
	s_or_b64 exec, exec, s[14:15]
	v_cvt_f32_f16_e32 v67, v22
	v_mul_f32_e32 v68, v67, v67
	v_mul_f32_e32 v68, v68, v67
	;; [unrolled: 1-line block ×3, first 2 shown]
	v_fmac_f32_e32 v69, 0x3d122279, v68
	v_cmp_ge_f32_e64 s[14:15], |v69|, s19
                                        ; implicit-def: $vgpr68
	s_and_saveexec_b64 s[16:17], s[14:15]
	s_xor_b64 s[14:15], exec, s[16:17]
	s_cbranch_execnz .LBB595_208
; %bb.206:                              ;   in Loop: Header=BB595_3 Depth=1
	s_andn2_saveexec_b64 s[14:15], s[14:15]
	s_cbranch_execnz .LBB595_209
.LBB595_207:                            ;   in Loop: Header=BB595_3 Depth=1
	s_or_b64 exec, exec, s[14:15]
	s_and_saveexec_b64 s[14:15], s[0:1]
	s_cbranch_execnz .LBB595_210
	s_branch .LBB595_215
.LBB595_208:                            ;   in Loop: Header=BB595_3 Depth=1
	v_bfi_b32 v68, s20, 1.0, v69
                                        ; implicit-def: $vgpr69
	s_andn2_saveexec_b64 s[14:15], s[14:15]
	s_cbranch_execz .LBB595_207
.LBB595_209:                            ;   in Loop: Header=BB595_3 Depth=1
	v_mul_f32_e32 v68, v69, v69
	v_fmaak_f32 v70, v69, v69, 0x43bd0000
	v_fmaak_f32 v70, v68, v70, 0x46875a00
	v_fmamk_f32 v71, v68, 0x41e00000, v38
	v_fmaak_f32 v70, v68, v70, 0x4803f7c0
	v_fmaak_f32 v71, v68, v71, 0x4773a200
	;; [unrolled: 1-line block ×3, first 2 shown]
	v_mul_f32_e32 v69, v69, v70
	v_div_scale_f32 v70, s[16:17], v68, v68, v69
	v_rcp_f32_e32 v71, v70
	s_nop 0
	v_fma_f32 v72, -v70, v71, 1.0
	v_fmac_f32_e32 v71, v72, v71
	v_div_scale_f32 v72, vcc, v69, v68, v69
	v_mul_f32_e32 v73, v72, v71
	v_fma_f32 v74, -v70, v73, v72
	v_fmac_f32_e32 v73, v74, v71
	v_fma_f32 v70, -v70, v73, v72
	v_div_fmas_f32 v70, v70, v71, v73
	v_div_fixup_f32 v68, v70, v68, v69
	v_med3_f32 v68, v68, -1.0, 1.0
	s_or_b64 exec, exec, s[14:15]
	s_and_saveexec_b64 s[14:15], s[0:1]
	s_cbranch_execz .LBB595_215
.LBB595_210:                            ;   in Loop: Header=BB595_3 Depth=1
	v_cvt_f32_f16_e32 v69, v10
	v_mul_f32_e32 v70, v69, v69
	v_mul_f32_e32 v71, v70, v69
	;; [unrolled: 1-line block ×3, first 2 shown]
	v_fmac_f32_e32 v70, 0x3d122279, v71
	v_cmp_ge_f32_e64 s[16:17], |v70|, s19
                                        ; implicit-def: $vgpr71
	s_and_saveexec_b64 s[22:23], s[16:17]
	s_xor_b64 s[16:17], exec, s[22:23]
; %bb.211:                              ;   in Loop: Header=BB595_3 Depth=1
	v_bfi_b32 v71, s20, 1.0, v70
                                        ; implicit-def: $vgpr70
; %bb.212:                              ;   in Loop: Header=BB595_3 Depth=1
	s_andn2_saveexec_b64 s[16:17], s[16:17]
	s_cbranch_execz .LBB595_214
; %bb.213:                              ;   in Loop: Header=BB595_3 Depth=1
	v_mul_f32_e32 v71, v70, v70
	v_fmaak_f32 v72, v70, v70, 0x43bd0000
	v_fmaak_f32 v72, v71, v72, 0x46875a00
	v_fmamk_f32 v73, v71, 0x41e00000, v38
	v_fmaak_f32 v72, v71, v72, 0x4803f7c0
	v_fmaak_f32 v73, v71, v73, 0x4773a200
	;; [unrolled: 1-line block ×3, first 2 shown]
	v_mul_f32_e32 v70, v70, v72
	v_div_scale_f32 v72, s[22:23], v71, v71, v70
	v_rcp_f32_e32 v73, v72
	s_nop 0
	v_fma_f32 v74, -v72, v73, 1.0
	v_fmac_f32_e32 v73, v74, v73
	v_div_scale_f32 v74, vcc, v70, v71, v70
	v_mul_f32_e32 v75, v74, v73
	v_fma_f32 v76, -v72, v75, v74
	v_fmac_f32_e32 v75, v76, v73
	v_fma_f32 v72, -v72, v75, v74
	v_div_fmas_f32 v72, v72, v73, v75
	v_div_fixup_f32 v70, v72, v71, v70
	v_med3_f32 v71, v70, -1.0, 1.0
.LBB595_214:                            ;   in Loop: Header=BB595_3 Depth=1
	s_or_b64 exec, exec, s[16:17]
	v_fmac_f32_e32 v69, v69, v71
	v_fma_mixlo_f16 v69, v69, s21, 0
	v_bfi_b32 v10, s18, v69, v10
.LBB595_215:                            ;   in Loop: Header=BB595_3 Depth=1
	s_or_b64 exec, exec, s[14:15]
	v_cvt_f32_f16_sdwa v22, v22 dst_sel:DWORD dst_unused:UNUSED_PAD src0_sel:WORD_1
	v_mul_f32_e32 v69, v22, v22
	v_mul_f32_e32 v69, v69, v22
	;; [unrolled: 1-line block ×3, first 2 shown]
	v_fmac_f32_e32 v70, 0x3d122279, v69
	v_cmp_ge_f32_e64 s[14:15], |v70|, s19
                                        ; implicit-def: $vgpr69
	s_and_saveexec_b64 s[16:17], s[14:15]
	s_xor_b64 s[14:15], exec, s[16:17]
	s_cbranch_execnz .LBB595_218
; %bb.216:                              ;   in Loop: Header=BB595_3 Depth=1
	s_andn2_saveexec_b64 s[14:15], s[14:15]
	s_cbranch_execnz .LBB595_219
.LBB595_217:                            ;   in Loop: Header=BB595_3 Depth=1
	s_or_b64 exec, exec, s[14:15]
	s_and_saveexec_b64 s[14:15], s[0:1]
	s_cbranch_execnz .LBB595_220
	s_branch .LBB595_225
.LBB595_218:                            ;   in Loop: Header=BB595_3 Depth=1
	v_bfi_b32 v69, s20, 1.0, v70
                                        ; implicit-def: $vgpr70
	s_andn2_saveexec_b64 s[14:15], s[14:15]
	s_cbranch_execz .LBB595_217
.LBB595_219:                            ;   in Loop: Header=BB595_3 Depth=1
	v_mul_f32_e32 v69, v70, v70
	v_fmaak_f32 v71, v70, v70, 0x43bd0000
	v_fmaak_f32 v71, v69, v71, 0x46875a00
	v_fmamk_f32 v72, v69, 0x41e00000, v38
	v_fmaak_f32 v71, v69, v71, 0x4803f7c0
	v_fmaak_f32 v72, v69, v72, 0x4773a200
	;; [unrolled: 1-line block ×3, first 2 shown]
	v_mul_f32_e32 v70, v70, v71
	v_div_scale_f32 v71, s[16:17], v69, v69, v70
	v_rcp_f32_e32 v72, v71
	s_nop 0
	v_fma_f32 v73, -v71, v72, 1.0
	v_fmac_f32_e32 v72, v73, v72
	v_div_scale_f32 v73, vcc, v70, v69, v70
	v_mul_f32_e32 v74, v73, v72
	v_fma_f32 v75, -v71, v74, v73
	v_fmac_f32_e32 v74, v75, v72
	v_fma_f32 v71, -v71, v74, v73
	v_div_fmas_f32 v71, v71, v72, v74
	v_div_fixup_f32 v69, v71, v69, v70
	v_med3_f32 v69, v69, -1.0, 1.0
	s_or_b64 exec, exec, s[14:15]
	s_and_saveexec_b64 s[14:15], s[0:1]
	s_cbranch_execz .LBB595_225
.LBB595_220:                            ;   in Loop: Header=BB595_3 Depth=1
	v_cvt_f32_f16_sdwa v70, v10 dst_sel:DWORD dst_unused:UNUSED_PAD src0_sel:WORD_1
	v_mul_f32_e32 v71, v70, v70
	v_mul_f32_e32 v72, v71, v70
	v_mul_f32_e32 v71, 0x3f4c422a, v70
	v_fmac_f32_e32 v71, 0x3d122279, v72
	v_cmp_ge_f32_e64 s[16:17], |v71|, s19
                                        ; implicit-def: $vgpr72
	s_and_saveexec_b64 s[22:23], s[16:17]
	s_xor_b64 s[16:17], exec, s[22:23]
; %bb.221:                              ;   in Loop: Header=BB595_3 Depth=1
	v_bfi_b32 v72, s20, 1.0, v71
                                        ; implicit-def: $vgpr71
; %bb.222:                              ;   in Loop: Header=BB595_3 Depth=1
	s_andn2_saveexec_b64 s[16:17], s[16:17]
	s_cbranch_execz .LBB595_224
; %bb.223:                              ;   in Loop: Header=BB595_3 Depth=1
	v_mul_f32_e32 v72, v71, v71
	v_fmaak_f32 v73, v71, v71, 0x43bd0000
	v_fmaak_f32 v73, v72, v73, 0x46875a00
	v_fmamk_f32 v74, v72, 0x41e00000, v38
	v_fmaak_f32 v73, v72, v73, 0x4803f7c0
	v_fmaak_f32 v74, v72, v74, 0x4773a200
	;; [unrolled: 1-line block ×3, first 2 shown]
	v_mul_f32_e32 v71, v71, v73
	v_div_scale_f32 v73, s[22:23], v72, v72, v71
	v_rcp_f32_e32 v74, v73
	s_nop 0
	v_fma_f32 v75, -v73, v74, 1.0
	v_fmac_f32_e32 v74, v75, v74
	v_div_scale_f32 v75, vcc, v71, v72, v71
	v_mul_f32_e32 v76, v75, v74
	v_fma_f32 v77, -v73, v76, v75
	v_fmac_f32_e32 v76, v77, v74
	v_fma_f32 v73, -v73, v76, v75
	v_div_fmas_f32 v73, v73, v74, v76
	v_div_fixup_f32 v71, v73, v72, v71
	v_med3_f32 v72, v71, -1.0, 1.0
.LBB595_224:                            ;   in Loop: Header=BB595_3 Depth=1
	s_or_b64 exec, exec, s[16:17]
	v_fmac_f32_e32 v70, v70, v72
	v_fma_mixhi_f16 v10, v70, s21, 0
.LBB595_225:                            ;   in Loop: Header=BB595_3 Depth=1
	s_or_b64 exec, exec, s[14:15]
	v_cvt_f32_f16_e32 v70, v23
	v_mul_f32_e32 v71, v70, v70
	v_mul_f32_e32 v71, v71, v70
	;; [unrolled: 1-line block ×3, first 2 shown]
	v_fmac_f32_e32 v72, 0x3d122279, v71
	v_cmp_ge_f32_e64 s[14:15], |v72|, s19
                                        ; implicit-def: $vgpr71
	s_and_saveexec_b64 s[16:17], s[14:15]
	s_xor_b64 s[14:15], exec, s[16:17]
	s_cbranch_execnz .LBB595_228
; %bb.226:                              ;   in Loop: Header=BB595_3 Depth=1
	s_andn2_saveexec_b64 s[14:15], s[14:15]
	s_cbranch_execnz .LBB595_229
.LBB595_227:                            ;   in Loop: Header=BB595_3 Depth=1
	s_or_b64 exec, exec, s[14:15]
	s_and_saveexec_b64 s[14:15], s[0:1]
	s_cbranch_execnz .LBB595_230
	s_branch .LBB595_235
.LBB595_228:                            ;   in Loop: Header=BB595_3 Depth=1
	v_bfi_b32 v71, s20, 1.0, v72
                                        ; implicit-def: $vgpr72
	s_andn2_saveexec_b64 s[14:15], s[14:15]
	s_cbranch_execz .LBB595_227
.LBB595_229:                            ;   in Loop: Header=BB595_3 Depth=1
	v_mul_f32_e32 v71, v72, v72
	v_fmaak_f32 v73, v72, v72, 0x43bd0000
	v_fmaak_f32 v73, v71, v73, 0x46875a00
	v_fmamk_f32 v74, v71, 0x41e00000, v38
	v_fmaak_f32 v73, v71, v73, 0x4803f7c0
	v_fmaak_f32 v74, v71, v74, 0x4773a200
	;; [unrolled: 1-line block ×3, first 2 shown]
	v_mul_f32_e32 v72, v72, v73
	v_div_scale_f32 v73, s[16:17], v71, v71, v72
	v_rcp_f32_e32 v74, v73
	s_nop 0
	v_fma_f32 v75, -v73, v74, 1.0
	v_fmac_f32_e32 v74, v75, v74
	v_div_scale_f32 v75, vcc, v72, v71, v72
	v_mul_f32_e32 v76, v75, v74
	v_fma_f32 v77, -v73, v76, v75
	v_fmac_f32_e32 v76, v77, v74
	v_fma_f32 v73, -v73, v76, v75
	v_div_fmas_f32 v73, v73, v74, v76
	v_div_fixup_f32 v71, v73, v71, v72
	v_med3_f32 v71, v71, -1.0, 1.0
	s_or_b64 exec, exec, s[14:15]
	s_and_saveexec_b64 s[14:15], s[0:1]
	s_cbranch_execz .LBB595_235
.LBB595_230:                            ;   in Loop: Header=BB595_3 Depth=1
	v_cvt_f32_f16_e32 v72, v11
	v_mul_f32_e32 v73, v72, v72
	v_mul_f32_e32 v74, v73, v72
	;; [unrolled: 1-line block ×3, first 2 shown]
	v_fmac_f32_e32 v73, 0x3d122279, v74
	v_cmp_ge_f32_e64 s[16:17], |v73|, s19
                                        ; implicit-def: $vgpr74
	s_and_saveexec_b64 s[22:23], s[16:17]
	s_xor_b64 s[16:17], exec, s[22:23]
; %bb.231:                              ;   in Loop: Header=BB595_3 Depth=1
	v_bfi_b32 v74, s20, 1.0, v73
                                        ; implicit-def: $vgpr73
; %bb.232:                              ;   in Loop: Header=BB595_3 Depth=1
	s_andn2_saveexec_b64 s[16:17], s[16:17]
	s_cbranch_execz .LBB595_234
; %bb.233:                              ;   in Loop: Header=BB595_3 Depth=1
	v_mul_f32_e32 v74, v73, v73
	v_fmaak_f32 v75, v73, v73, 0x43bd0000
	v_fmaak_f32 v75, v74, v75, 0x46875a00
	v_fmamk_f32 v76, v74, 0x41e00000, v38
	v_fmaak_f32 v75, v74, v75, 0x4803f7c0
	v_fmaak_f32 v76, v74, v76, 0x4773a200
	;; [unrolled: 1-line block ×3, first 2 shown]
	v_mul_f32_e32 v73, v73, v75
	v_div_scale_f32 v75, s[22:23], v74, v74, v73
	v_rcp_f32_e32 v76, v75
	s_nop 0
	v_fma_f32 v77, -v75, v76, 1.0
	v_fmac_f32_e32 v76, v77, v76
	v_div_scale_f32 v77, vcc, v73, v74, v73
	v_mul_f32_e32 v78, v77, v76
	v_fma_f32 v79, -v75, v78, v77
	v_fmac_f32_e32 v78, v79, v76
	v_fma_f32 v75, -v75, v78, v77
	v_div_fmas_f32 v75, v75, v76, v78
	v_div_fixup_f32 v73, v75, v74, v73
	v_med3_f32 v74, v73, -1.0, 1.0
.LBB595_234:                            ;   in Loop: Header=BB595_3 Depth=1
	s_or_b64 exec, exec, s[16:17]
	v_fmac_f32_e32 v72, v72, v74
	v_fma_mixlo_f16 v72, v72, s21, 0
	v_bfi_b32 v11, s18, v72, v11
.LBB595_235:                            ;   in Loop: Header=BB595_3 Depth=1
	s_or_b64 exec, exec, s[14:15]
	v_cvt_f32_f16_sdwa v23, v23 dst_sel:DWORD dst_unused:UNUSED_PAD src0_sel:WORD_1
	v_mul_f32_e32 v72, v23, v23
	v_mul_f32_e32 v72, v72, v23
	;; [unrolled: 1-line block ×3, first 2 shown]
	v_fmac_f32_e32 v73, 0x3d122279, v72
	v_cmp_ge_f32_e64 s[14:15], |v73|, s19
                                        ; implicit-def: $vgpr72
	s_and_saveexec_b64 s[16:17], s[14:15]
	s_xor_b64 s[14:15], exec, s[16:17]
	s_cbranch_execnz .LBB595_238
; %bb.236:                              ;   in Loop: Header=BB595_3 Depth=1
	s_andn2_saveexec_b64 s[14:15], s[14:15]
	s_cbranch_execnz .LBB595_239
.LBB595_237:                            ;   in Loop: Header=BB595_3 Depth=1
	s_or_b64 exec, exec, s[14:15]
	s_and_saveexec_b64 s[14:15], s[0:1]
	s_cbranch_execnz .LBB595_240
	s_branch .LBB595_245
.LBB595_238:                            ;   in Loop: Header=BB595_3 Depth=1
	v_bfi_b32 v72, s20, 1.0, v73
                                        ; implicit-def: $vgpr73
	s_andn2_saveexec_b64 s[14:15], s[14:15]
	s_cbranch_execz .LBB595_237
.LBB595_239:                            ;   in Loop: Header=BB595_3 Depth=1
	v_mul_f32_e32 v72, v73, v73
	v_fmaak_f32 v74, v73, v73, 0x43bd0000
	v_fmaak_f32 v74, v72, v74, 0x46875a00
	v_fmamk_f32 v75, v72, 0x41e00000, v38
	v_fmaak_f32 v74, v72, v74, 0x4803f7c0
	v_fmaak_f32 v75, v72, v75, 0x4773a200
	;; [unrolled: 1-line block ×3, first 2 shown]
	v_mul_f32_e32 v73, v73, v74
	v_div_scale_f32 v74, s[16:17], v72, v72, v73
	v_rcp_f32_e32 v75, v74
	s_nop 0
	v_fma_f32 v76, -v74, v75, 1.0
	v_fmac_f32_e32 v75, v76, v75
	v_div_scale_f32 v76, vcc, v73, v72, v73
	v_mul_f32_e32 v77, v76, v75
	v_fma_f32 v78, -v74, v77, v76
	v_fmac_f32_e32 v77, v78, v75
	v_fma_f32 v74, -v74, v77, v76
	v_div_fmas_f32 v74, v74, v75, v77
	v_div_fixup_f32 v72, v74, v72, v73
	v_med3_f32 v72, v72, -1.0, 1.0
	s_or_b64 exec, exec, s[14:15]
	s_and_saveexec_b64 s[14:15], s[0:1]
	s_cbranch_execz .LBB595_245
.LBB595_240:                            ;   in Loop: Header=BB595_3 Depth=1
	v_cvt_f32_f16_sdwa v73, v11 dst_sel:DWORD dst_unused:UNUSED_PAD src0_sel:WORD_1
	v_mul_f32_e32 v74, v73, v73
	v_mul_f32_e32 v75, v74, v73
	;; [unrolled: 1-line block ×3, first 2 shown]
	v_fmac_f32_e32 v74, 0x3d122279, v75
	v_cmp_ge_f32_e64 s[16:17], |v74|, s19
                                        ; implicit-def: $vgpr75
	s_and_saveexec_b64 s[22:23], s[16:17]
	s_xor_b64 s[16:17], exec, s[22:23]
; %bb.241:                              ;   in Loop: Header=BB595_3 Depth=1
	v_bfi_b32 v75, s20, 1.0, v74
                                        ; implicit-def: $vgpr74
; %bb.242:                              ;   in Loop: Header=BB595_3 Depth=1
	s_andn2_saveexec_b64 s[16:17], s[16:17]
	s_cbranch_execz .LBB595_244
; %bb.243:                              ;   in Loop: Header=BB595_3 Depth=1
	v_mul_f32_e32 v75, v74, v74
	v_fmaak_f32 v76, v74, v74, 0x43bd0000
	v_fmaak_f32 v76, v75, v76, 0x46875a00
	v_fmamk_f32 v77, v75, 0x41e00000, v38
	v_fmaak_f32 v76, v75, v76, 0x4803f7c0
	v_fmaak_f32 v77, v75, v77, 0x4773a200
	;; [unrolled: 1-line block ×3, first 2 shown]
	v_mul_f32_e32 v74, v74, v76
	v_div_scale_f32 v76, s[22:23], v75, v75, v74
	v_rcp_f32_e32 v77, v76
	s_nop 0
	v_fma_f32 v78, -v76, v77, 1.0
	v_fmac_f32_e32 v77, v78, v77
	v_div_scale_f32 v78, vcc, v74, v75, v74
	v_mul_f32_e32 v79, v78, v77
	v_fma_f32 v80, -v76, v79, v78
	v_fmac_f32_e32 v79, v80, v77
	v_fma_f32 v76, -v76, v79, v78
	v_div_fmas_f32 v76, v76, v77, v79
	v_div_fixup_f32 v74, v76, v75, v74
	v_med3_f32 v75, v74, -1.0, 1.0
.LBB595_244:                            ;   in Loop: Header=BB595_3 Depth=1
	s_or_b64 exec, exec, s[16:17]
	v_fmac_f32_e32 v73, v73, v75
	v_fma_mixhi_f16 v11, v73, s21, 0
.LBB595_245:                            ;   in Loop: Header=BB595_3 Depth=1
	s_or_b64 exec, exec, s[14:15]
	v_cvt_f32_f16_e32 v73, v16
	v_mul_f32_e32 v74, v73, v73
	v_mul_f32_e32 v74, v74, v73
	;; [unrolled: 1-line block ×3, first 2 shown]
	v_fmac_f32_e32 v75, 0x3d122279, v74
	v_cmp_ge_f32_e64 s[14:15], |v75|, s19
                                        ; implicit-def: $vgpr74
	s_and_saveexec_b64 s[16:17], s[14:15]
	s_xor_b64 s[14:15], exec, s[16:17]
	s_cbranch_execnz .LBB595_248
; %bb.246:                              ;   in Loop: Header=BB595_3 Depth=1
	s_andn2_saveexec_b64 s[14:15], s[14:15]
	s_cbranch_execnz .LBB595_249
.LBB595_247:                            ;   in Loop: Header=BB595_3 Depth=1
	s_or_b64 exec, exec, s[14:15]
	s_and_saveexec_b64 s[14:15], s[0:1]
	s_cbranch_execnz .LBB595_250
	s_branch .LBB595_255
.LBB595_248:                            ;   in Loop: Header=BB595_3 Depth=1
	v_bfi_b32 v74, s20, 1.0, v75
                                        ; implicit-def: $vgpr75
	s_andn2_saveexec_b64 s[14:15], s[14:15]
	s_cbranch_execz .LBB595_247
.LBB595_249:                            ;   in Loop: Header=BB595_3 Depth=1
	v_mul_f32_e32 v74, v75, v75
	v_fmaak_f32 v76, v75, v75, 0x43bd0000
	v_fmaak_f32 v76, v74, v76, 0x46875a00
	v_fmamk_f32 v77, v74, 0x41e00000, v38
	v_fmaak_f32 v76, v74, v76, 0x4803f7c0
	v_fmaak_f32 v77, v74, v77, 0x4773a200
	;; [unrolled: 1-line block ×3, first 2 shown]
	v_mul_f32_e32 v75, v75, v76
	v_div_scale_f32 v76, s[16:17], v74, v74, v75
	v_rcp_f32_e32 v77, v76
	s_nop 0
	v_fma_f32 v78, -v76, v77, 1.0
	v_fmac_f32_e32 v77, v78, v77
	v_div_scale_f32 v78, vcc, v75, v74, v75
	v_mul_f32_e32 v79, v78, v77
	v_fma_f32 v80, -v76, v79, v78
	v_fmac_f32_e32 v79, v80, v77
	v_fma_f32 v76, -v76, v79, v78
	v_div_fmas_f32 v76, v76, v77, v79
	v_div_fixup_f32 v74, v76, v74, v75
	v_med3_f32 v74, v74, -1.0, 1.0
	s_or_b64 exec, exec, s[14:15]
	s_and_saveexec_b64 s[14:15], s[0:1]
	s_cbranch_execz .LBB595_255
.LBB595_250:                            ;   in Loop: Header=BB595_3 Depth=1
	v_cvt_f32_f16_e32 v75, v12
	v_mul_f32_e32 v76, v75, v75
	v_mul_f32_e32 v77, v76, v75
	;; [unrolled: 1-line block ×3, first 2 shown]
	v_fmac_f32_e32 v76, 0x3d122279, v77
	v_cmp_ge_f32_e64 s[16:17], |v76|, s19
                                        ; implicit-def: $vgpr77
	s_and_saveexec_b64 s[22:23], s[16:17]
	s_xor_b64 s[16:17], exec, s[22:23]
; %bb.251:                              ;   in Loop: Header=BB595_3 Depth=1
	v_bfi_b32 v77, s20, 1.0, v76
                                        ; implicit-def: $vgpr76
; %bb.252:                              ;   in Loop: Header=BB595_3 Depth=1
	s_andn2_saveexec_b64 s[16:17], s[16:17]
	s_cbranch_execz .LBB595_254
; %bb.253:                              ;   in Loop: Header=BB595_3 Depth=1
	v_mul_f32_e32 v77, v76, v76
	v_fmaak_f32 v78, v76, v76, 0x43bd0000
	v_fmaak_f32 v78, v77, v78, 0x46875a00
	v_fmamk_f32 v79, v77, 0x41e00000, v38
	v_fmaak_f32 v78, v77, v78, 0x4803f7c0
	v_fmaak_f32 v79, v77, v79, 0x4773a200
	;; [unrolled: 1-line block ×3, first 2 shown]
	v_mul_f32_e32 v76, v76, v78
	v_div_scale_f32 v78, s[22:23], v77, v77, v76
	v_rcp_f32_e32 v79, v78
	s_nop 0
	v_fma_f32 v80, -v78, v79, 1.0
	v_fmac_f32_e32 v79, v80, v79
	v_div_scale_f32 v80, vcc, v76, v77, v76
	v_mul_f32_e32 v81, v80, v79
	v_fma_f32 v82, -v78, v81, v80
	v_fmac_f32_e32 v81, v82, v79
	v_fma_f32 v78, -v78, v81, v80
	v_div_fmas_f32 v78, v78, v79, v81
	v_div_fixup_f32 v76, v78, v77, v76
	v_med3_f32 v77, v76, -1.0, 1.0
.LBB595_254:                            ;   in Loop: Header=BB595_3 Depth=1
	s_or_b64 exec, exec, s[16:17]
	v_fmac_f32_e32 v75, v75, v77
	v_fma_mixlo_f16 v75, v75, s21, 0
	v_bfi_b32 v12, s18, v75, v12
.LBB595_255:                            ;   in Loop: Header=BB595_3 Depth=1
	s_or_b64 exec, exec, s[14:15]
	v_cvt_f32_f16_sdwa v75, v16 dst_sel:DWORD dst_unused:UNUSED_PAD src0_sel:WORD_1
	v_mul_f32_e32 v16, v75, v75
	v_mul_f32_e32 v76, v16, v75
	;; [unrolled: 1-line block ×3, first 2 shown]
	v_fmac_f32_e32 v16, 0x3d122279, v76
	v_cmp_ge_f32_e64 s[14:15], |v16|, s19
                                        ; implicit-def: $vgpr76
	s_and_saveexec_b64 s[16:17], s[14:15]
	s_xor_b64 s[14:15], exec, s[16:17]
	s_cbranch_execnz .LBB595_258
; %bb.256:                              ;   in Loop: Header=BB595_3 Depth=1
	s_andn2_saveexec_b64 s[14:15], s[14:15]
	s_cbranch_execnz .LBB595_259
.LBB595_257:                            ;   in Loop: Header=BB595_3 Depth=1
	s_or_b64 exec, exec, s[14:15]
	s_and_saveexec_b64 s[14:15], s[0:1]
	s_cbranch_execnz .LBB595_260
	s_branch .LBB595_265
.LBB595_258:                            ;   in Loop: Header=BB595_3 Depth=1
	v_bfi_b32 v76, s20, 1.0, v16
                                        ; implicit-def: $vgpr16
	s_andn2_saveexec_b64 s[14:15], s[14:15]
	s_cbranch_execz .LBB595_257
.LBB595_259:                            ;   in Loop: Header=BB595_3 Depth=1
	v_mul_f32_e32 v76, v16, v16
	v_fmaak_f32 v77, v16, v16, 0x43bd0000
	v_fmaak_f32 v77, v76, v77, 0x46875a00
	v_fmamk_f32 v78, v76, 0x41e00000, v38
	v_fmaak_f32 v77, v76, v77, 0x4803f7c0
	v_fmaak_f32 v78, v76, v78, 0x4773a200
	;; [unrolled: 1-line block ×3, first 2 shown]
	v_mul_f32_e32 v16, v16, v77
	v_div_scale_f32 v77, s[16:17], v76, v76, v16
	v_rcp_f32_e32 v78, v77
	s_nop 0
	v_fma_f32 v79, -v77, v78, 1.0
	v_fmac_f32_e32 v78, v79, v78
	v_div_scale_f32 v79, vcc, v16, v76, v16
	v_mul_f32_e32 v80, v79, v78
	v_fma_f32 v81, -v77, v80, v79
	v_fmac_f32_e32 v80, v81, v78
	v_fma_f32 v77, -v77, v80, v79
	v_div_fmas_f32 v77, v77, v78, v80
	v_div_fixup_f32 v16, v77, v76, v16
	v_med3_f32 v76, v16, -1.0, 1.0
	s_or_b64 exec, exec, s[14:15]
	s_and_saveexec_b64 s[14:15], s[0:1]
	s_cbranch_execz .LBB595_265
.LBB595_260:                            ;   in Loop: Header=BB595_3 Depth=1
	v_cvt_f32_f16_sdwa v16, v12 dst_sel:DWORD dst_unused:UNUSED_PAD src0_sel:WORD_1
	v_mul_f32_e32 v77, v16, v16
	v_mul_f32_e32 v78, v77, v16
	;; [unrolled: 1-line block ×3, first 2 shown]
	v_fmac_f32_e32 v77, 0x3d122279, v78
	v_cmp_ge_f32_e64 s[16:17], |v77|, s19
                                        ; implicit-def: $vgpr78
	s_and_saveexec_b64 s[22:23], s[16:17]
	s_xor_b64 s[16:17], exec, s[22:23]
; %bb.261:                              ;   in Loop: Header=BB595_3 Depth=1
	v_bfi_b32 v78, s20, 1.0, v77
                                        ; implicit-def: $vgpr77
; %bb.262:                              ;   in Loop: Header=BB595_3 Depth=1
	s_andn2_saveexec_b64 s[16:17], s[16:17]
	s_cbranch_execz .LBB595_264
; %bb.263:                              ;   in Loop: Header=BB595_3 Depth=1
	v_mul_f32_e32 v78, v77, v77
	v_fmaak_f32 v79, v77, v77, 0x43bd0000
	v_fmaak_f32 v79, v78, v79, 0x46875a00
	v_fmamk_f32 v80, v78, 0x41e00000, v38
	v_fmaak_f32 v79, v78, v79, 0x4803f7c0
	v_fmaak_f32 v80, v78, v80, 0x4773a200
	;; [unrolled: 1-line block ×3, first 2 shown]
	v_mul_f32_e32 v77, v77, v79
	v_div_scale_f32 v79, s[22:23], v78, v78, v77
	v_rcp_f32_e32 v80, v79
	s_nop 0
	v_fma_f32 v81, -v79, v80, 1.0
	v_fmac_f32_e32 v80, v81, v80
	v_div_scale_f32 v81, vcc, v77, v78, v77
	v_mul_f32_e32 v82, v81, v80
	v_fma_f32 v83, -v79, v82, v81
	v_fmac_f32_e32 v82, v83, v80
	v_fma_f32 v79, -v79, v82, v81
	v_div_fmas_f32 v79, v79, v80, v82
	v_div_fixup_f32 v77, v79, v78, v77
	v_med3_f32 v78, v77, -1.0, 1.0
.LBB595_264:                            ;   in Loop: Header=BB595_3 Depth=1
	s_or_b64 exec, exec, s[16:17]
	v_fmac_f32_e32 v16, v16, v78
	v_fma_mixhi_f16 v12, v16, s21, 0
.LBB595_265:                            ;   in Loop: Header=BB595_3 Depth=1
	s_or_b64 exec, exec, s[14:15]
	v_cvt_f32_f16_e32 v77, v17
	v_mul_f32_e32 v16, v77, v77
	v_mul_f32_e32 v78, v16, v77
	;; [unrolled: 1-line block ×3, first 2 shown]
	v_fmac_f32_e32 v16, 0x3d122279, v78
	v_cmp_ge_f32_e64 s[14:15], |v16|, s19
                                        ; implicit-def: $vgpr78
	s_and_saveexec_b64 s[16:17], s[14:15]
	s_xor_b64 s[14:15], exec, s[16:17]
	s_cbranch_execnz .LBB595_268
; %bb.266:                              ;   in Loop: Header=BB595_3 Depth=1
	s_andn2_saveexec_b64 s[14:15], s[14:15]
	s_cbranch_execnz .LBB595_269
.LBB595_267:                            ;   in Loop: Header=BB595_3 Depth=1
	s_or_b64 exec, exec, s[14:15]
	s_and_saveexec_b64 s[14:15], s[0:1]
	s_cbranch_execnz .LBB595_270
	s_branch .LBB595_275
.LBB595_268:                            ;   in Loop: Header=BB595_3 Depth=1
	v_bfi_b32 v78, s20, 1.0, v16
                                        ; implicit-def: $vgpr16
	s_andn2_saveexec_b64 s[14:15], s[14:15]
	s_cbranch_execz .LBB595_267
.LBB595_269:                            ;   in Loop: Header=BB595_3 Depth=1
	v_mul_f32_e32 v78, v16, v16
	v_fmaak_f32 v79, v16, v16, 0x43bd0000
	v_fmaak_f32 v79, v78, v79, 0x46875a00
	v_fmamk_f32 v80, v78, 0x41e00000, v38
	v_fmaak_f32 v79, v78, v79, 0x4803f7c0
	v_fmaak_f32 v80, v78, v80, 0x4773a200
	;; [unrolled: 1-line block ×3, first 2 shown]
	v_mul_f32_e32 v16, v16, v79
	v_div_scale_f32 v79, s[16:17], v78, v78, v16
	v_rcp_f32_e32 v80, v79
	s_nop 0
	v_fma_f32 v81, -v79, v80, 1.0
	v_fmac_f32_e32 v80, v81, v80
	v_div_scale_f32 v81, vcc, v16, v78, v16
	v_mul_f32_e32 v82, v81, v80
	v_fma_f32 v83, -v79, v82, v81
	v_fmac_f32_e32 v82, v83, v80
	v_fma_f32 v79, -v79, v82, v81
	v_div_fmas_f32 v79, v79, v80, v82
	v_div_fixup_f32 v16, v79, v78, v16
	v_med3_f32 v78, v16, -1.0, 1.0
	s_or_b64 exec, exec, s[14:15]
	s_and_saveexec_b64 s[14:15], s[0:1]
	s_cbranch_execz .LBB595_275
.LBB595_270:                            ;   in Loop: Header=BB595_3 Depth=1
	v_cvt_f32_f16_e32 v16, v13
	v_mul_f32_e32 v79, v16, v16
	v_mul_f32_e32 v80, v79, v16
	;; [unrolled: 1-line block ×3, first 2 shown]
	v_fmac_f32_e32 v79, 0x3d122279, v80
	v_cmp_ge_f32_e64 s[16:17], |v79|, s19
                                        ; implicit-def: $vgpr80
	s_and_saveexec_b64 s[22:23], s[16:17]
	s_xor_b64 s[16:17], exec, s[22:23]
; %bb.271:                              ;   in Loop: Header=BB595_3 Depth=1
	v_bfi_b32 v80, s20, 1.0, v79
                                        ; implicit-def: $vgpr79
; %bb.272:                              ;   in Loop: Header=BB595_3 Depth=1
	s_andn2_saveexec_b64 s[16:17], s[16:17]
	s_cbranch_execz .LBB595_274
; %bb.273:                              ;   in Loop: Header=BB595_3 Depth=1
	v_mul_f32_e32 v80, v79, v79
	v_fmaak_f32 v81, v79, v79, 0x43bd0000
	v_fmaak_f32 v81, v80, v81, 0x46875a00
	v_fmamk_f32 v82, v80, 0x41e00000, v38
	v_fmaak_f32 v81, v80, v81, 0x4803f7c0
	v_fmaak_f32 v82, v80, v82, 0x4773a200
	v_fmaak_f32 v80, v80, v82, 0x4803f7c0
	v_mul_f32_e32 v79, v79, v81
	v_div_scale_f32 v81, s[22:23], v80, v80, v79
	v_rcp_f32_e32 v82, v81
	s_nop 0
	v_fma_f32 v83, -v81, v82, 1.0
	v_fmac_f32_e32 v82, v83, v82
	v_div_scale_f32 v83, vcc, v79, v80, v79
	v_mul_f32_e32 v84, v83, v82
	v_fma_f32 v85, -v81, v84, v83
	v_fmac_f32_e32 v84, v85, v82
	v_fma_f32 v81, -v81, v84, v83
	v_div_fmas_f32 v81, v81, v82, v84
	v_div_fixup_f32 v79, v81, v80, v79
	v_med3_f32 v80, v79, -1.0, 1.0
.LBB595_274:                            ;   in Loop: Header=BB595_3 Depth=1
	s_or_b64 exec, exec, s[16:17]
	v_fmac_f32_e32 v16, v16, v80
	v_fma_mixlo_f16 v16, v16, s21, 0
	v_bfi_b32 v13, s18, v16, v13
.LBB595_275:                            ;   in Loop: Header=BB595_3 Depth=1
	s_or_b64 exec, exec, s[14:15]
	v_cvt_f32_f16_sdwa v79, v17 dst_sel:DWORD dst_unused:UNUSED_PAD src0_sel:WORD_1
                                        ; implicit-def: $vgpr80
	v_mul_f32_e32 v16, v79, v79
	v_mul_f32_e32 v17, v16, v79
	;; [unrolled: 1-line block ×3, first 2 shown]
	v_fmac_f32_e32 v16, 0x3d122279, v17
	v_cmp_ge_f32_e64 s[14:15], |v16|, s19
	s_and_saveexec_b64 s[16:17], s[14:15]
	s_xor_b64 s[14:15], exec, s[16:17]
	s_cbranch_execnz .LBB595_278
; %bb.276:                              ;   in Loop: Header=BB595_3 Depth=1
	s_andn2_saveexec_b64 s[14:15], s[14:15]
	s_cbranch_execnz .LBB595_279
.LBB595_277:                            ;   in Loop: Header=BB595_3 Depth=1
	s_or_b64 exec, exec, s[14:15]
	s_and_saveexec_b64 s[14:15], s[0:1]
	s_cbranch_execnz .LBB595_280
	s_branch .LBB595_285
.LBB595_278:                            ;   in Loop: Header=BB595_3 Depth=1
	v_bfi_b32 v80, s20, 1.0, v16
                                        ; implicit-def: $vgpr16
	s_andn2_saveexec_b64 s[14:15], s[14:15]
	s_cbranch_execz .LBB595_277
.LBB595_279:                            ;   in Loop: Header=BB595_3 Depth=1
	v_mul_f32_e32 v17, v16, v16
	v_fmaak_f32 v80, v16, v16, 0x43bd0000
	v_fmaak_f32 v80, v17, v80, 0x46875a00
	v_fmamk_f32 v81, v17, 0x41e00000, v38
	v_fmaak_f32 v80, v17, v80, 0x4803f7c0
	v_fmaak_f32 v81, v17, v81, 0x4773a200
	;; [unrolled: 1-line block ×3, first 2 shown]
	v_mul_f32_e32 v16, v16, v80
	v_div_scale_f32 v80, s[16:17], v17, v17, v16
	v_rcp_f32_e32 v81, v80
	s_nop 0
	v_fma_f32 v82, -v80, v81, 1.0
	v_fmac_f32_e32 v81, v82, v81
	v_div_scale_f32 v82, vcc, v16, v17, v16
	v_mul_f32_e32 v83, v82, v81
	v_fma_f32 v84, -v80, v83, v82
	v_fmac_f32_e32 v83, v84, v81
	v_fma_f32 v80, -v80, v83, v82
	v_div_fmas_f32 v80, v80, v81, v83
	v_div_fixup_f32 v16, v80, v17, v16
	v_med3_f32 v80, v16, -1.0, 1.0
	s_or_b64 exec, exec, s[14:15]
	s_and_saveexec_b64 s[14:15], s[0:1]
	s_cbranch_execz .LBB595_285
.LBB595_280:                            ;   in Loop: Header=BB595_3 Depth=1
	v_cvt_f32_f16_sdwa v16, v13 dst_sel:DWORD dst_unused:UNUSED_PAD src0_sel:WORD_1
	v_mul_f32_e32 v17, v16, v16
	v_mul_f32_e32 v81, v17, v16
	;; [unrolled: 1-line block ×3, first 2 shown]
	v_fmac_f32_e32 v17, 0x3d122279, v81
	v_cmp_ge_f32_e64 s[16:17], |v17|, s19
                                        ; implicit-def: $vgpr81
	s_and_saveexec_b64 s[22:23], s[16:17]
	s_xor_b64 s[16:17], exec, s[22:23]
; %bb.281:                              ;   in Loop: Header=BB595_3 Depth=1
	v_bfi_b32 v81, s20, 1.0, v17
                                        ; implicit-def: $vgpr17
; %bb.282:                              ;   in Loop: Header=BB595_3 Depth=1
	s_andn2_saveexec_b64 s[16:17], s[16:17]
	s_cbranch_execz .LBB595_284
; %bb.283:                              ;   in Loop: Header=BB595_3 Depth=1
	v_mul_f32_e32 v81, v17, v17
	v_fmaak_f32 v82, v17, v17, 0x43bd0000
	v_fmaak_f32 v82, v81, v82, 0x46875a00
	v_fmamk_f32 v83, v81, 0x41e00000, v38
	v_fmaak_f32 v82, v81, v82, 0x4803f7c0
	v_fmaak_f32 v83, v81, v83, 0x4773a200
	;; [unrolled: 1-line block ×3, first 2 shown]
	v_mul_f32_e32 v17, v17, v82
	v_div_scale_f32 v82, s[22:23], v81, v81, v17
	v_rcp_f32_e32 v83, v82
	s_nop 0
	v_fma_f32 v84, -v82, v83, 1.0
	v_fmac_f32_e32 v83, v84, v83
	v_div_scale_f32 v84, vcc, v17, v81, v17
	v_mul_f32_e32 v85, v84, v83
	v_fma_f32 v86, -v82, v85, v84
	v_fmac_f32_e32 v85, v86, v83
	v_fma_f32 v82, -v82, v85, v84
	v_div_fmas_f32 v82, v82, v83, v85
	v_div_fixup_f32 v17, v82, v81, v17
	v_med3_f32 v81, v17, -1.0, 1.0
.LBB595_284:                            ;   in Loop: Header=BB595_3 Depth=1
	s_or_b64 exec, exec, s[16:17]
	v_fmac_f32_e32 v16, v16, v81
	v_fma_mixhi_f16 v13, v16, s21, 0
.LBB595_285:                            ;   in Loop: Header=BB595_3 Depth=1
	s_or_b64 exec, exec, s[14:15]
	v_cvt_f32_f16_e32 v81, v18
                                        ; implicit-def: $vgpr82
	v_mul_f32_e32 v16, v81, v81
	v_mul_f32_e32 v17, v16, v81
	;; [unrolled: 1-line block ×3, first 2 shown]
	v_fmac_f32_e32 v16, 0x3d122279, v17
	v_cmp_ge_f32_e64 s[14:15], |v16|, s19
	s_and_saveexec_b64 s[16:17], s[14:15]
	s_xor_b64 s[14:15], exec, s[16:17]
	s_cbranch_execnz .LBB595_288
; %bb.286:                              ;   in Loop: Header=BB595_3 Depth=1
	s_andn2_saveexec_b64 s[14:15], s[14:15]
	s_cbranch_execnz .LBB595_289
.LBB595_287:                            ;   in Loop: Header=BB595_3 Depth=1
	s_or_b64 exec, exec, s[14:15]
	s_and_saveexec_b64 s[14:15], s[0:1]
	s_cbranch_execnz .LBB595_290
	s_branch .LBB595_295
.LBB595_288:                            ;   in Loop: Header=BB595_3 Depth=1
	v_bfi_b32 v82, s20, 1.0, v16
                                        ; implicit-def: $vgpr16
	s_andn2_saveexec_b64 s[14:15], s[14:15]
	s_cbranch_execz .LBB595_287
.LBB595_289:                            ;   in Loop: Header=BB595_3 Depth=1
	v_mul_f32_e32 v17, v16, v16
	v_fmaak_f32 v82, v16, v16, 0x43bd0000
	v_fmaak_f32 v82, v17, v82, 0x46875a00
	v_fmamk_f32 v83, v17, 0x41e00000, v38
	v_fmaak_f32 v82, v17, v82, 0x4803f7c0
	v_fmaak_f32 v83, v17, v83, 0x4773a200
	v_fmaak_f32 v17, v17, v83, 0x4803f7c0
	v_mul_f32_e32 v16, v16, v82
	v_div_scale_f32 v82, s[16:17], v17, v17, v16
	v_rcp_f32_e32 v83, v82
	s_nop 0
	v_fma_f32 v84, -v82, v83, 1.0
	v_fmac_f32_e32 v83, v84, v83
	v_div_scale_f32 v84, vcc, v16, v17, v16
	v_mul_f32_e32 v85, v84, v83
	v_fma_f32 v86, -v82, v85, v84
	v_fmac_f32_e32 v85, v86, v83
	v_fma_f32 v82, -v82, v85, v84
	v_div_fmas_f32 v82, v82, v83, v85
	v_div_fixup_f32 v16, v82, v17, v16
	v_med3_f32 v82, v16, -1.0, 1.0
	s_or_b64 exec, exec, s[14:15]
	s_and_saveexec_b64 s[14:15], s[0:1]
	s_cbranch_execz .LBB595_295
.LBB595_290:                            ;   in Loop: Header=BB595_3 Depth=1
	v_cvt_f32_f16_e32 v16, v14
	v_mul_f32_e32 v17, v16, v16
	v_mul_f32_e32 v83, v17, v16
	;; [unrolled: 1-line block ×3, first 2 shown]
	v_fmac_f32_e32 v17, 0x3d122279, v83
	v_cmp_ge_f32_e64 s[16:17], |v17|, s19
                                        ; implicit-def: $vgpr83
	s_and_saveexec_b64 s[22:23], s[16:17]
	s_xor_b64 s[16:17], exec, s[22:23]
; %bb.291:                              ;   in Loop: Header=BB595_3 Depth=1
	v_bfi_b32 v83, s20, 1.0, v17
                                        ; implicit-def: $vgpr17
; %bb.292:                              ;   in Loop: Header=BB595_3 Depth=1
	s_andn2_saveexec_b64 s[16:17], s[16:17]
	s_cbranch_execz .LBB595_294
; %bb.293:                              ;   in Loop: Header=BB595_3 Depth=1
	v_mul_f32_e32 v83, v17, v17
	v_fmaak_f32 v84, v17, v17, 0x43bd0000
	v_fmaak_f32 v84, v83, v84, 0x46875a00
	v_fmamk_f32 v85, v83, 0x41e00000, v38
	v_fmaak_f32 v84, v83, v84, 0x4803f7c0
	v_fmaak_f32 v85, v83, v85, 0x4773a200
	v_fmaak_f32 v83, v83, v85, 0x4803f7c0
	v_mul_f32_e32 v17, v17, v84
	v_div_scale_f32 v84, s[22:23], v83, v83, v17
	v_rcp_f32_e32 v85, v84
	s_nop 0
	v_fma_f32 v86, -v84, v85, 1.0
	v_fmac_f32_e32 v85, v86, v85
	v_div_scale_f32 v86, vcc, v17, v83, v17
	v_mul_f32_e32 v87, v86, v85
	v_fma_f32 v88, -v84, v87, v86
	v_fmac_f32_e32 v87, v88, v85
	v_fma_f32 v84, -v84, v87, v86
	v_div_fmas_f32 v84, v84, v85, v87
	v_div_fixup_f32 v17, v84, v83, v17
	v_med3_f32 v83, v17, -1.0, 1.0
.LBB595_294:                            ;   in Loop: Header=BB595_3 Depth=1
	s_or_b64 exec, exec, s[16:17]
	v_fmac_f32_e32 v16, v16, v83
	v_fma_mixlo_f16 v16, v16, s21, 0
	v_bfi_b32 v14, s18, v16, v14
.LBB595_295:                            ;   in Loop: Header=BB595_3 Depth=1
	s_or_b64 exec, exec, s[14:15]
	v_cvt_f32_f16_sdwa v83, v18 dst_sel:DWORD dst_unused:UNUSED_PAD src0_sel:WORD_1
                                        ; implicit-def: $vgpr84
	v_mul_f32_e32 v16, v83, v83
	v_mul_f32_e32 v17, v16, v83
	;; [unrolled: 1-line block ×3, first 2 shown]
	v_fmac_f32_e32 v16, 0x3d122279, v17
	v_cmp_ge_f32_e64 s[14:15], |v16|, s19
	s_and_saveexec_b64 s[16:17], s[14:15]
	s_xor_b64 s[14:15], exec, s[16:17]
	s_cbranch_execnz .LBB595_298
; %bb.296:                              ;   in Loop: Header=BB595_3 Depth=1
	s_andn2_saveexec_b64 s[14:15], s[14:15]
	s_cbranch_execnz .LBB595_299
.LBB595_297:                            ;   in Loop: Header=BB595_3 Depth=1
	s_or_b64 exec, exec, s[14:15]
	s_and_saveexec_b64 s[14:15], s[0:1]
	s_cbranch_execnz .LBB595_300
	s_branch .LBB595_305
.LBB595_298:                            ;   in Loop: Header=BB595_3 Depth=1
	v_bfi_b32 v84, s20, 1.0, v16
                                        ; implicit-def: $vgpr16
	s_andn2_saveexec_b64 s[14:15], s[14:15]
	s_cbranch_execz .LBB595_297
.LBB595_299:                            ;   in Loop: Header=BB595_3 Depth=1
	v_mul_f32_e32 v17, v16, v16
	v_fmaak_f32 v18, v16, v16, 0x43bd0000
	v_fmaak_f32 v18, v17, v18, 0x46875a00
	v_fmamk_f32 v84, v17, 0x41e00000, v38
	v_fmaak_f32 v18, v17, v18, 0x4803f7c0
	v_fmaak_f32 v84, v17, v84, 0x4773a200
	;; [unrolled: 1-line block ×3, first 2 shown]
	v_mul_f32_e32 v16, v16, v18
	v_div_scale_f32 v18, s[16:17], v17, v17, v16
	v_rcp_f32_e32 v84, v18
	s_nop 0
	v_fma_f32 v85, -v18, v84, 1.0
	v_fmac_f32_e32 v84, v85, v84
	v_div_scale_f32 v85, vcc, v16, v17, v16
	v_mul_f32_e32 v86, v85, v84
	v_fma_f32 v87, -v18, v86, v85
	v_fmac_f32_e32 v86, v87, v84
	v_fma_f32 v18, -v18, v86, v85
	v_div_fmas_f32 v18, v18, v84, v86
	v_div_fixup_f32 v16, v18, v17, v16
	v_med3_f32 v84, v16, -1.0, 1.0
	s_or_b64 exec, exec, s[14:15]
	s_and_saveexec_b64 s[14:15], s[0:1]
	s_cbranch_execz .LBB595_305
.LBB595_300:                            ;   in Loop: Header=BB595_3 Depth=1
	v_cvt_f32_f16_sdwa v16, v14 dst_sel:DWORD dst_unused:UNUSED_PAD src0_sel:WORD_1
	v_mul_f32_e32 v17, v16, v16
	v_mul_f32_e32 v18, v17, v16
	;; [unrolled: 1-line block ×3, first 2 shown]
	v_fmac_f32_e32 v17, 0x3d122279, v18
	v_cmp_ge_f32_e64 s[16:17], |v17|, s19
                                        ; implicit-def: $vgpr18
	s_and_saveexec_b64 s[22:23], s[16:17]
	s_xor_b64 s[16:17], exec, s[22:23]
; %bb.301:                              ;   in Loop: Header=BB595_3 Depth=1
	v_bfi_b32 v18, s20, 1.0, v17
                                        ; implicit-def: $vgpr17
; %bb.302:                              ;   in Loop: Header=BB595_3 Depth=1
	s_andn2_saveexec_b64 s[16:17], s[16:17]
	s_cbranch_execz .LBB595_304
; %bb.303:                              ;   in Loop: Header=BB595_3 Depth=1
	v_mul_f32_e32 v18, v17, v17
	v_fmaak_f32 v85, v17, v17, 0x43bd0000
	v_fmaak_f32 v85, v18, v85, 0x46875a00
	v_fmamk_f32 v86, v18, 0x41e00000, v38
	v_fmaak_f32 v85, v18, v85, 0x4803f7c0
	v_fmaak_f32 v86, v18, v86, 0x4773a200
	;; [unrolled: 1-line block ×3, first 2 shown]
	v_mul_f32_e32 v17, v17, v85
	v_div_scale_f32 v85, s[22:23], v18, v18, v17
	v_rcp_f32_e32 v86, v85
	s_nop 0
	v_fma_f32 v87, -v85, v86, 1.0
	v_fmac_f32_e32 v86, v87, v86
	v_div_scale_f32 v87, vcc, v17, v18, v17
	v_mul_f32_e32 v88, v87, v86
	v_fma_f32 v89, -v85, v88, v87
	v_fmac_f32_e32 v88, v89, v86
	v_fma_f32 v85, -v85, v88, v87
	v_div_fmas_f32 v85, v85, v86, v88
	v_div_fixup_f32 v17, v85, v18, v17
	v_med3_f32 v18, v17, -1.0, 1.0
.LBB595_304:                            ;   in Loop: Header=BB595_3 Depth=1
	s_or_b64 exec, exec, s[16:17]
	v_fmac_f32_e32 v16, v16, v18
	v_fma_mixhi_f16 v14, v16, s21, 0
.LBB595_305:                            ;   in Loop: Header=BB595_3 Depth=1
	s_or_b64 exec, exec, s[14:15]
	v_cvt_f32_f16_e32 v85, v19
                                        ; implicit-def: $vgpr86
	v_mul_f32_e32 v16, v85, v85
	v_mul_f32_e32 v17, v16, v85
	;; [unrolled: 1-line block ×3, first 2 shown]
	v_fmac_f32_e32 v16, 0x3d122279, v17
	v_cmp_ge_f32_e64 s[14:15], |v16|, s19
	s_and_saveexec_b64 s[16:17], s[14:15]
	s_xor_b64 s[14:15], exec, s[16:17]
	s_cbranch_execnz .LBB595_308
; %bb.306:                              ;   in Loop: Header=BB595_3 Depth=1
	s_andn2_saveexec_b64 s[14:15], s[14:15]
	s_cbranch_execnz .LBB595_309
.LBB595_307:                            ;   in Loop: Header=BB595_3 Depth=1
	s_or_b64 exec, exec, s[14:15]
	s_and_saveexec_b64 s[14:15], s[0:1]
	s_cbranch_execnz .LBB595_310
	s_branch .LBB595_315
.LBB595_308:                            ;   in Loop: Header=BB595_3 Depth=1
	v_bfi_b32 v86, s20, 1.0, v16
                                        ; implicit-def: $vgpr16
	s_andn2_saveexec_b64 s[14:15], s[14:15]
	s_cbranch_execz .LBB595_307
.LBB595_309:                            ;   in Loop: Header=BB595_3 Depth=1
	v_mul_f32_e32 v17, v16, v16
	v_fmaak_f32 v18, v16, v16, 0x43bd0000
	v_fmaak_f32 v18, v17, v18, 0x46875a00
	v_fmamk_f32 v86, v17, 0x41e00000, v38
	v_fmaak_f32 v18, v17, v18, 0x4803f7c0
	v_fmaak_f32 v86, v17, v86, 0x4773a200
	;; [unrolled: 1-line block ×3, first 2 shown]
	v_mul_f32_e32 v16, v16, v18
	v_div_scale_f32 v18, s[16:17], v17, v17, v16
	v_rcp_f32_e32 v86, v18
	s_nop 0
	v_fma_f32 v87, -v18, v86, 1.0
	v_fmac_f32_e32 v86, v87, v86
	v_div_scale_f32 v87, vcc, v16, v17, v16
	v_mul_f32_e32 v88, v87, v86
	v_fma_f32 v89, -v18, v88, v87
	v_fmac_f32_e32 v88, v89, v86
	v_fma_f32 v18, -v18, v88, v87
	v_div_fmas_f32 v18, v18, v86, v88
	v_div_fixup_f32 v16, v18, v17, v16
	v_med3_f32 v86, v16, -1.0, 1.0
	s_or_b64 exec, exec, s[14:15]
	s_and_saveexec_b64 s[14:15], s[0:1]
	s_cbranch_execz .LBB595_315
.LBB595_310:                            ;   in Loop: Header=BB595_3 Depth=1
	v_cvt_f32_f16_e32 v16, v15
	v_mul_f32_e32 v17, v16, v16
	v_mul_f32_e32 v18, v17, v16
	;; [unrolled: 1-line block ×3, first 2 shown]
	v_fmac_f32_e32 v17, 0x3d122279, v18
	v_cmp_ge_f32_e64 s[16:17], |v17|, s19
                                        ; implicit-def: $vgpr18
	s_and_saveexec_b64 s[22:23], s[16:17]
	s_xor_b64 s[16:17], exec, s[22:23]
; %bb.311:                              ;   in Loop: Header=BB595_3 Depth=1
	v_bfi_b32 v18, s20, 1.0, v17
                                        ; implicit-def: $vgpr17
; %bb.312:                              ;   in Loop: Header=BB595_3 Depth=1
	s_andn2_saveexec_b64 s[16:17], s[16:17]
	s_cbranch_execz .LBB595_314
; %bb.313:                              ;   in Loop: Header=BB595_3 Depth=1
	v_mul_f32_e32 v18, v17, v17
	v_fmaak_f32 v87, v17, v17, 0x43bd0000
	v_fmaak_f32 v87, v18, v87, 0x46875a00
	v_fmamk_f32 v88, v18, 0x41e00000, v38
	v_fmaak_f32 v87, v18, v87, 0x4803f7c0
	v_fmaak_f32 v88, v18, v88, 0x4773a200
	;; [unrolled: 1-line block ×3, first 2 shown]
	v_mul_f32_e32 v17, v17, v87
	v_div_scale_f32 v87, s[22:23], v18, v18, v17
	v_rcp_f32_e32 v88, v87
	s_nop 0
	v_fma_f32 v89, -v87, v88, 1.0
	v_fmac_f32_e32 v88, v89, v88
	v_div_scale_f32 v89, vcc, v17, v18, v17
	v_mul_f32_e32 v90, v89, v88
	v_fma_f32 v91, -v87, v90, v89
	v_fmac_f32_e32 v90, v91, v88
	v_fma_f32 v87, -v87, v90, v89
	v_div_fmas_f32 v87, v87, v88, v90
	v_div_fixup_f32 v17, v87, v18, v17
	v_med3_f32 v18, v17, -1.0, 1.0
.LBB595_314:                            ;   in Loop: Header=BB595_3 Depth=1
	s_or_b64 exec, exec, s[16:17]
	v_fmac_f32_e32 v16, v16, v18
	v_fma_mixlo_f16 v16, v16, s21, 0
	v_bfi_b32 v15, s18, v16, v15
.LBB595_315:                            ;   in Loop: Header=BB595_3 Depth=1
	s_or_b64 exec, exec, s[14:15]
	v_cvt_f32_f16_sdwa v87, v19 dst_sel:DWORD dst_unused:UNUSED_PAD src0_sel:WORD_1
                                        ; implicit-def: $vgpr88
	v_mul_f32_e32 v16, v87, v87
	v_mul_f32_e32 v17, v16, v87
	;; [unrolled: 1-line block ×3, first 2 shown]
	v_fmac_f32_e32 v16, 0x3d122279, v17
	v_cmp_ge_f32_e64 s[14:15], |v16|, s19
	s_and_saveexec_b64 s[16:17], s[14:15]
	s_xor_b64 s[14:15], exec, s[16:17]
	s_cbranch_execnz .LBB595_318
; %bb.316:                              ;   in Loop: Header=BB595_3 Depth=1
	s_andn2_saveexec_b64 s[14:15], s[14:15]
	s_cbranch_execnz .LBB595_319
.LBB595_317:                            ;   in Loop: Header=BB595_3 Depth=1
	s_or_b64 exec, exec, s[14:15]
	s_and_saveexec_b64 s[14:15], s[0:1]
	s_cbranch_execnz .LBB595_320
	s_branch .LBB595_325
.LBB595_318:                            ;   in Loop: Header=BB595_3 Depth=1
	v_bfi_b32 v88, s20, 1.0, v16
                                        ; implicit-def: $vgpr16
	s_andn2_saveexec_b64 s[14:15], s[14:15]
	s_cbranch_execz .LBB595_317
.LBB595_319:                            ;   in Loop: Header=BB595_3 Depth=1
	v_mul_f32_e32 v17, v16, v16
	v_fmaak_f32 v18, v16, v16, 0x43bd0000
	v_fmaak_f32 v18, v17, v18, 0x46875a00
	v_fmamk_f32 v19, v17, 0x41e00000, v38
	v_fmaak_f32 v18, v17, v18, 0x4803f7c0
	v_fmaak_f32 v19, v17, v19, 0x4773a200
	;; [unrolled: 1-line block ×3, first 2 shown]
	v_mul_f32_e32 v16, v16, v18
	v_div_scale_f32 v18, s[16:17], v17, v17, v16
	v_rcp_f32_e32 v19, v18
	s_nop 0
	v_fma_f32 v88, -v18, v19, 1.0
	v_fmac_f32_e32 v19, v88, v19
	v_div_scale_f32 v88, vcc, v16, v17, v16
	v_mul_f32_e32 v89, v88, v19
	v_fma_f32 v90, -v18, v89, v88
	v_fmac_f32_e32 v89, v90, v19
	v_fma_f32 v18, -v18, v89, v88
	v_div_fmas_f32 v18, v18, v19, v89
	v_div_fixup_f32 v16, v18, v17, v16
	v_med3_f32 v88, v16, -1.0, 1.0
	s_or_b64 exec, exec, s[14:15]
	s_and_saveexec_b64 s[14:15], s[0:1]
	s_cbranch_execz .LBB595_325
.LBB595_320:                            ;   in Loop: Header=BB595_3 Depth=1
	v_cvt_f32_f16_sdwa v16, v15 dst_sel:DWORD dst_unused:UNUSED_PAD src0_sel:WORD_1
	v_mul_f32_e32 v17, v16, v16
	v_mul_f32_e32 v18, v17, v16
	;; [unrolled: 1-line block ×3, first 2 shown]
	v_fmac_f32_e32 v17, 0x3d122279, v18
	v_cmp_ge_f32_e64 s[16:17], |v17|, s19
                                        ; implicit-def: $vgpr18
	s_and_saveexec_b64 s[22:23], s[16:17]
	s_xor_b64 s[16:17], exec, s[22:23]
; %bb.321:                              ;   in Loop: Header=BB595_3 Depth=1
	v_bfi_b32 v18, s20, 1.0, v17
                                        ; implicit-def: $vgpr17
; %bb.322:                              ;   in Loop: Header=BB595_3 Depth=1
	s_andn2_saveexec_b64 s[16:17], s[16:17]
	s_cbranch_execz .LBB595_324
; %bb.323:                              ;   in Loop: Header=BB595_3 Depth=1
	v_mul_f32_e32 v18, v17, v17
	v_fmaak_f32 v19, v17, v17, 0x43bd0000
	v_fmaak_f32 v19, v18, v19, 0x46875a00
	v_fmamk_f32 v89, v18, 0x41e00000, v38
	v_fmaak_f32 v19, v18, v19, 0x4803f7c0
	v_fmaak_f32 v89, v18, v89, 0x4773a200
	;; [unrolled: 1-line block ×3, first 2 shown]
	v_mul_f32_e32 v17, v17, v19
	v_div_scale_f32 v19, s[22:23], v18, v18, v17
	v_rcp_f32_e32 v89, v19
	s_nop 0
	v_fma_f32 v90, -v19, v89, 1.0
	v_fmac_f32_e32 v89, v90, v89
	v_div_scale_f32 v90, vcc, v17, v18, v17
	v_mul_f32_e32 v91, v90, v89
	v_fma_f32 v92, -v19, v91, v90
	v_fmac_f32_e32 v91, v92, v89
	v_fma_f32 v19, -v19, v91, v90
	v_div_fmas_f32 v19, v19, v89, v91
	v_div_fixup_f32 v17, v19, v18, v17
	v_med3_f32 v18, v17, -1.0, 1.0
.LBB595_324:                            ;   in Loop: Header=BB595_3 Depth=1
	s_or_b64 exec, exec, s[16:17]
	v_fmac_f32_e32 v16, v16, v18
	v_fma_mixhi_f16 v15, v16, s21, 0
.LBB595_325:                            ;   in Loop: Header=BB595_3 Depth=1
	s_or_b64 exec, exec, s[14:15]
	v_fmac_f32_e32 v40, v40, v41
	v_fmac_f32_e32 v49, v49, v50
	v_fmac_f32_e32 v61, v61, v62
	v_fmac_f32_e32 v64, v64, v65
	v_fmac_f32_e32 v73, v73, v74
	v_fmac_f32_e32 v77, v77, v78
	v_fmac_f32_e32 v81, v81, v82
	v_fmac_f32_e32 v85, v85, v86
	v_fmac_f32_e32 v36, v36, v37
	v_fma_mixlo_f16 v17, v40, s21, 0
	v_fmac_f32_e32 v43, v43, v44
	v_fmac_f32_e32 v30, v30, v45
	;; [unrolled: 1-line block ×4, first 2 shown]
	v_fma_mixlo_f16 v40, v49, s21, 0
	v_fmac_f32_e32 v24, v24, v51
	v_fmac_f32_e32 v52, v52, v53
	;; [unrolled: 1-line block ×4, first 2 shown]
	v_fma_mixlo_f16 v44, v61, s21, 0
	v_fmac_f32_e32 v20, v20, v63
	v_fma_mixlo_f16 v45, v64, s21, 0
	v_fmac_f32_e32 v21, v21, v66
	v_fmac_f32_e32 v67, v67, v68
	;; [unrolled: 1-line block ×3, first 2 shown]
	v_fma_mixlo_f16 v48, v73, s21, 0
	v_fmac_f32_e32 v75, v75, v76
	v_fma_mixlo_f16 v49, v77, s21, 0
	v_fmac_f32_e32 v79, v79, v80
	;; [unrolled: 2-line block ×5, first 2 shown]
	v_fmac_f32_e32 v29, v29, v42
	v_fma_mixlo_f16 v18, v43, s21, 0
	v_fma_mixlo_f16 v19, v46, s21, 0
	;; [unrolled: 1-line block ×3, first 2 shown]
	v_fmac_f32_e32 v25, v25, v54
	v_fma_mixlo_f16 v42, v55, s21, 0
	v_fmac_f32_e32 v26, v26, v57
	v_fma_mixlo_f16 v43, v58, s21, 0
	;; [unrolled: 2-line block ×4, first 2 shown]
	v_fmac_f32_e32 v23, v23, v72
	v_fma_mixhi_f16 v45, v21, s21, 0
	v_fma_mixhi_f16 v44, v20, s21, 0
	;; [unrolled: 1-line block ×6, first 2 shown]
	v_lshl_add_u64 v[20:21], s[4:5], 0, v[34:35]
	v_fma_mixhi_f16 v19, v31, s21, 0
	v_fma_mixhi_f16 v18, v30, s21, 0
	;; [unrolled: 1-line block ×10, first 2 shown]
	global_store_dwordx4 v[20:21], v[48:51], off offset:-16
	global_store_dwordx4 v[20:21], v[44:47], off offset:-32
	;; [unrolled: 1-line block ×4, first 2 shown]
	s_and_saveexec_b64 s[14:15], s[0:1]
	s_cbranch_execz .LBB595_2
; %bb.326:                              ;   in Loop: Header=BB595_3 Depth=1
	global_store_dwordx4 v[20:21], v[12:15], off offset:48
	global_store_dwordx4 v[20:21], v[8:11], off offset:32
	global_store_dwordx4 v[20:21], v[4:7], off offset:16
	global_store_dwordx4 v[20:21], v[0:3], off
	s_branch .LBB595_2
.LBB595_327:
	s_endpgm
	.section	.rodata,"a",@progbits
	.p2align	6, 0x0
	.amdhsa_kernel _ZN5aiter21activation_kernel_vecIDF16_TnPFfRKT_EXadL_ZNS_16gelu_fast_kernelIDF16_EEfS3_EELi32EEEvPS1_PS2_l
		.amdhsa_group_segment_fixed_size 0
		.amdhsa_private_segment_fixed_size 0
		.amdhsa_kernarg_size 280
		.amdhsa_user_sgpr_count 2
		.amdhsa_user_sgpr_dispatch_ptr 0
		.amdhsa_user_sgpr_queue_ptr 0
		.amdhsa_user_sgpr_kernarg_segment_ptr 1
		.amdhsa_user_sgpr_dispatch_id 0
		.amdhsa_user_sgpr_kernarg_preload_length 0
		.amdhsa_user_sgpr_kernarg_preload_offset 0
		.amdhsa_user_sgpr_private_segment_size 0
		.amdhsa_uses_dynamic_stack 0
		.amdhsa_enable_private_segment 0
		.amdhsa_system_sgpr_workgroup_id_x 1
		.amdhsa_system_sgpr_workgroup_id_y 0
		.amdhsa_system_sgpr_workgroup_id_z 0
		.amdhsa_system_sgpr_workgroup_info 0
		.amdhsa_system_vgpr_workitem_id 0
		.amdhsa_next_free_vgpr 93
		.amdhsa_next_free_sgpr 24
		.amdhsa_accum_offset 96
		.amdhsa_reserve_vcc 1
		.amdhsa_float_round_mode_32 0
		.amdhsa_float_round_mode_16_64 0
		.amdhsa_float_denorm_mode_32 3
		.amdhsa_float_denorm_mode_16_64 3
		.amdhsa_dx10_clamp 1
		.amdhsa_ieee_mode 1
		.amdhsa_fp16_overflow 0
		.amdhsa_tg_split 0
		.amdhsa_exception_fp_ieee_invalid_op 0
		.amdhsa_exception_fp_denorm_src 0
		.amdhsa_exception_fp_ieee_div_zero 0
		.amdhsa_exception_fp_ieee_overflow 0
		.amdhsa_exception_fp_ieee_underflow 0
		.amdhsa_exception_fp_ieee_inexact 0
		.amdhsa_exception_int_div_zero 0
	.end_amdhsa_kernel
	.section	.text._ZN5aiter21activation_kernel_vecIDF16_TnPFfRKT_EXadL_ZNS_16gelu_fast_kernelIDF16_EEfS3_EELi32EEEvPS1_PS2_l,"axG",@progbits,_ZN5aiter21activation_kernel_vecIDF16_TnPFfRKT_EXadL_ZNS_16gelu_fast_kernelIDF16_EEfS3_EELi32EEEvPS1_PS2_l,comdat
.Lfunc_end595:
	.size	_ZN5aiter21activation_kernel_vecIDF16_TnPFfRKT_EXadL_ZNS_16gelu_fast_kernelIDF16_EEfS3_EELi32EEEvPS1_PS2_l, .Lfunc_end595-_ZN5aiter21activation_kernel_vecIDF16_TnPFfRKT_EXadL_ZNS_16gelu_fast_kernelIDF16_EEfS3_EELi32EEEvPS1_PS2_l
                                        ; -- End function
	.section	.AMDGPU.csdata,"",@progbits
; Kernel info:
; codeLenInByte = 15736
; NumSgprs: 30
; NumVgprs: 93
; NumAgprs: 0
; TotalNumVgprs: 93
; ScratchSize: 0
; MemoryBound: 0
; FloatMode: 240
; IeeeMode: 1
; LDSByteSize: 0 bytes/workgroup (compile time only)
; SGPRBlocks: 3
; VGPRBlocks: 11
; NumSGPRsForWavesPerEU: 30
; NumVGPRsForWavesPerEU: 93
; AccumOffset: 96
; Occupancy: 5
; WaveLimiterHint : 0
; COMPUTE_PGM_RSRC2:SCRATCH_EN: 0
; COMPUTE_PGM_RSRC2:USER_SGPR: 2
; COMPUTE_PGM_RSRC2:TRAP_HANDLER: 0
; COMPUTE_PGM_RSRC2:TGID_X_EN: 1
; COMPUTE_PGM_RSRC2:TGID_Y_EN: 0
; COMPUTE_PGM_RSRC2:TGID_Z_EN: 0
; COMPUTE_PGM_RSRC2:TIDIG_COMP_CNT: 0
; COMPUTE_PGM_RSRC3_GFX90A:ACCUM_OFFSET: 23
; COMPUTE_PGM_RSRC3_GFX90A:TG_SPLIT: 0
	.section	.text._ZN5aiter21activation_kernel_vecIDF16_TnPFfRKT_EXadL_ZNS_16gelu_fast_kernelIDF16_EEfS3_EELi16EEEvPS1_PS2_l,"axG",@progbits,_ZN5aiter21activation_kernel_vecIDF16_TnPFfRKT_EXadL_ZNS_16gelu_fast_kernelIDF16_EEfS3_EELi16EEEvPS1_PS2_l,comdat
	.protected	_ZN5aiter21activation_kernel_vecIDF16_TnPFfRKT_EXadL_ZNS_16gelu_fast_kernelIDF16_EEfS3_EELi16EEEvPS1_PS2_l ; -- Begin function _ZN5aiter21activation_kernel_vecIDF16_TnPFfRKT_EXadL_ZNS_16gelu_fast_kernelIDF16_EEfS3_EELi16EEEvPS1_PS2_l
	.globl	_ZN5aiter21activation_kernel_vecIDF16_TnPFfRKT_EXadL_ZNS_16gelu_fast_kernelIDF16_EEfS3_EELi16EEEvPS1_PS2_l
	.p2align	8
	.type	_ZN5aiter21activation_kernel_vecIDF16_TnPFfRKT_EXadL_ZNS_16gelu_fast_kernelIDF16_EEfS3_EELi16EEEvPS1_PS2_l,@function
_ZN5aiter21activation_kernel_vecIDF16_TnPFfRKT_EXadL_ZNS_16gelu_fast_kernelIDF16_EEfS3_EELi16EEEvPS1_PS2_l: ; @_ZN5aiter21activation_kernel_vecIDF16_TnPFfRKT_EXadL_ZNS_16gelu_fast_kernelIDF16_EEfS3_EELi16EEEvPS1_PS2_l
; %bb.0:
	s_load_dword s3, s[0:1], 0x24
	s_load_dwordx2 s[8:9], s[0:1], 0x10
	s_add_u32 s10, s0, 24
	s_addc_u32 s11, s1, 0
	v_mov_b32_e32 v17, 0
	s_waitcnt lgkmcnt(0)
	s_and_b32 s12, s3, 0xffff
	s_mul_i32 s2, s2, s12
	v_add_lshl_u32 v16, s2, v0, 5
	s_mov_b32 s18, 0xffff
	v_cmp_gt_i64_e32 vcc, s[8:9], v[16:17]
	s_and_saveexec_b64 s[2:3], vcc
	s_cbranch_execz .LBB596_167
; %bb.1:
	s_load_dword s2, s[10:11], 0x0
	s_load_dwordx4 s[4:7], s[0:1], 0x0
	s_mov_b32 s3, 0
	v_lshl_add_u64 v[18:19], v[16:17], 1, 32
	s_mov_b64 s[10:11], 0
	s_waitcnt lgkmcnt(0)
	s_mul_i32 s2, s2, s12
	s_lshl_b32 s2, s2, 5
	s_lshl_b64 s[12:13], s[2:3], 1
	s_mov_b32 s19, 0x40733333
	s_brev_b32 s20, -2
                                        ; implicit-def: $vgpr0
                                        ; implicit-def: $vgpr0
	;; [unrolled: 1-line block ×3, first 2 shown]
	v_mov_b32_e32 v22, 0x4544e000
                                        ; implicit-def: $vgpr0
	s_mov_b32 s21, 0.5
                                        ; implicit-def: $vgpr0_vgpr1_vgpr2_vgpr3_vgpr4_vgpr5_vgpr6_vgpr7
	s_branch .LBB596_3
.LBB596_2:                              ;   in Loop: Header=BB596_3 Depth=1
	s_or_b64 exec, exec, s[14:15]
	v_lshl_add_u64 v[16:17], v[16:17], 0, s[2:3]
	v_cmp_le_i64_e32 vcc, s[8:9], v[16:17]
	s_or_b64 s[10:11], vcc, s[10:11]
	v_lshl_add_u64 v[18:19], v[18:19], 0, s[12:13]
	s_andn2_b64 exec, exec, s[10:11]
	s_cbranch_execz .LBB596_167
.LBB596_3:                              ; =>This Inner Loop Header: Depth=1
	v_lshl_add_u64 v[20:21], s[6:7], 0, v[18:19]
	global_load_dwordx4 v[8:11], v[20:21], off offset:-16
	global_load_dwordx4 v[12:15], v[20:21], off offset:-32
	v_lshl_add_u64 v[24:25], v[16:17], 0, 16
	v_cmp_gt_i64_e64 s[0:1], s[8:9], v[24:25]
	s_and_saveexec_b64 s[14:15], s[0:1]
	s_cbranch_execz .LBB596_5
; %bb.4:                                ;   in Loop: Header=BB596_3 Depth=1
	global_load_dwordx4 v[4:7], v[20:21], off offset:16
	global_load_dwordx4 v[0:3], v[20:21], off
.LBB596_5:                              ;   in Loop: Header=BB596_3 Depth=1
	s_or_b64 exec, exec, s[14:15]
	s_waitcnt vmcnt(0)
	v_cvt_f32_f16_e32 v20, v12
	v_mul_f32_e32 v21, v20, v20
	v_mul_f32_e32 v21, v21, v20
	;; [unrolled: 1-line block ×3, first 2 shown]
	v_fmac_f32_e32 v23, 0x3d122279, v21
	v_cmp_ge_f32_e64 s[14:15], |v23|, s19
                                        ; implicit-def: $vgpr21
	s_and_saveexec_b64 s[16:17], s[14:15]
	s_xor_b64 s[14:15], exec, s[16:17]
	s_cbranch_execnz .LBB596_8
; %bb.6:                                ;   in Loop: Header=BB596_3 Depth=1
	s_andn2_saveexec_b64 s[14:15], s[14:15]
	s_cbranch_execnz .LBB596_9
.LBB596_7:                              ;   in Loop: Header=BB596_3 Depth=1
	s_or_b64 exec, exec, s[14:15]
	s_and_saveexec_b64 s[14:15], s[0:1]
	s_cbranch_execnz .LBB596_10
	s_branch .LBB596_15
.LBB596_8:                              ;   in Loop: Header=BB596_3 Depth=1
	v_bfi_b32 v21, s20, 1.0, v23
                                        ; implicit-def: $vgpr23
	s_andn2_saveexec_b64 s[14:15], s[14:15]
	s_cbranch_execz .LBB596_7
.LBB596_9:                              ;   in Loop: Header=BB596_3 Depth=1
	v_mul_f32_e32 v21, v23, v23
	v_fmaak_f32 v24, v23, v23, 0x43bd0000
	v_fmaak_f32 v24, v21, v24, 0x46875a00
	v_fmamk_f32 v25, v21, 0x41e00000, v22
	v_fmaak_f32 v24, v21, v24, 0x4803f7c0
	v_fmaak_f32 v25, v21, v25, 0x4773a200
	;; [unrolled: 1-line block ×3, first 2 shown]
	v_mul_f32_e32 v23, v23, v24
	v_div_scale_f32 v24, s[16:17], v21, v21, v23
	v_rcp_f32_e32 v25, v24
	s_nop 0
	v_fma_f32 v26, -v24, v25, 1.0
	v_fmac_f32_e32 v25, v26, v25
	v_div_scale_f32 v26, vcc, v23, v21, v23
	v_mul_f32_e32 v27, v26, v25
	v_fma_f32 v28, -v24, v27, v26
	v_fmac_f32_e32 v27, v28, v25
	v_fma_f32 v24, -v24, v27, v26
	v_div_fmas_f32 v24, v24, v25, v27
	v_div_fixup_f32 v21, v24, v21, v23
	v_med3_f32 v21, v21, -1.0, 1.0
	s_or_b64 exec, exec, s[14:15]
	s_and_saveexec_b64 s[14:15], s[0:1]
	s_cbranch_execz .LBB596_15
.LBB596_10:                             ;   in Loop: Header=BB596_3 Depth=1
	v_cvt_f32_f16_e32 v23, v0
	v_mul_f32_e32 v24, v23, v23
	v_mul_f32_e32 v25, v24, v23
	;; [unrolled: 1-line block ×3, first 2 shown]
	v_fmac_f32_e32 v24, 0x3d122279, v25
	v_cmp_ge_f32_e64 s[16:17], |v24|, s19
                                        ; implicit-def: $vgpr25
	s_and_saveexec_b64 s[22:23], s[16:17]
	s_xor_b64 s[16:17], exec, s[22:23]
; %bb.11:                               ;   in Loop: Header=BB596_3 Depth=1
	v_bfi_b32 v25, s20, 1.0, v24
                                        ; implicit-def: $vgpr24
; %bb.12:                               ;   in Loop: Header=BB596_3 Depth=1
	s_andn2_saveexec_b64 s[16:17], s[16:17]
	s_cbranch_execz .LBB596_14
; %bb.13:                               ;   in Loop: Header=BB596_3 Depth=1
	v_mul_f32_e32 v25, v24, v24
	v_fmaak_f32 v26, v24, v24, 0x43bd0000
	v_fmaak_f32 v26, v25, v26, 0x46875a00
	v_fmamk_f32 v27, v25, 0x41e00000, v22
	v_fmaak_f32 v26, v25, v26, 0x4803f7c0
	v_fmaak_f32 v27, v25, v27, 0x4773a200
	;; [unrolled: 1-line block ×3, first 2 shown]
	v_mul_f32_e32 v24, v24, v26
	v_div_scale_f32 v26, s[22:23], v25, v25, v24
	v_rcp_f32_e32 v27, v26
	s_nop 0
	v_fma_f32 v28, -v26, v27, 1.0
	v_fmac_f32_e32 v27, v28, v27
	v_div_scale_f32 v28, vcc, v24, v25, v24
	v_mul_f32_e32 v29, v28, v27
	v_fma_f32 v30, -v26, v29, v28
	v_fmac_f32_e32 v29, v30, v27
	v_fma_f32 v26, -v26, v29, v28
	v_div_fmas_f32 v26, v26, v27, v29
	v_div_fixup_f32 v24, v26, v25, v24
	v_med3_f32 v25, v24, -1.0, 1.0
.LBB596_14:                             ;   in Loop: Header=BB596_3 Depth=1
	s_or_b64 exec, exec, s[16:17]
	v_fmac_f32_e32 v23, v23, v25
	v_fma_mixlo_f16 v23, v23, s21, 0
	v_bfi_b32 v0, s18, v23, v0
.LBB596_15:                             ;   in Loop: Header=BB596_3 Depth=1
	s_or_b64 exec, exec, s[14:15]
	v_cvt_f32_f16_sdwa v12, v12 dst_sel:DWORD dst_unused:UNUSED_PAD src0_sel:WORD_1
	v_mul_f32_e32 v23, v12, v12
	v_mul_f32_e32 v23, v23, v12
	;; [unrolled: 1-line block ×3, first 2 shown]
	v_fmac_f32_e32 v24, 0x3d122279, v23
	v_cmp_ge_f32_e64 s[14:15], |v24|, s19
                                        ; implicit-def: $vgpr23
	s_and_saveexec_b64 s[16:17], s[14:15]
	s_xor_b64 s[14:15], exec, s[16:17]
	s_cbranch_execnz .LBB596_18
; %bb.16:                               ;   in Loop: Header=BB596_3 Depth=1
	s_andn2_saveexec_b64 s[14:15], s[14:15]
	s_cbranch_execnz .LBB596_19
.LBB596_17:                             ;   in Loop: Header=BB596_3 Depth=1
	s_or_b64 exec, exec, s[14:15]
	s_and_saveexec_b64 s[14:15], s[0:1]
	s_cbranch_execnz .LBB596_20
	s_branch .LBB596_25
.LBB596_18:                             ;   in Loop: Header=BB596_3 Depth=1
	v_bfi_b32 v23, s20, 1.0, v24
                                        ; implicit-def: $vgpr24
	s_andn2_saveexec_b64 s[14:15], s[14:15]
	s_cbranch_execz .LBB596_17
.LBB596_19:                             ;   in Loop: Header=BB596_3 Depth=1
	v_mul_f32_e32 v23, v24, v24
	v_fmaak_f32 v25, v24, v24, 0x43bd0000
	v_fmaak_f32 v25, v23, v25, 0x46875a00
	v_fmamk_f32 v26, v23, 0x41e00000, v22
	v_fmaak_f32 v25, v23, v25, 0x4803f7c0
	v_fmaak_f32 v26, v23, v26, 0x4773a200
	;; [unrolled: 1-line block ×3, first 2 shown]
	v_mul_f32_e32 v24, v24, v25
	v_div_scale_f32 v25, s[16:17], v23, v23, v24
	v_rcp_f32_e32 v26, v25
	s_nop 0
	v_fma_f32 v27, -v25, v26, 1.0
	v_fmac_f32_e32 v26, v27, v26
	v_div_scale_f32 v27, vcc, v24, v23, v24
	v_mul_f32_e32 v28, v27, v26
	v_fma_f32 v29, -v25, v28, v27
	v_fmac_f32_e32 v28, v29, v26
	v_fma_f32 v25, -v25, v28, v27
	v_div_fmas_f32 v25, v25, v26, v28
	v_div_fixup_f32 v23, v25, v23, v24
	v_med3_f32 v23, v23, -1.0, 1.0
	s_or_b64 exec, exec, s[14:15]
	s_and_saveexec_b64 s[14:15], s[0:1]
	s_cbranch_execz .LBB596_25
.LBB596_20:                             ;   in Loop: Header=BB596_3 Depth=1
	v_cvt_f32_f16_sdwa v24, v0 dst_sel:DWORD dst_unused:UNUSED_PAD src0_sel:WORD_1
	v_mul_f32_e32 v25, v24, v24
	v_mul_f32_e32 v26, v25, v24
	;; [unrolled: 1-line block ×3, first 2 shown]
	v_fmac_f32_e32 v25, 0x3d122279, v26
	v_cmp_ge_f32_e64 s[16:17], |v25|, s19
                                        ; implicit-def: $vgpr26
	s_and_saveexec_b64 s[22:23], s[16:17]
	s_xor_b64 s[16:17], exec, s[22:23]
; %bb.21:                               ;   in Loop: Header=BB596_3 Depth=1
	v_bfi_b32 v26, s20, 1.0, v25
                                        ; implicit-def: $vgpr25
; %bb.22:                               ;   in Loop: Header=BB596_3 Depth=1
	s_andn2_saveexec_b64 s[16:17], s[16:17]
	s_cbranch_execz .LBB596_24
; %bb.23:                               ;   in Loop: Header=BB596_3 Depth=1
	v_mul_f32_e32 v26, v25, v25
	v_fmaak_f32 v27, v25, v25, 0x43bd0000
	v_fmaak_f32 v27, v26, v27, 0x46875a00
	v_fmamk_f32 v28, v26, 0x41e00000, v22
	v_fmaak_f32 v27, v26, v27, 0x4803f7c0
	v_fmaak_f32 v28, v26, v28, 0x4773a200
	;; [unrolled: 1-line block ×3, first 2 shown]
	v_mul_f32_e32 v25, v25, v27
	v_div_scale_f32 v27, s[22:23], v26, v26, v25
	v_rcp_f32_e32 v28, v27
	s_nop 0
	v_fma_f32 v29, -v27, v28, 1.0
	v_fmac_f32_e32 v28, v29, v28
	v_div_scale_f32 v29, vcc, v25, v26, v25
	v_mul_f32_e32 v30, v29, v28
	v_fma_f32 v31, -v27, v30, v29
	v_fmac_f32_e32 v30, v31, v28
	v_fma_f32 v27, -v27, v30, v29
	v_div_fmas_f32 v27, v27, v28, v30
	v_div_fixup_f32 v25, v27, v26, v25
	v_med3_f32 v26, v25, -1.0, 1.0
.LBB596_24:                             ;   in Loop: Header=BB596_3 Depth=1
	s_or_b64 exec, exec, s[16:17]
	v_fmac_f32_e32 v24, v24, v26
	v_fma_mixhi_f16 v0, v24, s21, 0
.LBB596_25:                             ;   in Loop: Header=BB596_3 Depth=1
	s_or_b64 exec, exec, s[14:15]
	v_cvt_f32_f16_e32 v24, v13
	v_mul_f32_e32 v25, v24, v24
	v_mul_f32_e32 v25, v25, v24
	;; [unrolled: 1-line block ×3, first 2 shown]
	v_fmac_f32_e32 v26, 0x3d122279, v25
	v_cmp_ge_f32_e64 s[14:15], |v26|, s19
                                        ; implicit-def: $vgpr25
	s_and_saveexec_b64 s[16:17], s[14:15]
	s_xor_b64 s[14:15], exec, s[16:17]
	s_cbranch_execnz .LBB596_28
; %bb.26:                               ;   in Loop: Header=BB596_3 Depth=1
	s_andn2_saveexec_b64 s[14:15], s[14:15]
	s_cbranch_execnz .LBB596_29
.LBB596_27:                             ;   in Loop: Header=BB596_3 Depth=1
	s_or_b64 exec, exec, s[14:15]
	s_and_saveexec_b64 s[14:15], s[0:1]
	s_cbranch_execnz .LBB596_30
	s_branch .LBB596_35
.LBB596_28:                             ;   in Loop: Header=BB596_3 Depth=1
	v_bfi_b32 v25, s20, 1.0, v26
                                        ; implicit-def: $vgpr26
	s_andn2_saveexec_b64 s[14:15], s[14:15]
	s_cbranch_execz .LBB596_27
.LBB596_29:                             ;   in Loop: Header=BB596_3 Depth=1
	v_mul_f32_e32 v25, v26, v26
	v_fmaak_f32 v27, v26, v26, 0x43bd0000
	v_fmaak_f32 v27, v25, v27, 0x46875a00
	v_fmamk_f32 v28, v25, 0x41e00000, v22
	v_fmaak_f32 v27, v25, v27, 0x4803f7c0
	v_fmaak_f32 v28, v25, v28, 0x4773a200
	;; [unrolled: 1-line block ×3, first 2 shown]
	v_mul_f32_e32 v26, v26, v27
	v_div_scale_f32 v27, s[16:17], v25, v25, v26
	v_rcp_f32_e32 v28, v27
	s_nop 0
	v_fma_f32 v29, -v27, v28, 1.0
	v_fmac_f32_e32 v28, v29, v28
	v_div_scale_f32 v29, vcc, v26, v25, v26
	v_mul_f32_e32 v30, v29, v28
	v_fma_f32 v31, -v27, v30, v29
	v_fmac_f32_e32 v30, v31, v28
	v_fma_f32 v27, -v27, v30, v29
	v_div_fmas_f32 v27, v27, v28, v30
	v_div_fixup_f32 v25, v27, v25, v26
	v_med3_f32 v25, v25, -1.0, 1.0
	s_or_b64 exec, exec, s[14:15]
	s_and_saveexec_b64 s[14:15], s[0:1]
	s_cbranch_execz .LBB596_35
.LBB596_30:                             ;   in Loop: Header=BB596_3 Depth=1
	v_cvt_f32_f16_e32 v26, v1
	v_mul_f32_e32 v27, v26, v26
	v_mul_f32_e32 v28, v27, v26
	;; [unrolled: 1-line block ×3, first 2 shown]
	v_fmac_f32_e32 v27, 0x3d122279, v28
	v_cmp_ge_f32_e64 s[16:17], |v27|, s19
                                        ; implicit-def: $vgpr28
	s_and_saveexec_b64 s[22:23], s[16:17]
	s_xor_b64 s[16:17], exec, s[22:23]
; %bb.31:                               ;   in Loop: Header=BB596_3 Depth=1
	v_bfi_b32 v28, s20, 1.0, v27
                                        ; implicit-def: $vgpr27
; %bb.32:                               ;   in Loop: Header=BB596_3 Depth=1
	s_andn2_saveexec_b64 s[16:17], s[16:17]
	s_cbranch_execz .LBB596_34
; %bb.33:                               ;   in Loop: Header=BB596_3 Depth=1
	v_mul_f32_e32 v28, v27, v27
	v_fmaak_f32 v29, v27, v27, 0x43bd0000
	v_fmaak_f32 v29, v28, v29, 0x46875a00
	v_fmamk_f32 v30, v28, 0x41e00000, v22
	v_fmaak_f32 v29, v28, v29, 0x4803f7c0
	v_fmaak_f32 v30, v28, v30, 0x4773a200
	;; [unrolled: 1-line block ×3, first 2 shown]
	v_mul_f32_e32 v27, v27, v29
	v_div_scale_f32 v29, s[22:23], v28, v28, v27
	v_rcp_f32_e32 v30, v29
	s_nop 0
	v_fma_f32 v31, -v29, v30, 1.0
	v_fmac_f32_e32 v30, v31, v30
	v_div_scale_f32 v31, vcc, v27, v28, v27
	v_mul_f32_e32 v32, v31, v30
	v_fma_f32 v33, -v29, v32, v31
	v_fmac_f32_e32 v32, v33, v30
	v_fma_f32 v29, -v29, v32, v31
	v_div_fmas_f32 v29, v29, v30, v32
	v_div_fixup_f32 v27, v29, v28, v27
	v_med3_f32 v28, v27, -1.0, 1.0
.LBB596_34:                             ;   in Loop: Header=BB596_3 Depth=1
	s_or_b64 exec, exec, s[16:17]
	v_fmac_f32_e32 v26, v26, v28
	v_fma_mixlo_f16 v26, v26, s21, 0
	v_bfi_b32 v1, s18, v26, v1
.LBB596_35:                             ;   in Loop: Header=BB596_3 Depth=1
	s_or_b64 exec, exec, s[14:15]
	v_cvt_f32_f16_sdwa v13, v13 dst_sel:DWORD dst_unused:UNUSED_PAD src0_sel:WORD_1
	v_mul_f32_e32 v26, v13, v13
	v_mul_f32_e32 v26, v26, v13
	;; [unrolled: 1-line block ×3, first 2 shown]
	v_fmac_f32_e32 v27, 0x3d122279, v26
	v_cmp_ge_f32_e64 s[14:15], |v27|, s19
                                        ; implicit-def: $vgpr26
	s_and_saveexec_b64 s[16:17], s[14:15]
	s_xor_b64 s[14:15], exec, s[16:17]
	s_cbranch_execnz .LBB596_38
; %bb.36:                               ;   in Loop: Header=BB596_3 Depth=1
	s_andn2_saveexec_b64 s[14:15], s[14:15]
	s_cbranch_execnz .LBB596_39
.LBB596_37:                             ;   in Loop: Header=BB596_3 Depth=1
	s_or_b64 exec, exec, s[14:15]
	s_and_saveexec_b64 s[14:15], s[0:1]
	s_cbranch_execnz .LBB596_40
	s_branch .LBB596_45
.LBB596_38:                             ;   in Loop: Header=BB596_3 Depth=1
	v_bfi_b32 v26, s20, 1.0, v27
                                        ; implicit-def: $vgpr27
	s_andn2_saveexec_b64 s[14:15], s[14:15]
	s_cbranch_execz .LBB596_37
.LBB596_39:                             ;   in Loop: Header=BB596_3 Depth=1
	v_mul_f32_e32 v26, v27, v27
	v_fmaak_f32 v28, v27, v27, 0x43bd0000
	v_fmaak_f32 v28, v26, v28, 0x46875a00
	v_fmamk_f32 v29, v26, 0x41e00000, v22
	v_fmaak_f32 v28, v26, v28, 0x4803f7c0
	v_fmaak_f32 v29, v26, v29, 0x4773a200
	;; [unrolled: 1-line block ×3, first 2 shown]
	v_mul_f32_e32 v27, v27, v28
	v_div_scale_f32 v28, s[16:17], v26, v26, v27
	v_rcp_f32_e32 v29, v28
	s_nop 0
	v_fma_f32 v30, -v28, v29, 1.0
	v_fmac_f32_e32 v29, v30, v29
	v_div_scale_f32 v30, vcc, v27, v26, v27
	v_mul_f32_e32 v31, v30, v29
	v_fma_f32 v32, -v28, v31, v30
	v_fmac_f32_e32 v31, v32, v29
	v_fma_f32 v28, -v28, v31, v30
	v_div_fmas_f32 v28, v28, v29, v31
	v_div_fixup_f32 v26, v28, v26, v27
	v_med3_f32 v26, v26, -1.0, 1.0
	s_or_b64 exec, exec, s[14:15]
	s_and_saveexec_b64 s[14:15], s[0:1]
	s_cbranch_execz .LBB596_45
.LBB596_40:                             ;   in Loop: Header=BB596_3 Depth=1
	v_cvt_f32_f16_sdwa v27, v1 dst_sel:DWORD dst_unused:UNUSED_PAD src0_sel:WORD_1
	v_mul_f32_e32 v28, v27, v27
	v_mul_f32_e32 v29, v28, v27
	;; [unrolled: 1-line block ×3, first 2 shown]
	v_fmac_f32_e32 v28, 0x3d122279, v29
	v_cmp_ge_f32_e64 s[16:17], |v28|, s19
                                        ; implicit-def: $vgpr29
	s_and_saveexec_b64 s[22:23], s[16:17]
	s_xor_b64 s[16:17], exec, s[22:23]
; %bb.41:                               ;   in Loop: Header=BB596_3 Depth=1
	v_bfi_b32 v29, s20, 1.0, v28
                                        ; implicit-def: $vgpr28
; %bb.42:                               ;   in Loop: Header=BB596_3 Depth=1
	s_andn2_saveexec_b64 s[16:17], s[16:17]
	s_cbranch_execz .LBB596_44
; %bb.43:                               ;   in Loop: Header=BB596_3 Depth=1
	v_mul_f32_e32 v29, v28, v28
	v_fmaak_f32 v30, v28, v28, 0x43bd0000
	v_fmaak_f32 v30, v29, v30, 0x46875a00
	v_fmamk_f32 v31, v29, 0x41e00000, v22
	v_fmaak_f32 v30, v29, v30, 0x4803f7c0
	v_fmaak_f32 v31, v29, v31, 0x4773a200
	;; [unrolled: 1-line block ×3, first 2 shown]
	v_mul_f32_e32 v28, v28, v30
	v_div_scale_f32 v30, s[22:23], v29, v29, v28
	v_rcp_f32_e32 v31, v30
	s_nop 0
	v_fma_f32 v32, -v30, v31, 1.0
	v_fmac_f32_e32 v31, v32, v31
	v_div_scale_f32 v32, vcc, v28, v29, v28
	v_mul_f32_e32 v33, v32, v31
	v_fma_f32 v34, -v30, v33, v32
	v_fmac_f32_e32 v33, v34, v31
	v_fma_f32 v30, -v30, v33, v32
	v_div_fmas_f32 v30, v30, v31, v33
	v_div_fixup_f32 v28, v30, v29, v28
	v_med3_f32 v29, v28, -1.0, 1.0
.LBB596_44:                             ;   in Loop: Header=BB596_3 Depth=1
	s_or_b64 exec, exec, s[16:17]
	v_fmac_f32_e32 v27, v27, v29
	v_fma_mixhi_f16 v1, v27, s21, 0
.LBB596_45:                             ;   in Loop: Header=BB596_3 Depth=1
	s_or_b64 exec, exec, s[14:15]
	v_cvt_f32_f16_e32 v27, v14
	v_mul_f32_e32 v28, v27, v27
	v_mul_f32_e32 v28, v28, v27
	;; [unrolled: 1-line block ×3, first 2 shown]
	v_fmac_f32_e32 v29, 0x3d122279, v28
	v_cmp_ge_f32_e64 s[14:15], |v29|, s19
                                        ; implicit-def: $vgpr28
	s_and_saveexec_b64 s[16:17], s[14:15]
	s_xor_b64 s[14:15], exec, s[16:17]
	s_cbranch_execnz .LBB596_48
; %bb.46:                               ;   in Loop: Header=BB596_3 Depth=1
	s_andn2_saveexec_b64 s[14:15], s[14:15]
	s_cbranch_execnz .LBB596_49
.LBB596_47:                             ;   in Loop: Header=BB596_3 Depth=1
	s_or_b64 exec, exec, s[14:15]
	s_and_saveexec_b64 s[14:15], s[0:1]
	s_cbranch_execnz .LBB596_50
	s_branch .LBB596_55
.LBB596_48:                             ;   in Loop: Header=BB596_3 Depth=1
	v_bfi_b32 v28, s20, 1.0, v29
                                        ; implicit-def: $vgpr29
	s_andn2_saveexec_b64 s[14:15], s[14:15]
	s_cbranch_execz .LBB596_47
.LBB596_49:                             ;   in Loop: Header=BB596_3 Depth=1
	v_mul_f32_e32 v28, v29, v29
	v_fmaak_f32 v30, v29, v29, 0x43bd0000
	v_fmaak_f32 v30, v28, v30, 0x46875a00
	v_fmamk_f32 v31, v28, 0x41e00000, v22
	v_fmaak_f32 v30, v28, v30, 0x4803f7c0
	v_fmaak_f32 v31, v28, v31, 0x4773a200
	;; [unrolled: 1-line block ×3, first 2 shown]
	v_mul_f32_e32 v29, v29, v30
	v_div_scale_f32 v30, s[16:17], v28, v28, v29
	v_rcp_f32_e32 v31, v30
	s_nop 0
	v_fma_f32 v32, -v30, v31, 1.0
	v_fmac_f32_e32 v31, v32, v31
	v_div_scale_f32 v32, vcc, v29, v28, v29
	v_mul_f32_e32 v33, v32, v31
	v_fma_f32 v34, -v30, v33, v32
	v_fmac_f32_e32 v33, v34, v31
	v_fma_f32 v30, -v30, v33, v32
	v_div_fmas_f32 v30, v30, v31, v33
	v_div_fixup_f32 v28, v30, v28, v29
	v_med3_f32 v28, v28, -1.0, 1.0
	s_or_b64 exec, exec, s[14:15]
	s_and_saveexec_b64 s[14:15], s[0:1]
	s_cbranch_execz .LBB596_55
.LBB596_50:                             ;   in Loop: Header=BB596_3 Depth=1
	v_cvt_f32_f16_e32 v29, v2
	v_mul_f32_e32 v30, v29, v29
	v_mul_f32_e32 v31, v30, v29
	v_mul_f32_e32 v30, 0x3f4c422a, v29
	v_fmac_f32_e32 v30, 0x3d122279, v31
	v_cmp_ge_f32_e64 s[16:17], |v30|, s19
                                        ; implicit-def: $vgpr31
	s_and_saveexec_b64 s[22:23], s[16:17]
	s_xor_b64 s[16:17], exec, s[22:23]
; %bb.51:                               ;   in Loop: Header=BB596_3 Depth=1
	v_bfi_b32 v31, s20, 1.0, v30
                                        ; implicit-def: $vgpr30
; %bb.52:                               ;   in Loop: Header=BB596_3 Depth=1
	s_andn2_saveexec_b64 s[16:17], s[16:17]
	s_cbranch_execz .LBB596_54
; %bb.53:                               ;   in Loop: Header=BB596_3 Depth=1
	v_mul_f32_e32 v31, v30, v30
	v_fmaak_f32 v32, v30, v30, 0x43bd0000
	v_fmaak_f32 v32, v31, v32, 0x46875a00
	v_fmamk_f32 v33, v31, 0x41e00000, v22
	v_fmaak_f32 v32, v31, v32, 0x4803f7c0
	v_fmaak_f32 v33, v31, v33, 0x4773a200
	;; [unrolled: 1-line block ×3, first 2 shown]
	v_mul_f32_e32 v30, v30, v32
	v_div_scale_f32 v32, s[22:23], v31, v31, v30
	v_rcp_f32_e32 v33, v32
	s_nop 0
	v_fma_f32 v34, -v32, v33, 1.0
	v_fmac_f32_e32 v33, v34, v33
	v_div_scale_f32 v34, vcc, v30, v31, v30
	v_mul_f32_e32 v35, v34, v33
	v_fma_f32 v36, -v32, v35, v34
	v_fmac_f32_e32 v35, v36, v33
	v_fma_f32 v32, -v32, v35, v34
	v_div_fmas_f32 v32, v32, v33, v35
	v_div_fixup_f32 v30, v32, v31, v30
	v_med3_f32 v31, v30, -1.0, 1.0
.LBB596_54:                             ;   in Loop: Header=BB596_3 Depth=1
	s_or_b64 exec, exec, s[16:17]
	v_fmac_f32_e32 v29, v29, v31
	v_fma_mixlo_f16 v29, v29, s21, 0
	v_bfi_b32 v2, s18, v29, v2
.LBB596_55:                             ;   in Loop: Header=BB596_3 Depth=1
	s_or_b64 exec, exec, s[14:15]
	v_cvt_f32_f16_sdwa v14, v14 dst_sel:DWORD dst_unused:UNUSED_PAD src0_sel:WORD_1
	v_mul_f32_e32 v29, v14, v14
	v_mul_f32_e32 v29, v29, v14
	;; [unrolled: 1-line block ×3, first 2 shown]
	v_fmac_f32_e32 v30, 0x3d122279, v29
	v_cmp_ge_f32_e64 s[14:15], |v30|, s19
                                        ; implicit-def: $vgpr29
	s_and_saveexec_b64 s[16:17], s[14:15]
	s_xor_b64 s[14:15], exec, s[16:17]
	s_cbranch_execnz .LBB596_58
; %bb.56:                               ;   in Loop: Header=BB596_3 Depth=1
	s_andn2_saveexec_b64 s[14:15], s[14:15]
	s_cbranch_execnz .LBB596_59
.LBB596_57:                             ;   in Loop: Header=BB596_3 Depth=1
	s_or_b64 exec, exec, s[14:15]
	s_and_saveexec_b64 s[14:15], s[0:1]
	s_cbranch_execnz .LBB596_60
	s_branch .LBB596_65
.LBB596_58:                             ;   in Loop: Header=BB596_3 Depth=1
	v_bfi_b32 v29, s20, 1.0, v30
                                        ; implicit-def: $vgpr30
	s_andn2_saveexec_b64 s[14:15], s[14:15]
	s_cbranch_execz .LBB596_57
.LBB596_59:                             ;   in Loop: Header=BB596_3 Depth=1
	v_mul_f32_e32 v29, v30, v30
	v_fmaak_f32 v31, v30, v30, 0x43bd0000
	v_fmaak_f32 v31, v29, v31, 0x46875a00
	v_fmamk_f32 v32, v29, 0x41e00000, v22
	v_fmaak_f32 v31, v29, v31, 0x4803f7c0
	v_fmaak_f32 v32, v29, v32, 0x4773a200
	;; [unrolled: 1-line block ×3, first 2 shown]
	v_mul_f32_e32 v30, v30, v31
	v_div_scale_f32 v31, s[16:17], v29, v29, v30
	v_rcp_f32_e32 v32, v31
	s_nop 0
	v_fma_f32 v33, -v31, v32, 1.0
	v_fmac_f32_e32 v32, v33, v32
	v_div_scale_f32 v33, vcc, v30, v29, v30
	v_mul_f32_e32 v34, v33, v32
	v_fma_f32 v35, -v31, v34, v33
	v_fmac_f32_e32 v34, v35, v32
	v_fma_f32 v31, -v31, v34, v33
	v_div_fmas_f32 v31, v31, v32, v34
	v_div_fixup_f32 v29, v31, v29, v30
	v_med3_f32 v29, v29, -1.0, 1.0
	s_or_b64 exec, exec, s[14:15]
	s_and_saveexec_b64 s[14:15], s[0:1]
	s_cbranch_execz .LBB596_65
.LBB596_60:                             ;   in Loop: Header=BB596_3 Depth=1
	v_cvt_f32_f16_sdwa v30, v2 dst_sel:DWORD dst_unused:UNUSED_PAD src0_sel:WORD_1
	v_mul_f32_e32 v31, v30, v30
	v_mul_f32_e32 v32, v31, v30
	;; [unrolled: 1-line block ×3, first 2 shown]
	v_fmac_f32_e32 v31, 0x3d122279, v32
	v_cmp_ge_f32_e64 s[16:17], |v31|, s19
                                        ; implicit-def: $vgpr32
	s_and_saveexec_b64 s[22:23], s[16:17]
	s_xor_b64 s[16:17], exec, s[22:23]
; %bb.61:                               ;   in Loop: Header=BB596_3 Depth=1
	v_bfi_b32 v32, s20, 1.0, v31
                                        ; implicit-def: $vgpr31
; %bb.62:                               ;   in Loop: Header=BB596_3 Depth=1
	s_andn2_saveexec_b64 s[16:17], s[16:17]
	s_cbranch_execz .LBB596_64
; %bb.63:                               ;   in Loop: Header=BB596_3 Depth=1
	v_mul_f32_e32 v32, v31, v31
	v_fmaak_f32 v33, v31, v31, 0x43bd0000
	v_fmaak_f32 v33, v32, v33, 0x46875a00
	v_fmamk_f32 v34, v32, 0x41e00000, v22
	v_fmaak_f32 v33, v32, v33, 0x4803f7c0
	v_fmaak_f32 v34, v32, v34, 0x4773a200
	;; [unrolled: 1-line block ×3, first 2 shown]
	v_mul_f32_e32 v31, v31, v33
	v_div_scale_f32 v33, s[22:23], v32, v32, v31
	v_rcp_f32_e32 v34, v33
	s_nop 0
	v_fma_f32 v35, -v33, v34, 1.0
	v_fmac_f32_e32 v34, v35, v34
	v_div_scale_f32 v35, vcc, v31, v32, v31
	v_mul_f32_e32 v36, v35, v34
	v_fma_f32 v37, -v33, v36, v35
	v_fmac_f32_e32 v36, v37, v34
	v_fma_f32 v33, -v33, v36, v35
	v_div_fmas_f32 v33, v33, v34, v36
	v_div_fixup_f32 v31, v33, v32, v31
	v_med3_f32 v32, v31, -1.0, 1.0
.LBB596_64:                             ;   in Loop: Header=BB596_3 Depth=1
	s_or_b64 exec, exec, s[16:17]
	v_fmac_f32_e32 v30, v30, v32
	v_fma_mixhi_f16 v2, v30, s21, 0
.LBB596_65:                             ;   in Loop: Header=BB596_3 Depth=1
	s_or_b64 exec, exec, s[14:15]
	v_cvt_f32_f16_e32 v30, v15
	v_mul_f32_e32 v31, v30, v30
	v_mul_f32_e32 v31, v31, v30
	;; [unrolled: 1-line block ×3, first 2 shown]
	v_fmac_f32_e32 v32, 0x3d122279, v31
	v_cmp_ge_f32_e64 s[14:15], |v32|, s19
                                        ; implicit-def: $vgpr31
	s_and_saveexec_b64 s[16:17], s[14:15]
	s_xor_b64 s[14:15], exec, s[16:17]
	s_cbranch_execnz .LBB596_68
; %bb.66:                               ;   in Loop: Header=BB596_3 Depth=1
	s_andn2_saveexec_b64 s[14:15], s[14:15]
	s_cbranch_execnz .LBB596_69
.LBB596_67:                             ;   in Loop: Header=BB596_3 Depth=1
	s_or_b64 exec, exec, s[14:15]
	s_and_saveexec_b64 s[14:15], s[0:1]
	s_cbranch_execnz .LBB596_70
	s_branch .LBB596_75
.LBB596_68:                             ;   in Loop: Header=BB596_3 Depth=1
	v_bfi_b32 v31, s20, 1.0, v32
                                        ; implicit-def: $vgpr32
	s_andn2_saveexec_b64 s[14:15], s[14:15]
	s_cbranch_execz .LBB596_67
.LBB596_69:                             ;   in Loop: Header=BB596_3 Depth=1
	v_mul_f32_e32 v31, v32, v32
	v_fmaak_f32 v33, v32, v32, 0x43bd0000
	v_fmaak_f32 v33, v31, v33, 0x46875a00
	v_fmamk_f32 v34, v31, 0x41e00000, v22
	v_fmaak_f32 v33, v31, v33, 0x4803f7c0
	v_fmaak_f32 v34, v31, v34, 0x4773a200
	;; [unrolled: 1-line block ×3, first 2 shown]
	v_mul_f32_e32 v32, v32, v33
	v_div_scale_f32 v33, s[16:17], v31, v31, v32
	v_rcp_f32_e32 v34, v33
	s_nop 0
	v_fma_f32 v35, -v33, v34, 1.0
	v_fmac_f32_e32 v34, v35, v34
	v_div_scale_f32 v35, vcc, v32, v31, v32
	v_mul_f32_e32 v36, v35, v34
	v_fma_f32 v37, -v33, v36, v35
	v_fmac_f32_e32 v36, v37, v34
	v_fma_f32 v33, -v33, v36, v35
	v_div_fmas_f32 v33, v33, v34, v36
	v_div_fixup_f32 v31, v33, v31, v32
	v_med3_f32 v31, v31, -1.0, 1.0
	s_or_b64 exec, exec, s[14:15]
	s_and_saveexec_b64 s[14:15], s[0:1]
	s_cbranch_execz .LBB596_75
.LBB596_70:                             ;   in Loop: Header=BB596_3 Depth=1
	v_cvt_f32_f16_e32 v32, v3
	v_mul_f32_e32 v33, v32, v32
	v_mul_f32_e32 v34, v33, v32
	;; [unrolled: 1-line block ×3, first 2 shown]
	v_fmac_f32_e32 v33, 0x3d122279, v34
	v_cmp_ge_f32_e64 s[16:17], |v33|, s19
                                        ; implicit-def: $vgpr34
	s_and_saveexec_b64 s[22:23], s[16:17]
	s_xor_b64 s[16:17], exec, s[22:23]
; %bb.71:                               ;   in Loop: Header=BB596_3 Depth=1
	v_bfi_b32 v34, s20, 1.0, v33
                                        ; implicit-def: $vgpr33
; %bb.72:                               ;   in Loop: Header=BB596_3 Depth=1
	s_andn2_saveexec_b64 s[16:17], s[16:17]
	s_cbranch_execz .LBB596_74
; %bb.73:                               ;   in Loop: Header=BB596_3 Depth=1
	v_mul_f32_e32 v34, v33, v33
	v_fmaak_f32 v35, v33, v33, 0x43bd0000
	v_fmaak_f32 v35, v34, v35, 0x46875a00
	v_fmamk_f32 v36, v34, 0x41e00000, v22
	v_fmaak_f32 v35, v34, v35, 0x4803f7c0
	v_fmaak_f32 v36, v34, v36, 0x4773a200
	;; [unrolled: 1-line block ×3, first 2 shown]
	v_mul_f32_e32 v33, v33, v35
	v_div_scale_f32 v35, s[22:23], v34, v34, v33
	v_rcp_f32_e32 v36, v35
	s_nop 0
	v_fma_f32 v37, -v35, v36, 1.0
	v_fmac_f32_e32 v36, v37, v36
	v_div_scale_f32 v37, vcc, v33, v34, v33
	v_mul_f32_e32 v38, v37, v36
	v_fma_f32 v39, -v35, v38, v37
	v_fmac_f32_e32 v38, v39, v36
	v_fma_f32 v35, -v35, v38, v37
	v_div_fmas_f32 v35, v35, v36, v38
	v_div_fixup_f32 v33, v35, v34, v33
	v_med3_f32 v34, v33, -1.0, 1.0
.LBB596_74:                             ;   in Loop: Header=BB596_3 Depth=1
	s_or_b64 exec, exec, s[16:17]
	v_fmac_f32_e32 v32, v32, v34
	v_fma_mixlo_f16 v32, v32, s21, 0
	v_bfi_b32 v3, s18, v32, v3
.LBB596_75:                             ;   in Loop: Header=BB596_3 Depth=1
	s_or_b64 exec, exec, s[14:15]
	v_cvt_f32_f16_sdwa v15, v15 dst_sel:DWORD dst_unused:UNUSED_PAD src0_sel:WORD_1
	v_mul_f32_e32 v32, v15, v15
	v_mul_f32_e32 v32, v32, v15
	;; [unrolled: 1-line block ×3, first 2 shown]
	v_fmac_f32_e32 v33, 0x3d122279, v32
	v_cmp_ge_f32_e64 s[14:15], |v33|, s19
                                        ; implicit-def: $vgpr32
	s_and_saveexec_b64 s[16:17], s[14:15]
	s_xor_b64 s[14:15], exec, s[16:17]
	s_cbranch_execnz .LBB596_78
; %bb.76:                               ;   in Loop: Header=BB596_3 Depth=1
	s_andn2_saveexec_b64 s[14:15], s[14:15]
	s_cbranch_execnz .LBB596_79
.LBB596_77:                             ;   in Loop: Header=BB596_3 Depth=1
	s_or_b64 exec, exec, s[14:15]
	s_and_saveexec_b64 s[14:15], s[0:1]
	s_cbranch_execnz .LBB596_80
	s_branch .LBB596_85
.LBB596_78:                             ;   in Loop: Header=BB596_3 Depth=1
	v_bfi_b32 v32, s20, 1.0, v33
                                        ; implicit-def: $vgpr33
	s_andn2_saveexec_b64 s[14:15], s[14:15]
	s_cbranch_execz .LBB596_77
.LBB596_79:                             ;   in Loop: Header=BB596_3 Depth=1
	v_mul_f32_e32 v32, v33, v33
	v_fmaak_f32 v34, v33, v33, 0x43bd0000
	v_fmaak_f32 v34, v32, v34, 0x46875a00
	v_fmamk_f32 v35, v32, 0x41e00000, v22
	v_fmaak_f32 v34, v32, v34, 0x4803f7c0
	v_fmaak_f32 v35, v32, v35, 0x4773a200
	;; [unrolled: 1-line block ×3, first 2 shown]
	v_mul_f32_e32 v33, v33, v34
	v_div_scale_f32 v34, s[16:17], v32, v32, v33
	v_rcp_f32_e32 v35, v34
	s_nop 0
	v_fma_f32 v36, -v34, v35, 1.0
	v_fmac_f32_e32 v35, v36, v35
	v_div_scale_f32 v36, vcc, v33, v32, v33
	v_mul_f32_e32 v37, v36, v35
	v_fma_f32 v38, -v34, v37, v36
	v_fmac_f32_e32 v37, v38, v35
	v_fma_f32 v34, -v34, v37, v36
	v_div_fmas_f32 v34, v34, v35, v37
	v_div_fixup_f32 v32, v34, v32, v33
	v_med3_f32 v32, v32, -1.0, 1.0
	s_or_b64 exec, exec, s[14:15]
	s_and_saveexec_b64 s[14:15], s[0:1]
	s_cbranch_execz .LBB596_85
.LBB596_80:                             ;   in Loop: Header=BB596_3 Depth=1
	v_cvt_f32_f16_sdwa v33, v3 dst_sel:DWORD dst_unused:UNUSED_PAD src0_sel:WORD_1
	v_mul_f32_e32 v34, v33, v33
	v_mul_f32_e32 v35, v34, v33
	v_mul_f32_e32 v34, 0x3f4c422a, v33
	v_fmac_f32_e32 v34, 0x3d122279, v35
	v_cmp_ge_f32_e64 s[16:17], |v34|, s19
                                        ; implicit-def: $vgpr35
	s_and_saveexec_b64 s[22:23], s[16:17]
	s_xor_b64 s[16:17], exec, s[22:23]
; %bb.81:                               ;   in Loop: Header=BB596_3 Depth=1
	v_bfi_b32 v35, s20, 1.0, v34
                                        ; implicit-def: $vgpr34
; %bb.82:                               ;   in Loop: Header=BB596_3 Depth=1
	s_andn2_saveexec_b64 s[16:17], s[16:17]
	s_cbranch_execz .LBB596_84
; %bb.83:                               ;   in Loop: Header=BB596_3 Depth=1
	v_mul_f32_e32 v35, v34, v34
	v_fmaak_f32 v36, v34, v34, 0x43bd0000
	v_fmaak_f32 v36, v35, v36, 0x46875a00
	v_fmamk_f32 v37, v35, 0x41e00000, v22
	v_fmaak_f32 v36, v35, v36, 0x4803f7c0
	v_fmaak_f32 v37, v35, v37, 0x4773a200
	;; [unrolled: 1-line block ×3, first 2 shown]
	v_mul_f32_e32 v34, v34, v36
	v_div_scale_f32 v36, s[22:23], v35, v35, v34
	v_rcp_f32_e32 v37, v36
	s_nop 0
	v_fma_f32 v38, -v36, v37, 1.0
	v_fmac_f32_e32 v37, v38, v37
	v_div_scale_f32 v38, vcc, v34, v35, v34
	v_mul_f32_e32 v39, v38, v37
	v_fma_f32 v40, -v36, v39, v38
	v_fmac_f32_e32 v39, v40, v37
	v_fma_f32 v36, -v36, v39, v38
	v_div_fmas_f32 v36, v36, v37, v39
	v_div_fixup_f32 v34, v36, v35, v34
	v_med3_f32 v35, v34, -1.0, 1.0
.LBB596_84:                             ;   in Loop: Header=BB596_3 Depth=1
	s_or_b64 exec, exec, s[16:17]
	v_fmac_f32_e32 v33, v33, v35
	v_fma_mixhi_f16 v3, v33, s21, 0
.LBB596_85:                             ;   in Loop: Header=BB596_3 Depth=1
	s_or_b64 exec, exec, s[14:15]
	v_cvt_f32_f16_e32 v33, v8
	v_mul_f32_e32 v34, v33, v33
	v_mul_f32_e32 v34, v34, v33
	;; [unrolled: 1-line block ×3, first 2 shown]
	v_fmac_f32_e32 v35, 0x3d122279, v34
	v_cmp_ge_f32_e64 s[14:15], |v35|, s19
                                        ; implicit-def: $vgpr34
	s_and_saveexec_b64 s[16:17], s[14:15]
	s_xor_b64 s[14:15], exec, s[16:17]
	s_cbranch_execnz .LBB596_88
; %bb.86:                               ;   in Loop: Header=BB596_3 Depth=1
	s_andn2_saveexec_b64 s[14:15], s[14:15]
	s_cbranch_execnz .LBB596_89
.LBB596_87:                             ;   in Loop: Header=BB596_3 Depth=1
	s_or_b64 exec, exec, s[14:15]
	s_and_saveexec_b64 s[14:15], s[0:1]
	s_cbranch_execnz .LBB596_90
	s_branch .LBB596_95
.LBB596_88:                             ;   in Loop: Header=BB596_3 Depth=1
	v_bfi_b32 v34, s20, 1.0, v35
                                        ; implicit-def: $vgpr35
	s_andn2_saveexec_b64 s[14:15], s[14:15]
	s_cbranch_execz .LBB596_87
.LBB596_89:                             ;   in Loop: Header=BB596_3 Depth=1
	v_mul_f32_e32 v34, v35, v35
	v_fmaak_f32 v36, v35, v35, 0x43bd0000
	v_fmaak_f32 v36, v34, v36, 0x46875a00
	v_fmamk_f32 v37, v34, 0x41e00000, v22
	v_fmaak_f32 v36, v34, v36, 0x4803f7c0
	v_fmaak_f32 v37, v34, v37, 0x4773a200
	;; [unrolled: 1-line block ×3, first 2 shown]
	v_mul_f32_e32 v35, v35, v36
	v_div_scale_f32 v36, s[16:17], v34, v34, v35
	v_rcp_f32_e32 v37, v36
	s_nop 0
	v_fma_f32 v38, -v36, v37, 1.0
	v_fmac_f32_e32 v37, v38, v37
	v_div_scale_f32 v38, vcc, v35, v34, v35
	v_mul_f32_e32 v39, v38, v37
	v_fma_f32 v40, -v36, v39, v38
	v_fmac_f32_e32 v39, v40, v37
	v_fma_f32 v36, -v36, v39, v38
	v_div_fmas_f32 v36, v36, v37, v39
	v_div_fixup_f32 v34, v36, v34, v35
	v_med3_f32 v34, v34, -1.0, 1.0
	s_or_b64 exec, exec, s[14:15]
	s_and_saveexec_b64 s[14:15], s[0:1]
	s_cbranch_execz .LBB596_95
.LBB596_90:                             ;   in Loop: Header=BB596_3 Depth=1
	v_cvt_f32_f16_e32 v35, v4
	v_mul_f32_e32 v36, v35, v35
	v_mul_f32_e32 v37, v36, v35
	v_mul_f32_e32 v36, 0x3f4c422a, v35
	v_fmac_f32_e32 v36, 0x3d122279, v37
	v_cmp_ge_f32_e64 s[16:17], |v36|, s19
                                        ; implicit-def: $vgpr37
	s_and_saveexec_b64 s[22:23], s[16:17]
	s_xor_b64 s[16:17], exec, s[22:23]
; %bb.91:                               ;   in Loop: Header=BB596_3 Depth=1
	v_bfi_b32 v37, s20, 1.0, v36
                                        ; implicit-def: $vgpr36
; %bb.92:                               ;   in Loop: Header=BB596_3 Depth=1
	s_andn2_saveexec_b64 s[16:17], s[16:17]
	s_cbranch_execz .LBB596_94
; %bb.93:                               ;   in Loop: Header=BB596_3 Depth=1
	v_mul_f32_e32 v37, v36, v36
	v_fmaak_f32 v38, v36, v36, 0x43bd0000
	v_fmaak_f32 v38, v37, v38, 0x46875a00
	v_fmamk_f32 v39, v37, 0x41e00000, v22
	v_fmaak_f32 v38, v37, v38, 0x4803f7c0
	v_fmaak_f32 v39, v37, v39, 0x4773a200
	;; [unrolled: 1-line block ×3, first 2 shown]
	v_mul_f32_e32 v36, v36, v38
	v_div_scale_f32 v38, s[22:23], v37, v37, v36
	v_rcp_f32_e32 v39, v38
	s_nop 0
	v_fma_f32 v40, -v38, v39, 1.0
	v_fmac_f32_e32 v39, v40, v39
	v_div_scale_f32 v40, vcc, v36, v37, v36
	v_mul_f32_e32 v41, v40, v39
	v_fma_f32 v42, -v38, v41, v40
	v_fmac_f32_e32 v41, v42, v39
	v_fma_f32 v38, -v38, v41, v40
	v_div_fmas_f32 v38, v38, v39, v41
	v_div_fixup_f32 v36, v38, v37, v36
	v_med3_f32 v37, v36, -1.0, 1.0
.LBB596_94:                             ;   in Loop: Header=BB596_3 Depth=1
	s_or_b64 exec, exec, s[16:17]
	v_fmac_f32_e32 v35, v35, v37
	v_fma_mixlo_f16 v35, v35, s21, 0
	v_bfi_b32 v4, s18, v35, v4
.LBB596_95:                             ;   in Loop: Header=BB596_3 Depth=1
	s_or_b64 exec, exec, s[14:15]
	v_cvt_f32_f16_sdwa v8, v8 dst_sel:DWORD dst_unused:UNUSED_PAD src0_sel:WORD_1
	v_mul_f32_e32 v35, v8, v8
	v_mul_f32_e32 v35, v35, v8
	;; [unrolled: 1-line block ×3, first 2 shown]
	v_fmac_f32_e32 v36, 0x3d122279, v35
	v_cmp_ge_f32_e64 s[14:15], |v36|, s19
                                        ; implicit-def: $vgpr35
	s_and_saveexec_b64 s[16:17], s[14:15]
	s_xor_b64 s[14:15], exec, s[16:17]
	s_cbranch_execnz .LBB596_98
; %bb.96:                               ;   in Loop: Header=BB596_3 Depth=1
	s_andn2_saveexec_b64 s[14:15], s[14:15]
	s_cbranch_execnz .LBB596_99
.LBB596_97:                             ;   in Loop: Header=BB596_3 Depth=1
	s_or_b64 exec, exec, s[14:15]
	s_and_saveexec_b64 s[14:15], s[0:1]
	s_cbranch_execnz .LBB596_100
	s_branch .LBB596_105
.LBB596_98:                             ;   in Loop: Header=BB596_3 Depth=1
	v_bfi_b32 v35, s20, 1.0, v36
                                        ; implicit-def: $vgpr36
	s_andn2_saveexec_b64 s[14:15], s[14:15]
	s_cbranch_execz .LBB596_97
.LBB596_99:                             ;   in Loop: Header=BB596_3 Depth=1
	v_mul_f32_e32 v35, v36, v36
	v_fmaak_f32 v37, v36, v36, 0x43bd0000
	v_fmaak_f32 v37, v35, v37, 0x46875a00
	v_fmamk_f32 v38, v35, 0x41e00000, v22
	v_fmaak_f32 v37, v35, v37, 0x4803f7c0
	v_fmaak_f32 v38, v35, v38, 0x4773a200
	;; [unrolled: 1-line block ×3, first 2 shown]
	v_mul_f32_e32 v36, v36, v37
	v_div_scale_f32 v37, s[16:17], v35, v35, v36
	v_rcp_f32_e32 v38, v37
	s_nop 0
	v_fma_f32 v39, -v37, v38, 1.0
	v_fmac_f32_e32 v38, v39, v38
	v_div_scale_f32 v39, vcc, v36, v35, v36
	v_mul_f32_e32 v40, v39, v38
	v_fma_f32 v41, -v37, v40, v39
	v_fmac_f32_e32 v40, v41, v38
	v_fma_f32 v37, -v37, v40, v39
	v_div_fmas_f32 v37, v37, v38, v40
	v_div_fixup_f32 v35, v37, v35, v36
	v_med3_f32 v35, v35, -1.0, 1.0
	s_or_b64 exec, exec, s[14:15]
	s_and_saveexec_b64 s[14:15], s[0:1]
	s_cbranch_execz .LBB596_105
.LBB596_100:                            ;   in Loop: Header=BB596_3 Depth=1
	v_cvt_f32_f16_sdwa v36, v4 dst_sel:DWORD dst_unused:UNUSED_PAD src0_sel:WORD_1
	v_mul_f32_e32 v37, v36, v36
	v_mul_f32_e32 v38, v37, v36
	;; [unrolled: 1-line block ×3, first 2 shown]
	v_fmac_f32_e32 v37, 0x3d122279, v38
	v_cmp_ge_f32_e64 s[16:17], |v37|, s19
                                        ; implicit-def: $vgpr38
	s_and_saveexec_b64 s[22:23], s[16:17]
	s_xor_b64 s[16:17], exec, s[22:23]
; %bb.101:                              ;   in Loop: Header=BB596_3 Depth=1
	v_bfi_b32 v38, s20, 1.0, v37
                                        ; implicit-def: $vgpr37
; %bb.102:                              ;   in Loop: Header=BB596_3 Depth=1
	s_andn2_saveexec_b64 s[16:17], s[16:17]
	s_cbranch_execz .LBB596_104
; %bb.103:                              ;   in Loop: Header=BB596_3 Depth=1
	v_mul_f32_e32 v38, v37, v37
	v_fmaak_f32 v39, v37, v37, 0x43bd0000
	v_fmaak_f32 v39, v38, v39, 0x46875a00
	v_fmamk_f32 v40, v38, 0x41e00000, v22
	v_fmaak_f32 v39, v38, v39, 0x4803f7c0
	v_fmaak_f32 v40, v38, v40, 0x4773a200
	;; [unrolled: 1-line block ×3, first 2 shown]
	v_mul_f32_e32 v37, v37, v39
	v_div_scale_f32 v39, s[22:23], v38, v38, v37
	v_rcp_f32_e32 v40, v39
	s_nop 0
	v_fma_f32 v41, -v39, v40, 1.0
	v_fmac_f32_e32 v40, v41, v40
	v_div_scale_f32 v41, vcc, v37, v38, v37
	v_mul_f32_e32 v42, v41, v40
	v_fma_f32 v43, -v39, v42, v41
	v_fmac_f32_e32 v42, v43, v40
	v_fma_f32 v39, -v39, v42, v41
	v_div_fmas_f32 v39, v39, v40, v42
	v_div_fixup_f32 v37, v39, v38, v37
	v_med3_f32 v38, v37, -1.0, 1.0
.LBB596_104:                            ;   in Loop: Header=BB596_3 Depth=1
	s_or_b64 exec, exec, s[16:17]
	v_fmac_f32_e32 v36, v36, v38
	v_fma_mixhi_f16 v4, v36, s21, 0
.LBB596_105:                            ;   in Loop: Header=BB596_3 Depth=1
	s_or_b64 exec, exec, s[14:15]
	v_cvt_f32_f16_e32 v36, v9
	v_mul_f32_e32 v37, v36, v36
	v_mul_f32_e32 v37, v37, v36
	;; [unrolled: 1-line block ×3, first 2 shown]
	v_fmac_f32_e32 v38, 0x3d122279, v37
	v_cmp_ge_f32_e64 s[14:15], |v38|, s19
                                        ; implicit-def: $vgpr37
	s_and_saveexec_b64 s[16:17], s[14:15]
	s_xor_b64 s[14:15], exec, s[16:17]
	s_cbranch_execnz .LBB596_108
; %bb.106:                              ;   in Loop: Header=BB596_3 Depth=1
	s_andn2_saveexec_b64 s[14:15], s[14:15]
	s_cbranch_execnz .LBB596_109
.LBB596_107:                            ;   in Loop: Header=BB596_3 Depth=1
	s_or_b64 exec, exec, s[14:15]
	s_and_saveexec_b64 s[14:15], s[0:1]
	s_cbranch_execnz .LBB596_110
	s_branch .LBB596_115
.LBB596_108:                            ;   in Loop: Header=BB596_3 Depth=1
	v_bfi_b32 v37, s20, 1.0, v38
                                        ; implicit-def: $vgpr38
	s_andn2_saveexec_b64 s[14:15], s[14:15]
	s_cbranch_execz .LBB596_107
.LBB596_109:                            ;   in Loop: Header=BB596_3 Depth=1
	v_mul_f32_e32 v37, v38, v38
	v_fmaak_f32 v39, v38, v38, 0x43bd0000
	v_fmaak_f32 v39, v37, v39, 0x46875a00
	v_fmamk_f32 v40, v37, 0x41e00000, v22
	v_fmaak_f32 v39, v37, v39, 0x4803f7c0
	v_fmaak_f32 v40, v37, v40, 0x4773a200
	;; [unrolled: 1-line block ×3, first 2 shown]
	v_mul_f32_e32 v38, v38, v39
	v_div_scale_f32 v39, s[16:17], v37, v37, v38
	v_rcp_f32_e32 v40, v39
	s_nop 0
	v_fma_f32 v41, -v39, v40, 1.0
	v_fmac_f32_e32 v40, v41, v40
	v_div_scale_f32 v41, vcc, v38, v37, v38
	v_mul_f32_e32 v42, v41, v40
	v_fma_f32 v43, -v39, v42, v41
	v_fmac_f32_e32 v42, v43, v40
	v_fma_f32 v39, -v39, v42, v41
	v_div_fmas_f32 v39, v39, v40, v42
	v_div_fixup_f32 v37, v39, v37, v38
	v_med3_f32 v37, v37, -1.0, 1.0
	s_or_b64 exec, exec, s[14:15]
	s_and_saveexec_b64 s[14:15], s[0:1]
	s_cbranch_execz .LBB596_115
.LBB596_110:                            ;   in Loop: Header=BB596_3 Depth=1
	v_cvt_f32_f16_e32 v38, v5
	v_mul_f32_e32 v39, v38, v38
	v_mul_f32_e32 v40, v39, v38
	;; [unrolled: 1-line block ×3, first 2 shown]
	v_fmac_f32_e32 v39, 0x3d122279, v40
	v_cmp_ge_f32_e64 s[16:17], |v39|, s19
                                        ; implicit-def: $vgpr40
	s_and_saveexec_b64 s[22:23], s[16:17]
	s_xor_b64 s[16:17], exec, s[22:23]
; %bb.111:                              ;   in Loop: Header=BB596_3 Depth=1
	v_bfi_b32 v40, s20, 1.0, v39
                                        ; implicit-def: $vgpr39
; %bb.112:                              ;   in Loop: Header=BB596_3 Depth=1
	s_andn2_saveexec_b64 s[16:17], s[16:17]
	s_cbranch_execz .LBB596_114
; %bb.113:                              ;   in Loop: Header=BB596_3 Depth=1
	v_mul_f32_e32 v40, v39, v39
	v_fmaak_f32 v41, v39, v39, 0x43bd0000
	v_fmaak_f32 v41, v40, v41, 0x46875a00
	v_fmamk_f32 v42, v40, 0x41e00000, v22
	v_fmaak_f32 v41, v40, v41, 0x4803f7c0
	v_fmaak_f32 v42, v40, v42, 0x4773a200
	;; [unrolled: 1-line block ×3, first 2 shown]
	v_mul_f32_e32 v39, v39, v41
	v_div_scale_f32 v41, s[22:23], v40, v40, v39
	v_rcp_f32_e32 v42, v41
	s_nop 0
	v_fma_f32 v43, -v41, v42, 1.0
	v_fmac_f32_e32 v42, v43, v42
	v_div_scale_f32 v43, vcc, v39, v40, v39
	v_mul_f32_e32 v44, v43, v42
	v_fma_f32 v45, -v41, v44, v43
	v_fmac_f32_e32 v44, v45, v42
	v_fma_f32 v41, -v41, v44, v43
	v_div_fmas_f32 v41, v41, v42, v44
	v_div_fixup_f32 v39, v41, v40, v39
	v_med3_f32 v40, v39, -1.0, 1.0
.LBB596_114:                            ;   in Loop: Header=BB596_3 Depth=1
	s_or_b64 exec, exec, s[16:17]
	v_fmac_f32_e32 v38, v38, v40
	v_fma_mixlo_f16 v38, v38, s21, 0
	v_bfi_b32 v5, s18, v38, v5
.LBB596_115:                            ;   in Loop: Header=BB596_3 Depth=1
	s_or_b64 exec, exec, s[14:15]
	v_cvt_f32_f16_sdwa v9, v9 dst_sel:DWORD dst_unused:UNUSED_PAD src0_sel:WORD_1
	v_mul_f32_e32 v38, v9, v9
	v_mul_f32_e32 v38, v38, v9
	;; [unrolled: 1-line block ×3, first 2 shown]
	v_fmac_f32_e32 v39, 0x3d122279, v38
	v_cmp_ge_f32_e64 s[14:15], |v39|, s19
                                        ; implicit-def: $vgpr38
	s_and_saveexec_b64 s[16:17], s[14:15]
	s_xor_b64 s[14:15], exec, s[16:17]
	s_cbranch_execnz .LBB596_118
; %bb.116:                              ;   in Loop: Header=BB596_3 Depth=1
	s_andn2_saveexec_b64 s[14:15], s[14:15]
	s_cbranch_execnz .LBB596_119
.LBB596_117:                            ;   in Loop: Header=BB596_3 Depth=1
	s_or_b64 exec, exec, s[14:15]
	s_and_saveexec_b64 s[14:15], s[0:1]
	s_cbranch_execnz .LBB596_120
	s_branch .LBB596_125
.LBB596_118:                            ;   in Loop: Header=BB596_3 Depth=1
	v_bfi_b32 v38, s20, 1.0, v39
                                        ; implicit-def: $vgpr39
	s_andn2_saveexec_b64 s[14:15], s[14:15]
	s_cbranch_execz .LBB596_117
.LBB596_119:                            ;   in Loop: Header=BB596_3 Depth=1
	v_mul_f32_e32 v38, v39, v39
	v_fmaak_f32 v40, v39, v39, 0x43bd0000
	v_fmaak_f32 v40, v38, v40, 0x46875a00
	v_fmamk_f32 v41, v38, 0x41e00000, v22
	v_fmaak_f32 v40, v38, v40, 0x4803f7c0
	v_fmaak_f32 v41, v38, v41, 0x4773a200
	;; [unrolled: 1-line block ×3, first 2 shown]
	v_mul_f32_e32 v39, v39, v40
	v_div_scale_f32 v40, s[16:17], v38, v38, v39
	v_rcp_f32_e32 v41, v40
	s_nop 0
	v_fma_f32 v42, -v40, v41, 1.0
	v_fmac_f32_e32 v41, v42, v41
	v_div_scale_f32 v42, vcc, v39, v38, v39
	v_mul_f32_e32 v43, v42, v41
	v_fma_f32 v44, -v40, v43, v42
	v_fmac_f32_e32 v43, v44, v41
	v_fma_f32 v40, -v40, v43, v42
	v_div_fmas_f32 v40, v40, v41, v43
	v_div_fixup_f32 v38, v40, v38, v39
	v_med3_f32 v38, v38, -1.0, 1.0
	s_or_b64 exec, exec, s[14:15]
	s_and_saveexec_b64 s[14:15], s[0:1]
	s_cbranch_execz .LBB596_125
.LBB596_120:                            ;   in Loop: Header=BB596_3 Depth=1
	v_cvt_f32_f16_sdwa v39, v5 dst_sel:DWORD dst_unused:UNUSED_PAD src0_sel:WORD_1
	v_mul_f32_e32 v40, v39, v39
	v_mul_f32_e32 v41, v40, v39
	;; [unrolled: 1-line block ×3, first 2 shown]
	v_fmac_f32_e32 v40, 0x3d122279, v41
	v_cmp_ge_f32_e64 s[16:17], |v40|, s19
                                        ; implicit-def: $vgpr41
	s_and_saveexec_b64 s[22:23], s[16:17]
	s_xor_b64 s[16:17], exec, s[22:23]
; %bb.121:                              ;   in Loop: Header=BB596_3 Depth=1
	v_bfi_b32 v41, s20, 1.0, v40
                                        ; implicit-def: $vgpr40
; %bb.122:                              ;   in Loop: Header=BB596_3 Depth=1
	s_andn2_saveexec_b64 s[16:17], s[16:17]
	s_cbranch_execz .LBB596_124
; %bb.123:                              ;   in Loop: Header=BB596_3 Depth=1
	v_mul_f32_e32 v41, v40, v40
	v_fmaak_f32 v42, v40, v40, 0x43bd0000
	v_fmaak_f32 v42, v41, v42, 0x46875a00
	v_fmamk_f32 v43, v41, 0x41e00000, v22
	v_fmaak_f32 v42, v41, v42, 0x4803f7c0
	v_fmaak_f32 v43, v41, v43, 0x4773a200
	;; [unrolled: 1-line block ×3, first 2 shown]
	v_mul_f32_e32 v40, v40, v42
	v_div_scale_f32 v42, s[22:23], v41, v41, v40
	v_rcp_f32_e32 v43, v42
	s_nop 0
	v_fma_f32 v44, -v42, v43, 1.0
	v_fmac_f32_e32 v43, v44, v43
	v_div_scale_f32 v44, vcc, v40, v41, v40
	v_mul_f32_e32 v45, v44, v43
	v_fma_f32 v46, -v42, v45, v44
	v_fmac_f32_e32 v45, v46, v43
	v_fma_f32 v42, -v42, v45, v44
	v_div_fmas_f32 v42, v42, v43, v45
	v_div_fixup_f32 v40, v42, v41, v40
	v_med3_f32 v41, v40, -1.0, 1.0
.LBB596_124:                            ;   in Loop: Header=BB596_3 Depth=1
	s_or_b64 exec, exec, s[16:17]
	v_fmac_f32_e32 v39, v39, v41
	v_fma_mixhi_f16 v5, v39, s21, 0
.LBB596_125:                            ;   in Loop: Header=BB596_3 Depth=1
	s_or_b64 exec, exec, s[14:15]
	v_cvt_f32_f16_e32 v39, v10
	v_mul_f32_e32 v40, v39, v39
	v_mul_f32_e32 v40, v40, v39
	;; [unrolled: 1-line block ×3, first 2 shown]
	v_fmac_f32_e32 v41, 0x3d122279, v40
	v_cmp_ge_f32_e64 s[14:15], |v41|, s19
                                        ; implicit-def: $vgpr40
	s_and_saveexec_b64 s[16:17], s[14:15]
	s_xor_b64 s[14:15], exec, s[16:17]
	s_cbranch_execnz .LBB596_128
; %bb.126:                              ;   in Loop: Header=BB596_3 Depth=1
	s_andn2_saveexec_b64 s[14:15], s[14:15]
	s_cbranch_execnz .LBB596_129
.LBB596_127:                            ;   in Loop: Header=BB596_3 Depth=1
	s_or_b64 exec, exec, s[14:15]
	s_and_saveexec_b64 s[14:15], s[0:1]
	s_cbranch_execnz .LBB596_130
	s_branch .LBB596_135
.LBB596_128:                            ;   in Loop: Header=BB596_3 Depth=1
	v_bfi_b32 v40, s20, 1.0, v41
                                        ; implicit-def: $vgpr41
	s_andn2_saveexec_b64 s[14:15], s[14:15]
	s_cbranch_execz .LBB596_127
.LBB596_129:                            ;   in Loop: Header=BB596_3 Depth=1
	v_mul_f32_e32 v40, v41, v41
	v_fmaak_f32 v42, v41, v41, 0x43bd0000
	v_fmaak_f32 v42, v40, v42, 0x46875a00
	v_fmamk_f32 v43, v40, 0x41e00000, v22
	v_fmaak_f32 v42, v40, v42, 0x4803f7c0
	v_fmaak_f32 v43, v40, v43, 0x4773a200
	;; [unrolled: 1-line block ×3, first 2 shown]
	v_mul_f32_e32 v41, v41, v42
	v_div_scale_f32 v42, s[16:17], v40, v40, v41
	v_rcp_f32_e32 v43, v42
	s_nop 0
	v_fma_f32 v44, -v42, v43, 1.0
	v_fmac_f32_e32 v43, v44, v43
	v_div_scale_f32 v44, vcc, v41, v40, v41
	v_mul_f32_e32 v45, v44, v43
	v_fma_f32 v46, -v42, v45, v44
	v_fmac_f32_e32 v45, v46, v43
	v_fma_f32 v42, -v42, v45, v44
	v_div_fmas_f32 v42, v42, v43, v45
	v_div_fixup_f32 v40, v42, v40, v41
	v_med3_f32 v40, v40, -1.0, 1.0
	s_or_b64 exec, exec, s[14:15]
	s_and_saveexec_b64 s[14:15], s[0:1]
	s_cbranch_execz .LBB596_135
.LBB596_130:                            ;   in Loop: Header=BB596_3 Depth=1
	v_cvt_f32_f16_e32 v41, v6
	v_mul_f32_e32 v42, v41, v41
	v_mul_f32_e32 v43, v42, v41
	;; [unrolled: 1-line block ×3, first 2 shown]
	v_fmac_f32_e32 v42, 0x3d122279, v43
	v_cmp_ge_f32_e64 s[16:17], |v42|, s19
                                        ; implicit-def: $vgpr43
	s_and_saveexec_b64 s[22:23], s[16:17]
	s_xor_b64 s[16:17], exec, s[22:23]
; %bb.131:                              ;   in Loop: Header=BB596_3 Depth=1
	v_bfi_b32 v43, s20, 1.0, v42
                                        ; implicit-def: $vgpr42
; %bb.132:                              ;   in Loop: Header=BB596_3 Depth=1
	s_andn2_saveexec_b64 s[16:17], s[16:17]
	s_cbranch_execz .LBB596_134
; %bb.133:                              ;   in Loop: Header=BB596_3 Depth=1
	v_mul_f32_e32 v43, v42, v42
	v_fmaak_f32 v44, v42, v42, 0x43bd0000
	v_fmaak_f32 v44, v43, v44, 0x46875a00
	v_fmamk_f32 v45, v43, 0x41e00000, v22
	v_fmaak_f32 v44, v43, v44, 0x4803f7c0
	v_fmaak_f32 v45, v43, v45, 0x4773a200
	;; [unrolled: 1-line block ×3, first 2 shown]
	v_mul_f32_e32 v42, v42, v44
	v_div_scale_f32 v44, s[22:23], v43, v43, v42
	v_rcp_f32_e32 v45, v44
	s_nop 0
	v_fma_f32 v46, -v44, v45, 1.0
	v_fmac_f32_e32 v45, v46, v45
	v_div_scale_f32 v46, vcc, v42, v43, v42
	v_mul_f32_e32 v47, v46, v45
	v_fma_f32 v48, -v44, v47, v46
	v_fmac_f32_e32 v47, v48, v45
	v_fma_f32 v44, -v44, v47, v46
	v_div_fmas_f32 v44, v44, v45, v47
	v_div_fixup_f32 v42, v44, v43, v42
	v_med3_f32 v43, v42, -1.0, 1.0
.LBB596_134:                            ;   in Loop: Header=BB596_3 Depth=1
	s_or_b64 exec, exec, s[16:17]
	v_fmac_f32_e32 v41, v41, v43
	v_fma_mixlo_f16 v41, v41, s21, 0
	v_bfi_b32 v6, s18, v41, v6
.LBB596_135:                            ;   in Loop: Header=BB596_3 Depth=1
	s_or_b64 exec, exec, s[14:15]
	v_cvt_f32_f16_sdwa v10, v10 dst_sel:DWORD dst_unused:UNUSED_PAD src0_sel:WORD_1
	v_mul_f32_e32 v41, v10, v10
	v_mul_f32_e32 v41, v41, v10
	;; [unrolled: 1-line block ×3, first 2 shown]
	v_fmac_f32_e32 v42, 0x3d122279, v41
	v_cmp_ge_f32_e64 s[14:15], |v42|, s19
                                        ; implicit-def: $vgpr41
	s_and_saveexec_b64 s[16:17], s[14:15]
	s_xor_b64 s[14:15], exec, s[16:17]
	s_cbranch_execnz .LBB596_138
; %bb.136:                              ;   in Loop: Header=BB596_3 Depth=1
	s_andn2_saveexec_b64 s[14:15], s[14:15]
	s_cbranch_execnz .LBB596_139
.LBB596_137:                            ;   in Loop: Header=BB596_3 Depth=1
	s_or_b64 exec, exec, s[14:15]
	s_and_saveexec_b64 s[14:15], s[0:1]
	s_cbranch_execnz .LBB596_140
	s_branch .LBB596_145
.LBB596_138:                            ;   in Loop: Header=BB596_3 Depth=1
	v_bfi_b32 v41, s20, 1.0, v42
                                        ; implicit-def: $vgpr42
	s_andn2_saveexec_b64 s[14:15], s[14:15]
	s_cbranch_execz .LBB596_137
.LBB596_139:                            ;   in Loop: Header=BB596_3 Depth=1
	v_mul_f32_e32 v41, v42, v42
	v_fmaak_f32 v43, v42, v42, 0x43bd0000
	v_fmaak_f32 v43, v41, v43, 0x46875a00
	v_fmamk_f32 v44, v41, 0x41e00000, v22
	v_fmaak_f32 v43, v41, v43, 0x4803f7c0
	v_fmaak_f32 v44, v41, v44, 0x4773a200
	;; [unrolled: 1-line block ×3, first 2 shown]
	v_mul_f32_e32 v42, v42, v43
	v_div_scale_f32 v43, s[16:17], v41, v41, v42
	v_rcp_f32_e32 v44, v43
	s_nop 0
	v_fma_f32 v45, -v43, v44, 1.0
	v_fmac_f32_e32 v44, v45, v44
	v_div_scale_f32 v45, vcc, v42, v41, v42
	v_mul_f32_e32 v46, v45, v44
	v_fma_f32 v47, -v43, v46, v45
	v_fmac_f32_e32 v46, v47, v44
	v_fma_f32 v43, -v43, v46, v45
	v_div_fmas_f32 v43, v43, v44, v46
	v_div_fixup_f32 v41, v43, v41, v42
	v_med3_f32 v41, v41, -1.0, 1.0
	s_or_b64 exec, exec, s[14:15]
	s_and_saveexec_b64 s[14:15], s[0:1]
	s_cbranch_execz .LBB596_145
.LBB596_140:                            ;   in Loop: Header=BB596_3 Depth=1
	v_cvt_f32_f16_sdwa v42, v6 dst_sel:DWORD dst_unused:UNUSED_PAD src0_sel:WORD_1
	v_mul_f32_e32 v43, v42, v42
	v_mul_f32_e32 v44, v43, v42
	;; [unrolled: 1-line block ×3, first 2 shown]
	v_fmac_f32_e32 v43, 0x3d122279, v44
	v_cmp_ge_f32_e64 s[16:17], |v43|, s19
                                        ; implicit-def: $vgpr44
	s_and_saveexec_b64 s[22:23], s[16:17]
	s_xor_b64 s[16:17], exec, s[22:23]
; %bb.141:                              ;   in Loop: Header=BB596_3 Depth=1
	v_bfi_b32 v44, s20, 1.0, v43
                                        ; implicit-def: $vgpr43
; %bb.142:                              ;   in Loop: Header=BB596_3 Depth=1
	s_andn2_saveexec_b64 s[16:17], s[16:17]
	s_cbranch_execz .LBB596_144
; %bb.143:                              ;   in Loop: Header=BB596_3 Depth=1
	v_mul_f32_e32 v44, v43, v43
	v_fmaak_f32 v45, v43, v43, 0x43bd0000
	v_fmaak_f32 v45, v44, v45, 0x46875a00
	v_fmamk_f32 v46, v44, 0x41e00000, v22
	v_fmaak_f32 v45, v44, v45, 0x4803f7c0
	v_fmaak_f32 v46, v44, v46, 0x4773a200
	;; [unrolled: 1-line block ×3, first 2 shown]
	v_mul_f32_e32 v43, v43, v45
	v_div_scale_f32 v45, s[22:23], v44, v44, v43
	v_rcp_f32_e32 v46, v45
	s_nop 0
	v_fma_f32 v47, -v45, v46, 1.0
	v_fmac_f32_e32 v46, v47, v46
	v_div_scale_f32 v47, vcc, v43, v44, v43
	v_mul_f32_e32 v48, v47, v46
	v_fma_f32 v49, -v45, v48, v47
	v_fmac_f32_e32 v48, v49, v46
	v_fma_f32 v45, -v45, v48, v47
	v_div_fmas_f32 v45, v45, v46, v48
	v_div_fixup_f32 v43, v45, v44, v43
	v_med3_f32 v44, v43, -1.0, 1.0
.LBB596_144:                            ;   in Loop: Header=BB596_3 Depth=1
	s_or_b64 exec, exec, s[16:17]
	v_fmac_f32_e32 v42, v42, v44
	v_fma_mixhi_f16 v6, v42, s21, 0
.LBB596_145:                            ;   in Loop: Header=BB596_3 Depth=1
	s_or_b64 exec, exec, s[14:15]
	v_cvt_f32_f16_e32 v42, v11
	v_mul_f32_e32 v43, v42, v42
	v_mul_f32_e32 v43, v43, v42
	;; [unrolled: 1-line block ×3, first 2 shown]
	v_fmac_f32_e32 v44, 0x3d122279, v43
	v_cmp_ge_f32_e64 s[14:15], |v44|, s19
                                        ; implicit-def: $vgpr43
	s_and_saveexec_b64 s[16:17], s[14:15]
	s_xor_b64 s[14:15], exec, s[16:17]
	s_cbranch_execnz .LBB596_148
; %bb.146:                              ;   in Loop: Header=BB596_3 Depth=1
	s_andn2_saveexec_b64 s[14:15], s[14:15]
	s_cbranch_execnz .LBB596_149
.LBB596_147:                            ;   in Loop: Header=BB596_3 Depth=1
	s_or_b64 exec, exec, s[14:15]
	s_and_saveexec_b64 s[14:15], s[0:1]
	s_cbranch_execnz .LBB596_150
	s_branch .LBB596_155
.LBB596_148:                            ;   in Loop: Header=BB596_3 Depth=1
	v_bfi_b32 v43, s20, 1.0, v44
                                        ; implicit-def: $vgpr44
	s_andn2_saveexec_b64 s[14:15], s[14:15]
	s_cbranch_execz .LBB596_147
.LBB596_149:                            ;   in Loop: Header=BB596_3 Depth=1
	v_mul_f32_e32 v43, v44, v44
	v_fmaak_f32 v45, v44, v44, 0x43bd0000
	v_fmaak_f32 v45, v43, v45, 0x46875a00
	v_fmamk_f32 v46, v43, 0x41e00000, v22
	v_fmaak_f32 v45, v43, v45, 0x4803f7c0
	v_fmaak_f32 v46, v43, v46, 0x4773a200
	v_fmaak_f32 v43, v43, v46, 0x4803f7c0
	v_mul_f32_e32 v44, v44, v45
	v_div_scale_f32 v45, s[16:17], v43, v43, v44
	v_rcp_f32_e32 v46, v45
	s_nop 0
	v_fma_f32 v47, -v45, v46, 1.0
	v_fmac_f32_e32 v46, v47, v46
	v_div_scale_f32 v47, vcc, v44, v43, v44
	v_mul_f32_e32 v48, v47, v46
	v_fma_f32 v49, -v45, v48, v47
	v_fmac_f32_e32 v48, v49, v46
	v_fma_f32 v45, -v45, v48, v47
	v_div_fmas_f32 v45, v45, v46, v48
	v_div_fixup_f32 v43, v45, v43, v44
	v_med3_f32 v43, v43, -1.0, 1.0
	s_or_b64 exec, exec, s[14:15]
	s_and_saveexec_b64 s[14:15], s[0:1]
	s_cbranch_execz .LBB596_155
.LBB596_150:                            ;   in Loop: Header=BB596_3 Depth=1
	v_cvt_f32_f16_e32 v44, v7
	v_mul_f32_e32 v45, v44, v44
	v_mul_f32_e32 v46, v45, v44
	;; [unrolled: 1-line block ×3, first 2 shown]
	v_fmac_f32_e32 v45, 0x3d122279, v46
	v_cmp_ge_f32_e64 s[16:17], |v45|, s19
                                        ; implicit-def: $vgpr46
	s_and_saveexec_b64 s[22:23], s[16:17]
	s_xor_b64 s[16:17], exec, s[22:23]
; %bb.151:                              ;   in Loop: Header=BB596_3 Depth=1
	v_bfi_b32 v46, s20, 1.0, v45
                                        ; implicit-def: $vgpr45
; %bb.152:                              ;   in Loop: Header=BB596_3 Depth=1
	s_andn2_saveexec_b64 s[16:17], s[16:17]
	s_cbranch_execz .LBB596_154
; %bb.153:                              ;   in Loop: Header=BB596_3 Depth=1
	v_mul_f32_e32 v46, v45, v45
	v_fmaak_f32 v47, v45, v45, 0x43bd0000
	v_fmaak_f32 v47, v46, v47, 0x46875a00
	v_fmamk_f32 v48, v46, 0x41e00000, v22
	v_fmaak_f32 v47, v46, v47, 0x4803f7c0
	v_fmaak_f32 v48, v46, v48, 0x4773a200
	;; [unrolled: 1-line block ×3, first 2 shown]
	v_mul_f32_e32 v45, v45, v47
	v_div_scale_f32 v47, s[22:23], v46, v46, v45
	v_rcp_f32_e32 v48, v47
	s_nop 0
	v_fma_f32 v49, -v47, v48, 1.0
	v_fmac_f32_e32 v48, v49, v48
	v_div_scale_f32 v49, vcc, v45, v46, v45
	v_mul_f32_e32 v50, v49, v48
	v_fma_f32 v51, -v47, v50, v49
	v_fmac_f32_e32 v50, v51, v48
	v_fma_f32 v47, -v47, v50, v49
	v_div_fmas_f32 v47, v47, v48, v50
	v_div_fixup_f32 v45, v47, v46, v45
	v_med3_f32 v46, v45, -1.0, 1.0
.LBB596_154:                            ;   in Loop: Header=BB596_3 Depth=1
	s_or_b64 exec, exec, s[16:17]
	v_fmac_f32_e32 v44, v44, v46
	v_fma_mixlo_f16 v44, v44, s21, 0
	v_bfi_b32 v7, s18, v44, v7
.LBB596_155:                            ;   in Loop: Header=BB596_3 Depth=1
	s_or_b64 exec, exec, s[14:15]
	v_cvt_f32_f16_sdwa v11, v11 dst_sel:DWORD dst_unused:UNUSED_PAD src0_sel:WORD_1
	v_mul_f32_e32 v44, v11, v11
	v_mul_f32_e32 v44, v44, v11
	;; [unrolled: 1-line block ×3, first 2 shown]
	v_fmac_f32_e32 v45, 0x3d122279, v44
	v_cmp_ge_f32_e64 s[14:15], |v45|, s19
                                        ; implicit-def: $vgpr44
	s_and_saveexec_b64 s[16:17], s[14:15]
	s_xor_b64 s[14:15], exec, s[16:17]
	s_cbranch_execnz .LBB596_158
; %bb.156:                              ;   in Loop: Header=BB596_3 Depth=1
	s_andn2_saveexec_b64 s[14:15], s[14:15]
	s_cbranch_execnz .LBB596_159
.LBB596_157:                            ;   in Loop: Header=BB596_3 Depth=1
	s_or_b64 exec, exec, s[14:15]
	s_and_saveexec_b64 s[14:15], s[0:1]
	s_cbranch_execnz .LBB596_160
	s_branch .LBB596_165
.LBB596_158:                            ;   in Loop: Header=BB596_3 Depth=1
	v_bfi_b32 v44, s20, 1.0, v45
                                        ; implicit-def: $vgpr45
	s_andn2_saveexec_b64 s[14:15], s[14:15]
	s_cbranch_execz .LBB596_157
.LBB596_159:                            ;   in Loop: Header=BB596_3 Depth=1
	v_mul_f32_e32 v44, v45, v45
	v_fmaak_f32 v46, v45, v45, 0x43bd0000
	v_fmaak_f32 v46, v44, v46, 0x46875a00
	v_fmamk_f32 v47, v44, 0x41e00000, v22
	v_fmaak_f32 v46, v44, v46, 0x4803f7c0
	v_fmaak_f32 v47, v44, v47, 0x4773a200
	;; [unrolled: 1-line block ×3, first 2 shown]
	v_mul_f32_e32 v45, v45, v46
	v_div_scale_f32 v46, s[16:17], v44, v44, v45
	v_rcp_f32_e32 v47, v46
	s_nop 0
	v_fma_f32 v48, -v46, v47, 1.0
	v_fmac_f32_e32 v47, v48, v47
	v_div_scale_f32 v48, vcc, v45, v44, v45
	v_mul_f32_e32 v49, v48, v47
	v_fma_f32 v50, -v46, v49, v48
	v_fmac_f32_e32 v49, v50, v47
	v_fma_f32 v46, -v46, v49, v48
	v_div_fmas_f32 v46, v46, v47, v49
	v_div_fixup_f32 v44, v46, v44, v45
	v_med3_f32 v44, v44, -1.0, 1.0
	s_or_b64 exec, exec, s[14:15]
	s_and_saveexec_b64 s[14:15], s[0:1]
	s_cbranch_execz .LBB596_165
.LBB596_160:                            ;   in Loop: Header=BB596_3 Depth=1
	v_cvt_f32_f16_sdwa v45, v7 dst_sel:DWORD dst_unused:UNUSED_PAD src0_sel:WORD_1
	v_mul_f32_e32 v46, v45, v45
	v_mul_f32_e32 v47, v46, v45
	;; [unrolled: 1-line block ×3, first 2 shown]
	v_fmac_f32_e32 v46, 0x3d122279, v47
	v_cmp_ge_f32_e64 s[16:17], |v46|, s19
                                        ; implicit-def: $vgpr47
	s_and_saveexec_b64 s[22:23], s[16:17]
	s_xor_b64 s[16:17], exec, s[22:23]
; %bb.161:                              ;   in Loop: Header=BB596_3 Depth=1
	v_bfi_b32 v47, s20, 1.0, v46
                                        ; implicit-def: $vgpr46
; %bb.162:                              ;   in Loop: Header=BB596_3 Depth=1
	s_andn2_saveexec_b64 s[16:17], s[16:17]
	s_cbranch_execz .LBB596_164
; %bb.163:                              ;   in Loop: Header=BB596_3 Depth=1
	v_mul_f32_e32 v47, v46, v46
	v_fmaak_f32 v48, v46, v46, 0x43bd0000
	v_fmaak_f32 v48, v47, v48, 0x46875a00
	v_fmamk_f32 v49, v47, 0x41e00000, v22
	v_fmaak_f32 v48, v47, v48, 0x4803f7c0
	v_fmaak_f32 v49, v47, v49, 0x4773a200
	;; [unrolled: 1-line block ×3, first 2 shown]
	v_mul_f32_e32 v46, v46, v48
	v_div_scale_f32 v48, s[22:23], v47, v47, v46
	v_rcp_f32_e32 v49, v48
	s_nop 0
	v_fma_f32 v50, -v48, v49, 1.0
	v_fmac_f32_e32 v49, v50, v49
	v_div_scale_f32 v50, vcc, v46, v47, v46
	v_mul_f32_e32 v51, v50, v49
	v_fma_f32 v52, -v48, v51, v50
	v_fmac_f32_e32 v51, v52, v49
	v_fma_f32 v48, -v48, v51, v50
	v_div_fmas_f32 v48, v48, v49, v51
	v_div_fixup_f32 v46, v48, v47, v46
	v_med3_f32 v47, v46, -1.0, 1.0
.LBB596_164:                            ;   in Loop: Header=BB596_3 Depth=1
	s_or_b64 exec, exec, s[16:17]
	v_fmac_f32_e32 v45, v45, v47
	v_fma_mixhi_f16 v7, v45, s21, 0
.LBB596_165:                            ;   in Loop: Header=BB596_3 Depth=1
	s_or_b64 exec, exec, s[14:15]
	v_fmac_f32_e32 v24, v24, v25
	v_fmac_f32_e32 v27, v27, v28
	;; [unrolled: 1-line block ×7, first 2 shown]
	v_fma_mixlo_f16 v47, v24, s21, 0
	v_fmac_f32_e32 v13, v13, v26
	v_fma_mixlo_f16 v48, v27, s21, 0
	v_fmac_f32_e32 v30, v30, v31
	;; [unrolled: 2-line block ×7, first 2 shown]
	v_fmac_f32_e32 v14, v14, v29
	v_fma_mixlo_f16 v49, v30, s21, 0
	v_fmac_f32_e32 v15, v15, v32
	v_fma_mixhi_f16 v27, v11, s21, 0
	v_fma_mixhi_f16 v26, v10, s21, 0
	v_fma_mixhi_f16 v25, v9, s21, 0
	v_fma_mixhi_f16 v24, v8, s21, 0
	v_lshl_add_u64 v[8:9], s[4:5], 0, v[18:19]
	v_fma_mixhi_f16 v49, v15, s21, 0
	v_fma_mixhi_f16 v48, v14, s21, 0
	;; [unrolled: 1-line block ×4, first 2 shown]
	global_store_dwordx4 v[8:9], v[24:27], off offset:-16
	global_store_dwordx4 v[8:9], v[46:49], off offset:-32
	s_and_saveexec_b64 s[14:15], s[0:1]
	s_cbranch_execz .LBB596_2
; %bb.166:                              ;   in Loop: Header=BB596_3 Depth=1
	global_store_dwordx4 v[8:9], v[4:7], off offset:16
	global_store_dwordx4 v[8:9], v[0:3], off
	s_branch .LBB596_2
.LBB596_167:
	s_endpgm
	.section	.rodata,"a",@progbits
	.p2align	6, 0x0
	.amdhsa_kernel _ZN5aiter21activation_kernel_vecIDF16_TnPFfRKT_EXadL_ZNS_16gelu_fast_kernelIDF16_EEfS3_EELi16EEEvPS1_PS2_l
		.amdhsa_group_segment_fixed_size 0
		.amdhsa_private_segment_fixed_size 0
		.amdhsa_kernarg_size 280
		.amdhsa_user_sgpr_count 2
		.amdhsa_user_sgpr_dispatch_ptr 0
		.amdhsa_user_sgpr_queue_ptr 0
		.amdhsa_user_sgpr_kernarg_segment_ptr 1
		.amdhsa_user_sgpr_dispatch_id 0
		.amdhsa_user_sgpr_kernarg_preload_length 0
		.amdhsa_user_sgpr_kernarg_preload_offset 0
		.amdhsa_user_sgpr_private_segment_size 0
		.amdhsa_uses_dynamic_stack 0
		.amdhsa_enable_private_segment 0
		.amdhsa_system_sgpr_workgroup_id_x 1
		.amdhsa_system_sgpr_workgroup_id_y 0
		.amdhsa_system_sgpr_workgroup_id_z 0
		.amdhsa_system_sgpr_workgroup_info 0
		.amdhsa_system_vgpr_workitem_id 0
		.amdhsa_next_free_vgpr 53
		.amdhsa_next_free_sgpr 24
		.amdhsa_accum_offset 56
		.amdhsa_reserve_vcc 1
		.amdhsa_float_round_mode_32 0
		.amdhsa_float_round_mode_16_64 0
		.amdhsa_float_denorm_mode_32 3
		.amdhsa_float_denorm_mode_16_64 3
		.amdhsa_dx10_clamp 1
		.amdhsa_ieee_mode 1
		.amdhsa_fp16_overflow 0
		.amdhsa_tg_split 0
		.amdhsa_exception_fp_ieee_invalid_op 0
		.amdhsa_exception_fp_denorm_src 0
		.amdhsa_exception_fp_ieee_div_zero 0
		.amdhsa_exception_fp_ieee_overflow 0
		.amdhsa_exception_fp_ieee_underflow 0
		.amdhsa_exception_fp_ieee_inexact 0
		.amdhsa_exception_int_div_zero 0
	.end_amdhsa_kernel
	.section	.text._ZN5aiter21activation_kernel_vecIDF16_TnPFfRKT_EXadL_ZNS_16gelu_fast_kernelIDF16_EEfS3_EELi16EEEvPS1_PS2_l,"axG",@progbits,_ZN5aiter21activation_kernel_vecIDF16_TnPFfRKT_EXadL_ZNS_16gelu_fast_kernelIDF16_EEfS3_EELi16EEEvPS1_PS2_l,comdat
.Lfunc_end596:
	.size	_ZN5aiter21activation_kernel_vecIDF16_TnPFfRKT_EXadL_ZNS_16gelu_fast_kernelIDF16_EEfS3_EELi16EEEvPS1_PS2_l, .Lfunc_end596-_ZN5aiter21activation_kernel_vecIDF16_TnPFfRKT_EXadL_ZNS_16gelu_fast_kernelIDF16_EEfS3_EELi16EEEvPS1_PS2_l
                                        ; -- End function
	.section	.AMDGPU.csdata,"",@progbits
; Kernel info:
; codeLenInByte = 7992
; NumSgprs: 30
; NumVgprs: 53
; NumAgprs: 0
; TotalNumVgprs: 53
; ScratchSize: 0
; MemoryBound: 0
; FloatMode: 240
; IeeeMode: 1
; LDSByteSize: 0 bytes/workgroup (compile time only)
; SGPRBlocks: 3
; VGPRBlocks: 6
; NumSGPRsForWavesPerEU: 30
; NumVGPRsForWavesPerEU: 53
; AccumOffset: 56
; Occupancy: 8
; WaveLimiterHint : 0
; COMPUTE_PGM_RSRC2:SCRATCH_EN: 0
; COMPUTE_PGM_RSRC2:USER_SGPR: 2
; COMPUTE_PGM_RSRC2:TRAP_HANDLER: 0
; COMPUTE_PGM_RSRC2:TGID_X_EN: 1
; COMPUTE_PGM_RSRC2:TGID_Y_EN: 0
; COMPUTE_PGM_RSRC2:TGID_Z_EN: 0
; COMPUTE_PGM_RSRC2:TIDIG_COMP_CNT: 0
; COMPUTE_PGM_RSRC3_GFX90A:ACCUM_OFFSET: 13
; COMPUTE_PGM_RSRC3_GFX90A:TG_SPLIT: 0
	.section	.text._ZN5aiter21activation_kernel_vecIDF16_TnPFfRKT_EXadL_ZNS_16gelu_fast_kernelIDF16_EEfS3_EELi8EEEvPS1_PS2_l,"axG",@progbits,_ZN5aiter21activation_kernel_vecIDF16_TnPFfRKT_EXadL_ZNS_16gelu_fast_kernelIDF16_EEfS3_EELi8EEEvPS1_PS2_l,comdat
	.protected	_ZN5aiter21activation_kernel_vecIDF16_TnPFfRKT_EXadL_ZNS_16gelu_fast_kernelIDF16_EEfS3_EELi8EEEvPS1_PS2_l ; -- Begin function _ZN5aiter21activation_kernel_vecIDF16_TnPFfRKT_EXadL_ZNS_16gelu_fast_kernelIDF16_EEfS3_EELi8EEEvPS1_PS2_l
	.globl	_ZN5aiter21activation_kernel_vecIDF16_TnPFfRKT_EXadL_ZNS_16gelu_fast_kernelIDF16_EEfS3_EELi8EEEvPS1_PS2_l
	.p2align	8
	.type	_ZN5aiter21activation_kernel_vecIDF16_TnPFfRKT_EXadL_ZNS_16gelu_fast_kernelIDF16_EEfS3_EELi8EEEvPS1_PS2_l,@function
_ZN5aiter21activation_kernel_vecIDF16_TnPFfRKT_EXadL_ZNS_16gelu_fast_kernelIDF16_EEfS3_EELi8EEEvPS1_PS2_l: ; @_ZN5aiter21activation_kernel_vecIDF16_TnPFfRKT_EXadL_ZNS_16gelu_fast_kernelIDF16_EEfS3_EELi8EEEvPS1_PS2_l
; %bb.0:
	s_load_dword s3, s[0:1], 0x24
	s_load_dwordx2 s[8:9], s[0:1], 0x10
	s_add_u32 s10, s0, 24
	s_addc_u32 s11, s1, 0
	v_mov_b32_e32 v9, 0
	s_waitcnt lgkmcnt(0)
	s_and_b32 s12, s3, 0xffff
	s_mul_i32 s2, s2, s12
	v_add_lshl_u32 v8, s2, v0, 4
	s_mov_b32 s18, 0xffff
	v_cmp_gt_i64_e32 vcc, s[8:9], v[8:9]
	s_and_saveexec_b64 s[2:3], vcc
	s_cbranch_execz .LBB597_87
; %bb.1:
	s_load_dword s2, s[10:11], 0x0
	s_load_dwordx4 s[4:7], s[0:1], 0x0
	s_mov_b32 s3, 0
	v_lshl_add_u64 v[10:11], v[8:9], 1, 16
	s_mov_b64 s[10:11], 0
	s_waitcnt lgkmcnt(0)
	s_mul_i32 s2, s2, s12
	s_lshl_b32 s2, s2, 4
	s_lshl_b64 s[12:13], s[2:3], 1
	s_mov_b32 s19, 0x40733333
	s_brev_b32 s20, -2
                                        ; implicit-def: $vgpr0
                                        ; implicit-def: $vgpr0
	;; [unrolled: 1-line block ×3, first 2 shown]
	v_mov_b32_e32 v14, 0x4544e000
                                        ; implicit-def: $vgpr0
	s_mov_b32 s21, 0.5
                                        ; implicit-def: $vgpr0_vgpr1_vgpr2_vgpr3
	s_branch .LBB597_3
.LBB597_2:                              ;   in Loop: Header=BB597_3 Depth=1
	s_or_b64 exec, exec, s[14:15]
	v_lshl_add_u64 v[8:9], v[8:9], 0, s[2:3]
	v_cmp_le_i64_e32 vcc, s[8:9], v[8:9]
	s_or_b64 s[10:11], vcc, s[10:11]
	v_lshl_add_u64 v[10:11], v[10:11], 0, s[12:13]
	s_andn2_b64 exec, exec, s[10:11]
	s_cbranch_execz .LBB597_87
.LBB597_3:                              ; =>This Inner Loop Header: Depth=1
	v_lshl_add_u64 v[12:13], s[6:7], 0, v[10:11]
	global_load_dwordx4 v[4:7], v[12:13], off offset:-16
	v_lshl_add_u64 v[16:17], v[8:9], 0, 8
	v_cmp_gt_i64_e64 s[0:1], s[8:9], v[16:17]
	s_and_saveexec_b64 s[14:15], s[0:1]
	s_cbranch_execz .LBB597_5
; %bb.4:                                ;   in Loop: Header=BB597_3 Depth=1
	global_load_dwordx4 v[0:3], v[12:13], off
.LBB597_5:                              ;   in Loop: Header=BB597_3 Depth=1
	s_or_b64 exec, exec, s[14:15]
	s_waitcnt vmcnt(0)
	v_cvt_f32_f16_e32 v12, v4
	v_mul_f32_e32 v13, v12, v12
	v_mul_f32_e32 v13, v13, v12
	;; [unrolled: 1-line block ×3, first 2 shown]
	v_fmac_f32_e32 v15, 0x3d122279, v13
	v_cmp_ge_f32_e64 s[14:15], |v15|, s19
                                        ; implicit-def: $vgpr13
	s_and_saveexec_b64 s[16:17], s[14:15]
	s_xor_b64 s[14:15], exec, s[16:17]
	s_cbranch_execnz .LBB597_8
; %bb.6:                                ;   in Loop: Header=BB597_3 Depth=1
	s_andn2_saveexec_b64 s[14:15], s[14:15]
	s_cbranch_execnz .LBB597_9
.LBB597_7:                              ;   in Loop: Header=BB597_3 Depth=1
	s_or_b64 exec, exec, s[14:15]
	s_and_saveexec_b64 s[14:15], s[0:1]
	s_cbranch_execnz .LBB597_10
	s_branch .LBB597_15
.LBB597_8:                              ;   in Loop: Header=BB597_3 Depth=1
	v_bfi_b32 v13, s20, 1.0, v15
                                        ; implicit-def: $vgpr15
	s_andn2_saveexec_b64 s[14:15], s[14:15]
	s_cbranch_execz .LBB597_7
.LBB597_9:                              ;   in Loop: Header=BB597_3 Depth=1
	v_mul_f32_e32 v13, v15, v15
	v_fmaak_f32 v16, v15, v15, 0x43bd0000
	v_fmaak_f32 v16, v13, v16, 0x46875a00
	v_fmamk_f32 v17, v13, 0x41e00000, v14
	v_fmaak_f32 v16, v13, v16, 0x4803f7c0
	v_fmaak_f32 v17, v13, v17, 0x4773a200
	;; [unrolled: 1-line block ×3, first 2 shown]
	v_mul_f32_e32 v15, v15, v16
	v_div_scale_f32 v16, s[16:17], v13, v13, v15
	v_rcp_f32_e32 v17, v16
	s_nop 0
	v_fma_f32 v18, -v16, v17, 1.0
	v_fmac_f32_e32 v17, v18, v17
	v_div_scale_f32 v18, vcc, v15, v13, v15
	v_mul_f32_e32 v19, v18, v17
	v_fma_f32 v20, -v16, v19, v18
	v_fmac_f32_e32 v19, v20, v17
	v_fma_f32 v16, -v16, v19, v18
	v_div_fmas_f32 v16, v16, v17, v19
	v_div_fixup_f32 v13, v16, v13, v15
	v_med3_f32 v13, v13, -1.0, 1.0
	s_or_b64 exec, exec, s[14:15]
	s_and_saveexec_b64 s[14:15], s[0:1]
	s_cbranch_execz .LBB597_15
.LBB597_10:                             ;   in Loop: Header=BB597_3 Depth=1
	v_cvt_f32_f16_e32 v15, v0
	v_mul_f32_e32 v16, v15, v15
	v_mul_f32_e32 v17, v16, v15
	;; [unrolled: 1-line block ×3, first 2 shown]
	v_fmac_f32_e32 v16, 0x3d122279, v17
	v_cmp_ge_f32_e64 s[16:17], |v16|, s19
                                        ; implicit-def: $vgpr17
	s_and_saveexec_b64 s[22:23], s[16:17]
	s_xor_b64 s[16:17], exec, s[22:23]
; %bb.11:                               ;   in Loop: Header=BB597_3 Depth=1
	v_bfi_b32 v17, s20, 1.0, v16
                                        ; implicit-def: $vgpr16
; %bb.12:                               ;   in Loop: Header=BB597_3 Depth=1
	s_andn2_saveexec_b64 s[16:17], s[16:17]
	s_cbranch_execz .LBB597_14
; %bb.13:                               ;   in Loop: Header=BB597_3 Depth=1
	v_mul_f32_e32 v17, v16, v16
	v_fmaak_f32 v18, v16, v16, 0x43bd0000
	v_fmaak_f32 v18, v17, v18, 0x46875a00
	v_fmamk_f32 v19, v17, 0x41e00000, v14
	v_fmaak_f32 v18, v17, v18, 0x4803f7c0
	v_fmaak_f32 v19, v17, v19, 0x4773a200
	;; [unrolled: 1-line block ×3, first 2 shown]
	v_mul_f32_e32 v16, v16, v18
	v_div_scale_f32 v18, s[22:23], v17, v17, v16
	v_rcp_f32_e32 v19, v18
	s_nop 0
	v_fma_f32 v20, -v18, v19, 1.0
	v_fmac_f32_e32 v19, v20, v19
	v_div_scale_f32 v20, vcc, v16, v17, v16
	v_mul_f32_e32 v21, v20, v19
	v_fma_f32 v22, -v18, v21, v20
	v_fmac_f32_e32 v21, v22, v19
	v_fma_f32 v18, -v18, v21, v20
	v_div_fmas_f32 v18, v18, v19, v21
	v_div_fixup_f32 v16, v18, v17, v16
	v_med3_f32 v17, v16, -1.0, 1.0
.LBB597_14:                             ;   in Loop: Header=BB597_3 Depth=1
	s_or_b64 exec, exec, s[16:17]
	v_fmac_f32_e32 v15, v15, v17
	v_fma_mixlo_f16 v15, v15, s21, 0
	v_bfi_b32 v0, s18, v15, v0
.LBB597_15:                             ;   in Loop: Header=BB597_3 Depth=1
	s_or_b64 exec, exec, s[14:15]
	v_cvt_f32_f16_sdwa v4, v4 dst_sel:DWORD dst_unused:UNUSED_PAD src0_sel:WORD_1
	v_mul_f32_e32 v15, v4, v4
	v_mul_f32_e32 v15, v15, v4
	;; [unrolled: 1-line block ×3, first 2 shown]
	v_fmac_f32_e32 v16, 0x3d122279, v15
	v_cmp_ge_f32_e64 s[14:15], |v16|, s19
                                        ; implicit-def: $vgpr15
	s_and_saveexec_b64 s[16:17], s[14:15]
	s_xor_b64 s[14:15], exec, s[16:17]
	s_cbranch_execnz .LBB597_18
; %bb.16:                               ;   in Loop: Header=BB597_3 Depth=1
	s_andn2_saveexec_b64 s[14:15], s[14:15]
	s_cbranch_execnz .LBB597_19
.LBB597_17:                             ;   in Loop: Header=BB597_3 Depth=1
	s_or_b64 exec, exec, s[14:15]
	s_and_saveexec_b64 s[14:15], s[0:1]
	s_cbranch_execnz .LBB597_20
	s_branch .LBB597_25
.LBB597_18:                             ;   in Loop: Header=BB597_3 Depth=1
	v_bfi_b32 v15, s20, 1.0, v16
                                        ; implicit-def: $vgpr16
	s_andn2_saveexec_b64 s[14:15], s[14:15]
	s_cbranch_execz .LBB597_17
.LBB597_19:                             ;   in Loop: Header=BB597_3 Depth=1
	v_mul_f32_e32 v15, v16, v16
	v_fmaak_f32 v17, v16, v16, 0x43bd0000
	v_fmaak_f32 v17, v15, v17, 0x46875a00
	v_fmamk_f32 v18, v15, 0x41e00000, v14
	v_fmaak_f32 v17, v15, v17, 0x4803f7c0
	v_fmaak_f32 v18, v15, v18, 0x4773a200
	;; [unrolled: 1-line block ×3, first 2 shown]
	v_mul_f32_e32 v16, v16, v17
	v_div_scale_f32 v17, s[16:17], v15, v15, v16
	v_rcp_f32_e32 v18, v17
	s_nop 0
	v_fma_f32 v19, -v17, v18, 1.0
	v_fmac_f32_e32 v18, v19, v18
	v_div_scale_f32 v19, vcc, v16, v15, v16
	v_mul_f32_e32 v20, v19, v18
	v_fma_f32 v21, -v17, v20, v19
	v_fmac_f32_e32 v20, v21, v18
	v_fma_f32 v17, -v17, v20, v19
	v_div_fmas_f32 v17, v17, v18, v20
	v_div_fixup_f32 v15, v17, v15, v16
	v_med3_f32 v15, v15, -1.0, 1.0
	s_or_b64 exec, exec, s[14:15]
	s_and_saveexec_b64 s[14:15], s[0:1]
	s_cbranch_execz .LBB597_25
.LBB597_20:                             ;   in Loop: Header=BB597_3 Depth=1
	v_cvt_f32_f16_sdwa v16, v0 dst_sel:DWORD dst_unused:UNUSED_PAD src0_sel:WORD_1
	v_mul_f32_e32 v17, v16, v16
	v_mul_f32_e32 v18, v17, v16
	;; [unrolled: 1-line block ×3, first 2 shown]
	v_fmac_f32_e32 v17, 0x3d122279, v18
	v_cmp_ge_f32_e64 s[16:17], |v17|, s19
                                        ; implicit-def: $vgpr18
	s_and_saveexec_b64 s[22:23], s[16:17]
	s_xor_b64 s[16:17], exec, s[22:23]
; %bb.21:                               ;   in Loop: Header=BB597_3 Depth=1
	v_bfi_b32 v18, s20, 1.0, v17
                                        ; implicit-def: $vgpr17
; %bb.22:                               ;   in Loop: Header=BB597_3 Depth=1
	s_andn2_saveexec_b64 s[16:17], s[16:17]
	s_cbranch_execz .LBB597_24
; %bb.23:                               ;   in Loop: Header=BB597_3 Depth=1
	v_mul_f32_e32 v18, v17, v17
	v_fmaak_f32 v19, v17, v17, 0x43bd0000
	v_fmaak_f32 v19, v18, v19, 0x46875a00
	v_fmamk_f32 v20, v18, 0x41e00000, v14
	v_fmaak_f32 v19, v18, v19, 0x4803f7c0
	v_fmaak_f32 v20, v18, v20, 0x4773a200
	;; [unrolled: 1-line block ×3, first 2 shown]
	v_mul_f32_e32 v17, v17, v19
	v_div_scale_f32 v19, s[22:23], v18, v18, v17
	v_rcp_f32_e32 v20, v19
	s_nop 0
	v_fma_f32 v21, -v19, v20, 1.0
	v_fmac_f32_e32 v20, v21, v20
	v_div_scale_f32 v21, vcc, v17, v18, v17
	v_mul_f32_e32 v22, v21, v20
	v_fma_f32 v23, -v19, v22, v21
	v_fmac_f32_e32 v22, v23, v20
	v_fma_f32 v19, -v19, v22, v21
	v_div_fmas_f32 v19, v19, v20, v22
	v_div_fixup_f32 v17, v19, v18, v17
	v_med3_f32 v18, v17, -1.0, 1.0
.LBB597_24:                             ;   in Loop: Header=BB597_3 Depth=1
	s_or_b64 exec, exec, s[16:17]
	v_fmac_f32_e32 v16, v16, v18
	v_fma_mixhi_f16 v0, v16, s21, 0
.LBB597_25:                             ;   in Loop: Header=BB597_3 Depth=1
	s_or_b64 exec, exec, s[14:15]
	v_cvt_f32_f16_e32 v16, v5
	v_mul_f32_e32 v17, v16, v16
	v_mul_f32_e32 v17, v17, v16
	;; [unrolled: 1-line block ×3, first 2 shown]
	v_fmac_f32_e32 v18, 0x3d122279, v17
	v_cmp_ge_f32_e64 s[14:15], |v18|, s19
                                        ; implicit-def: $vgpr17
	s_and_saveexec_b64 s[16:17], s[14:15]
	s_xor_b64 s[14:15], exec, s[16:17]
	s_cbranch_execnz .LBB597_28
; %bb.26:                               ;   in Loop: Header=BB597_3 Depth=1
	s_andn2_saveexec_b64 s[14:15], s[14:15]
	s_cbranch_execnz .LBB597_29
.LBB597_27:                             ;   in Loop: Header=BB597_3 Depth=1
	s_or_b64 exec, exec, s[14:15]
	s_and_saveexec_b64 s[14:15], s[0:1]
	s_cbranch_execnz .LBB597_30
	s_branch .LBB597_35
.LBB597_28:                             ;   in Loop: Header=BB597_3 Depth=1
	v_bfi_b32 v17, s20, 1.0, v18
                                        ; implicit-def: $vgpr18
	s_andn2_saveexec_b64 s[14:15], s[14:15]
	s_cbranch_execz .LBB597_27
.LBB597_29:                             ;   in Loop: Header=BB597_3 Depth=1
	v_mul_f32_e32 v17, v18, v18
	v_fmaak_f32 v19, v18, v18, 0x43bd0000
	v_fmaak_f32 v19, v17, v19, 0x46875a00
	v_fmamk_f32 v20, v17, 0x41e00000, v14
	v_fmaak_f32 v19, v17, v19, 0x4803f7c0
	v_fmaak_f32 v20, v17, v20, 0x4773a200
	;; [unrolled: 1-line block ×3, first 2 shown]
	v_mul_f32_e32 v18, v18, v19
	v_div_scale_f32 v19, s[16:17], v17, v17, v18
	v_rcp_f32_e32 v20, v19
	s_nop 0
	v_fma_f32 v21, -v19, v20, 1.0
	v_fmac_f32_e32 v20, v21, v20
	v_div_scale_f32 v21, vcc, v18, v17, v18
	v_mul_f32_e32 v22, v21, v20
	v_fma_f32 v23, -v19, v22, v21
	v_fmac_f32_e32 v22, v23, v20
	v_fma_f32 v19, -v19, v22, v21
	v_div_fmas_f32 v19, v19, v20, v22
	v_div_fixup_f32 v17, v19, v17, v18
	v_med3_f32 v17, v17, -1.0, 1.0
	s_or_b64 exec, exec, s[14:15]
	s_and_saveexec_b64 s[14:15], s[0:1]
	s_cbranch_execz .LBB597_35
.LBB597_30:                             ;   in Loop: Header=BB597_3 Depth=1
	v_cvt_f32_f16_e32 v18, v1
	v_mul_f32_e32 v19, v18, v18
	v_mul_f32_e32 v20, v19, v18
	v_mul_f32_e32 v19, 0x3f4c422a, v18
	v_fmac_f32_e32 v19, 0x3d122279, v20
	v_cmp_ge_f32_e64 s[16:17], |v19|, s19
                                        ; implicit-def: $vgpr20
	s_and_saveexec_b64 s[22:23], s[16:17]
	s_xor_b64 s[16:17], exec, s[22:23]
; %bb.31:                               ;   in Loop: Header=BB597_3 Depth=1
	v_bfi_b32 v20, s20, 1.0, v19
                                        ; implicit-def: $vgpr19
; %bb.32:                               ;   in Loop: Header=BB597_3 Depth=1
	s_andn2_saveexec_b64 s[16:17], s[16:17]
	s_cbranch_execz .LBB597_34
; %bb.33:                               ;   in Loop: Header=BB597_3 Depth=1
	v_mul_f32_e32 v20, v19, v19
	v_fmaak_f32 v21, v19, v19, 0x43bd0000
	v_fmaak_f32 v21, v20, v21, 0x46875a00
	v_fmamk_f32 v22, v20, 0x41e00000, v14
	v_fmaak_f32 v21, v20, v21, 0x4803f7c0
	v_fmaak_f32 v22, v20, v22, 0x4773a200
	;; [unrolled: 1-line block ×3, first 2 shown]
	v_mul_f32_e32 v19, v19, v21
	v_div_scale_f32 v21, s[22:23], v20, v20, v19
	v_rcp_f32_e32 v22, v21
	s_nop 0
	v_fma_f32 v23, -v21, v22, 1.0
	v_fmac_f32_e32 v22, v23, v22
	v_div_scale_f32 v23, vcc, v19, v20, v19
	v_mul_f32_e32 v24, v23, v22
	v_fma_f32 v25, -v21, v24, v23
	v_fmac_f32_e32 v24, v25, v22
	v_fma_f32 v21, -v21, v24, v23
	v_div_fmas_f32 v21, v21, v22, v24
	v_div_fixup_f32 v19, v21, v20, v19
	v_med3_f32 v20, v19, -1.0, 1.0
.LBB597_34:                             ;   in Loop: Header=BB597_3 Depth=1
	s_or_b64 exec, exec, s[16:17]
	v_fmac_f32_e32 v18, v18, v20
	v_fma_mixlo_f16 v18, v18, s21, 0
	v_bfi_b32 v1, s18, v18, v1
.LBB597_35:                             ;   in Loop: Header=BB597_3 Depth=1
	s_or_b64 exec, exec, s[14:15]
	v_cvt_f32_f16_sdwa v5, v5 dst_sel:DWORD dst_unused:UNUSED_PAD src0_sel:WORD_1
	v_mul_f32_e32 v18, v5, v5
	v_mul_f32_e32 v18, v18, v5
	;; [unrolled: 1-line block ×3, first 2 shown]
	v_fmac_f32_e32 v19, 0x3d122279, v18
	v_cmp_ge_f32_e64 s[14:15], |v19|, s19
                                        ; implicit-def: $vgpr18
	s_and_saveexec_b64 s[16:17], s[14:15]
	s_xor_b64 s[14:15], exec, s[16:17]
	s_cbranch_execnz .LBB597_38
; %bb.36:                               ;   in Loop: Header=BB597_3 Depth=1
	s_andn2_saveexec_b64 s[14:15], s[14:15]
	s_cbranch_execnz .LBB597_39
.LBB597_37:                             ;   in Loop: Header=BB597_3 Depth=1
	s_or_b64 exec, exec, s[14:15]
	s_and_saveexec_b64 s[14:15], s[0:1]
	s_cbranch_execnz .LBB597_40
	s_branch .LBB597_45
.LBB597_38:                             ;   in Loop: Header=BB597_3 Depth=1
	v_bfi_b32 v18, s20, 1.0, v19
                                        ; implicit-def: $vgpr19
	s_andn2_saveexec_b64 s[14:15], s[14:15]
	s_cbranch_execz .LBB597_37
.LBB597_39:                             ;   in Loop: Header=BB597_3 Depth=1
	v_mul_f32_e32 v18, v19, v19
	v_fmaak_f32 v20, v19, v19, 0x43bd0000
	v_fmaak_f32 v20, v18, v20, 0x46875a00
	v_fmamk_f32 v21, v18, 0x41e00000, v14
	v_fmaak_f32 v20, v18, v20, 0x4803f7c0
	v_fmaak_f32 v21, v18, v21, 0x4773a200
	;; [unrolled: 1-line block ×3, first 2 shown]
	v_mul_f32_e32 v19, v19, v20
	v_div_scale_f32 v20, s[16:17], v18, v18, v19
	v_rcp_f32_e32 v21, v20
	s_nop 0
	v_fma_f32 v22, -v20, v21, 1.0
	v_fmac_f32_e32 v21, v22, v21
	v_div_scale_f32 v22, vcc, v19, v18, v19
	v_mul_f32_e32 v23, v22, v21
	v_fma_f32 v24, -v20, v23, v22
	v_fmac_f32_e32 v23, v24, v21
	v_fma_f32 v20, -v20, v23, v22
	v_div_fmas_f32 v20, v20, v21, v23
	v_div_fixup_f32 v18, v20, v18, v19
	v_med3_f32 v18, v18, -1.0, 1.0
	s_or_b64 exec, exec, s[14:15]
	s_and_saveexec_b64 s[14:15], s[0:1]
	s_cbranch_execz .LBB597_45
.LBB597_40:                             ;   in Loop: Header=BB597_3 Depth=1
	v_cvt_f32_f16_sdwa v19, v1 dst_sel:DWORD dst_unused:UNUSED_PAD src0_sel:WORD_1
	v_mul_f32_e32 v20, v19, v19
	v_mul_f32_e32 v21, v20, v19
	v_mul_f32_e32 v20, 0x3f4c422a, v19
	v_fmac_f32_e32 v20, 0x3d122279, v21
	v_cmp_ge_f32_e64 s[16:17], |v20|, s19
                                        ; implicit-def: $vgpr21
	s_and_saveexec_b64 s[22:23], s[16:17]
	s_xor_b64 s[16:17], exec, s[22:23]
; %bb.41:                               ;   in Loop: Header=BB597_3 Depth=1
	v_bfi_b32 v21, s20, 1.0, v20
                                        ; implicit-def: $vgpr20
; %bb.42:                               ;   in Loop: Header=BB597_3 Depth=1
	s_andn2_saveexec_b64 s[16:17], s[16:17]
	s_cbranch_execz .LBB597_44
; %bb.43:                               ;   in Loop: Header=BB597_3 Depth=1
	v_mul_f32_e32 v21, v20, v20
	v_fmaak_f32 v22, v20, v20, 0x43bd0000
	v_fmaak_f32 v22, v21, v22, 0x46875a00
	v_fmamk_f32 v23, v21, 0x41e00000, v14
	v_fmaak_f32 v22, v21, v22, 0x4803f7c0
	v_fmaak_f32 v23, v21, v23, 0x4773a200
	;; [unrolled: 1-line block ×3, first 2 shown]
	v_mul_f32_e32 v20, v20, v22
	v_div_scale_f32 v22, s[22:23], v21, v21, v20
	v_rcp_f32_e32 v23, v22
	s_nop 0
	v_fma_f32 v24, -v22, v23, 1.0
	v_fmac_f32_e32 v23, v24, v23
	v_div_scale_f32 v24, vcc, v20, v21, v20
	v_mul_f32_e32 v25, v24, v23
	v_fma_f32 v26, -v22, v25, v24
	v_fmac_f32_e32 v25, v26, v23
	v_fma_f32 v22, -v22, v25, v24
	v_div_fmas_f32 v22, v22, v23, v25
	v_div_fixup_f32 v20, v22, v21, v20
	v_med3_f32 v21, v20, -1.0, 1.0
.LBB597_44:                             ;   in Loop: Header=BB597_3 Depth=1
	s_or_b64 exec, exec, s[16:17]
	v_fmac_f32_e32 v19, v19, v21
	v_fma_mixhi_f16 v1, v19, s21, 0
.LBB597_45:                             ;   in Loop: Header=BB597_3 Depth=1
	s_or_b64 exec, exec, s[14:15]
	v_cvt_f32_f16_e32 v19, v6
	v_mul_f32_e32 v20, v19, v19
	v_mul_f32_e32 v20, v20, v19
	;; [unrolled: 1-line block ×3, first 2 shown]
	v_fmac_f32_e32 v21, 0x3d122279, v20
	v_cmp_ge_f32_e64 s[14:15], |v21|, s19
                                        ; implicit-def: $vgpr20
	s_and_saveexec_b64 s[16:17], s[14:15]
	s_xor_b64 s[14:15], exec, s[16:17]
	s_cbranch_execnz .LBB597_48
; %bb.46:                               ;   in Loop: Header=BB597_3 Depth=1
	s_andn2_saveexec_b64 s[14:15], s[14:15]
	s_cbranch_execnz .LBB597_49
.LBB597_47:                             ;   in Loop: Header=BB597_3 Depth=1
	s_or_b64 exec, exec, s[14:15]
	s_and_saveexec_b64 s[14:15], s[0:1]
	s_cbranch_execnz .LBB597_50
	s_branch .LBB597_55
.LBB597_48:                             ;   in Loop: Header=BB597_3 Depth=1
	v_bfi_b32 v20, s20, 1.0, v21
                                        ; implicit-def: $vgpr21
	s_andn2_saveexec_b64 s[14:15], s[14:15]
	s_cbranch_execz .LBB597_47
.LBB597_49:                             ;   in Loop: Header=BB597_3 Depth=1
	v_mul_f32_e32 v20, v21, v21
	v_fmaak_f32 v22, v21, v21, 0x43bd0000
	v_fmaak_f32 v22, v20, v22, 0x46875a00
	v_fmamk_f32 v23, v20, 0x41e00000, v14
	v_fmaak_f32 v22, v20, v22, 0x4803f7c0
	v_fmaak_f32 v23, v20, v23, 0x4773a200
	;; [unrolled: 1-line block ×3, first 2 shown]
	v_mul_f32_e32 v21, v21, v22
	v_div_scale_f32 v22, s[16:17], v20, v20, v21
	v_rcp_f32_e32 v23, v22
	s_nop 0
	v_fma_f32 v24, -v22, v23, 1.0
	v_fmac_f32_e32 v23, v24, v23
	v_div_scale_f32 v24, vcc, v21, v20, v21
	v_mul_f32_e32 v25, v24, v23
	v_fma_f32 v26, -v22, v25, v24
	v_fmac_f32_e32 v25, v26, v23
	v_fma_f32 v22, -v22, v25, v24
	v_div_fmas_f32 v22, v22, v23, v25
	v_div_fixup_f32 v20, v22, v20, v21
	v_med3_f32 v20, v20, -1.0, 1.0
	s_or_b64 exec, exec, s[14:15]
	s_and_saveexec_b64 s[14:15], s[0:1]
	s_cbranch_execz .LBB597_55
.LBB597_50:                             ;   in Loop: Header=BB597_3 Depth=1
	v_cvt_f32_f16_e32 v21, v2
	v_mul_f32_e32 v22, v21, v21
	v_mul_f32_e32 v23, v22, v21
	;; [unrolled: 1-line block ×3, first 2 shown]
	v_fmac_f32_e32 v22, 0x3d122279, v23
	v_cmp_ge_f32_e64 s[16:17], |v22|, s19
                                        ; implicit-def: $vgpr23
	s_and_saveexec_b64 s[22:23], s[16:17]
	s_xor_b64 s[16:17], exec, s[22:23]
; %bb.51:                               ;   in Loop: Header=BB597_3 Depth=1
	v_bfi_b32 v23, s20, 1.0, v22
                                        ; implicit-def: $vgpr22
; %bb.52:                               ;   in Loop: Header=BB597_3 Depth=1
	s_andn2_saveexec_b64 s[16:17], s[16:17]
	s_cbranch_execz .LBB597_54
; %bb.53:                               ;   in Loop: Header=BB597_3 Depth=1
	v_mul_f32_e32 v23, v22, v22
	v_fmaak_f32 v24, v22, v22, 0x43bd0000
	v_fmaak_f32 v24, v23, v24, 0x46875a00
	v_fmamk_f32 v25, v23, 0x41e00000, v14
	v_fmaak_f32 v24, v23, v24, 0x4803f7c0
	v_fmaak_f32 v25, v23, v25, 0x4773a200
	;; [unrolled: 1-line block ×3, first 2 shown]
	v_mul_f32_e32 v22, v22, v24
	v_div_scale_f32 v24, s[22:23], v23, v23, v22
	v_rcp_f32_e32 v25, v24
	s_nop 0
	v_fma_f32 v26, -v24, v25, 1.0
	v_fmac_f32_e32 v25, v26, v25
	v_div_scale_f32 v26, vcc, v22, v23, v22
	v_mul_f32_e32 v27, v26, v25
	v_fma_f32 v28, -v24, v27, v26
	v_fmac_f32_e32 v27, v28, v25
	v_fma_f32 v24, -v24, v27, v26
	v_div_fmas_f32 v24, v24, v25, v27
	v_div_fixup_f32 v22, v24, v23, v22
	v_med3_f32 v23, v22, -1.0, 1.0
.LBB597_54:                             ;   in Loop: Header=BB597_3 Depth=1
	s_or_b64 exec, exec, s[16:17]
	v_fmac_f32_e32 v21, v21, v23
	v_fma_mixlo_f16 v21, v21, s21, 0
	v_bfi_b32 v2, s18, v21, v2
.LBB597_55:                             ;   in Loop: Header=BB597_3 Depth=1
	s_or_b64 exec, exec, s[14:15]
	v_cvt_f32_f16_sdwa v6, v6 dst_sel:DWORD dst_unused:UNUSED_PAD src0_sel:WORD_1
	v_mul_f32_e32 v21, v6, v6
	v_mul_f32_e32 v21, v21, v6
	;; [unrolled: 1-line block ×3, first 2 shown]
	v_fmac_f32_e32 v22, 0x3d122279, v21
	v_cmp_ge_f32_e64 s[14:15], |v22|, s19
                                        ; implicit-def: $vgpr21
	s_and_saveexec_b64 s[16:17], s[14:15]
	s_xor_b64 s[14:15], exec, s[16:17]
	s_cbranch_execnz .LBB597_58
; %bb.56:                               ;   in Loop: Header=BB597_3 Depth=1
	s_andn2_saveexec_b64 s[14:15], s[14:15]
	s_cbranch_execnz .LBB597_59
.LBB597_57:                             ;   in Loop: Header=BB597_3 Depth=1
	s_or_b64 exec, exec, s[14:15]
	s_and_saveexec_b64 s[14:15], s[0:1]
	s_cbranch_execnz .LBB597_60
	s_branch .LBB597_65
.LBB597_58:                             ;   in Loop: Header=BB597_3 Depth=1
	v_bfi_b32 v21, s20, 1.0, v22
                                        ; implicit-def: $vgpr22
	s_andn2_saveexec_b64 s[14:15], s[14:15]
	s_cbranch_execz .LBB597_57
.LBB597_59:                             ;   in Loop: Header=BB597_3 Depth=1
	v_mul_f32_e32 v21, v22, v22
	v_fmaak_f32 v23, v22, v22, 0x43bd0000
	v_fmaak_f32 v23, v21, v23, 0x46875a00
	v_fmamk_f32 v24, v21, 0x41e00000, v14
	v_fmaak_f32 v23, v21, v23, 0x4803f7c0
	v_fmaak_f32 v24, v21, v24, 0x4773a200
	;; [unrolled: 1-line block ×3, first 2 shown]
	v_mul_f32_e32 v22, v22, v23
	v_div_scale_f32 v23, s[16:17], v21, v21, v22
	v_rcp_f32_e32 v24, v23
	s_nop 0
	v_fma_f32 v25, -v23, v24, 1.0
	v_fmac_f32_e32 v24, v25, v24
	v_div_scale_f32 v25, vcc, v22, v21, v22
	v_mul_f32_e32 v26, v25, v24
	v_fma_f32 v27, -v23, v26, v25
	v_fmac_f32_e32 v26, v27, v24
	v_fma_f32 v23, -v23, v26, v25
	v_div_fmas_f32 v23, v23, v24, v26
	v_div_fixup_f32 v21, v23, v21, v22
	v_med3_f32 v21, v21, -1.0, 1.0
	s_or_b64 exec, exec, s[14:15]
	s_and_saveexec_b64 s[14:15], s[0:1]
	s_cbranch_execz .LBB597_65
.LBB597_60:                             ;   in Loop: Header=BB597_3 Depth=1
	v_cvt_f32_f16_sdwa v22, v2 dst_sel:DWORD dst_unused:UNUSED_PAD src0_sel:WORD_1
	v_mul_f32_e32 v23, v22, v22
	v_mul_f32_e32 v24, v23, v22
	v_mul_f32_e32 v23, 0x3f4c422a, v22
	v_fmac_f32_e32 v23, 0x3d122279, v24
	v_cmp_ge_f32_e64 s[16:17], |v23|, s19
                                        ; implicit-def: $vgpr24
	s_and_saveexec_b64 s[22:23], s[16:17]
	s_xor_b64 s[16:17], exec, s[22:23]
; %bb.61:                               ;   in Loop: Header=BB597_3 Depth=1
	v_bfi_b32 v24, s20, 1.0, v23
                                        ; implicit-def: $vgpr23
; %bb.62:                               ;   in Loop: Header=BB597_3 Depth=1
	s_andn2_saveexec_b64 s[16:17], s[16:17]
	s_cbranch_execz .LBB597_64
; %bb.63:                               ;   in Loop: Header=BB597_3 Depth=1
	v_mul_f32_e32 v24, v23, v23
	v_fmaak_f32 v25, v23, v23, 0x43bd0000
	v_fmaak_f32 v25, v24, v25, 0x46875a00
	v_fmamk_f32 v26, v24, 0x41e00000, v14
	v_fmaak_f32 v25, v24, v25, 0x4803f7c0
	v_fmaak_f32 v26, v24, v26, 0x4773a200
	;; [unrolled: 1-line block ×3, first 2 shown]
	v_mul_f32_e32 v23, v23, v25
	v_div_scale_f32 v25, s[22:23], v24, v24, v23
	v_rcp_f32_e32 v26, v25
	s_nop 0
	v_fma_f32 v27, -v25, v26, 1.0
	v_fmac_f32_e32 v26, v27, v26
	v_div_scale_f32 v27, vcc, v23, v24, v23
	v_mul_f32_e32 v28, v27, v26
	v_fma_f32 v29, -v25, v28, v27
	v_fmac_f32_e32 v28, v29, v26
	v_fma_f32 v25, -v25, v28, v27
	v_div_fmas_f32 v25, v25, v26, v28
	v_div_fixup_f32 v23, v25, v24, v23
	v_med3_f32 v24, v23, -1.0, 1.0
.LBB597_64:                             ;   in Loop: Header=BB597_3 Depth=1
	s_or_b64 exec, exec, s[16:17]
	v_fmac_f32_e32 v22, v22, v24
	v_fma_mixhi_f16 v2, v22, s21, 0
.LBB597_65:                             ;   in Loop: Header=BB597_3 Depth=1
	s_or_b64 exec, exec, s[14:15]
	v_cvt_f32_f16_e32 v22, v7
	v_mul_f32_e32 v23, v22, v22
	v_mul_f32_e32 v23, v23, v22
	;; [unrolled: 1-line block ×3, first 2 shown]
	v_fmac_f32_e32 v24, 0x3d122279, v23
	v_cmp_ge_f32_e64 s[14:15], |v24|, s19
                                        ; implicit-def: $vgpr23
	s_and_saveexec_b64 s[16:17], s[14:15]
	s_xor_b64 s[14:15], exec, s[16:17]
	s_cbranch_execnz .LBB597_68
; %bb.66:                               ;   in Loop: Header=BB597_3 Depth=1
	s_andn2_saveexec_b64 s[14:15], s[14:15]
	s_cbranch_execnz .LBB597_69
.LBB597_67:                             ;   in Loop: Header=BB597_3 Depth=1
	s_or_b64 exec, exec, s[14:15]
	s_and_saveexec_b64 s[14:15], s[0:1]
	s_cbranch_execnz .LBB597_70
	s_branch .LBB597_75
.LBB597_68:                             ;   in Loop: Header=BB597_3 Depth=1
	v_bfi_b32 v23, s20, 1.0, v24
                                        ; implicit-def: $vgpr24
	s_andn2_saveexec_b64 s[14:15], s[14:15]
	s_cbranch_execz .LBB597_67
.LBB597_69:                             ;   in Loop: Header=BB597_3 Depth=1
	v_mul_f32_e32 v23, v24, v24
	v_fmaak_f32 v25, v24, v24, 0x43bd0000
	v_fmaak_f32 v25, v23, v25, 0x46875a00
	v_fmamk_f32 v26, v23, 0x41e00000, v14
	v_fmaak_f32 v25, v23, v25, 0x4803f7c0
	v_fmaak_f32 v26, v23, v26, 0x4773a200
	;; [unrolled: 1-line block ×3, first 2 shown]
	v_mul_f32_e32 v24, v24, v25
	v_div_scale_f32 v25, s[16:17], v23, v23, v24
	v_rcp_f32_e32 v26, v25
	s_nop 0
	v_fma_f32 v27, -v25, v26, 1.0
	v_fmac_f32_e32 v26, v27, v26
	v_div_scale_f32 v27, vcc, v24, v23, v24
	v_mul_f32_e32 v28, v27, v26
	v_fma_f32 v29, -v25, v28, v27
	v_fmac_f32_e32 v28, v29, v26
	v_fma_f32 v25, -v25, v28, v27
	v_div_fmas_f32 v25, v25, v26, v28
	v_div_fixup_f32 v23, v25, v23, v24
	v_med3_f32 v23, v23, -1.0, 1.0
	s_or_b64 exec, exec, s[14:15]
	s_and_saveexec_b64 s[14:15], s[0:1]
	s_cbranch_execz .LBB597_75
.LBB597_70:                             ;   in Loop: Header=BB597_3 Depth=1
	v_cvt_f32_f16_e32 v24, v3
	v_mul_f32_e32 v25, v24, v24
	v_mul_f32_e32 v26, v25, v24
	;; [unrolled: 1-line block ×3, first 2 shown]
	v_fmac_f32_e32 v25, 0x3d122279, v26
	v_cmp_ge_f32_e64 s[16:17], |v25|, s19
                                        ; implicit-def: $vgpr26
	s_and_saveexec_b64 s[22:23], s[16:17]
	s_xor_b64 s[16:17], exec, s[22:23]
; %bb.71:                               ;   in Loop: Header=BB597_3 Depth=1
	v_bfi_b32 v26, s20, 1.0, v25
                                        ; implicit-def: $vgpr25
; %bb.72:                               ;   in Loop: Header=BB597_3 Depth=1
	s_andn2_saveexec_b64 s[16:17], s[16:17]
	s_cbranch_execz .LBB597_74
; %bb.73:                               ;   in Loop: Header=BB597_3 Depth=1
	v_mul_f32_e32 v26, v25, v25
	v_fmaak_f32 v27, v25, v25, 0x43bd0000
	v_fmaak_f32 v27, v26, v27, 0x46875a00
	v_fmamk_f32 v28, v26, 0x41e00000, v14
	v_fmaak_f32 v27, v26, v27, 0x4803f7c0
	v_fmaak_f32 v28, v26, v28, 0x4773a200
	;; [unrolled: 1-line block ×3, first 2 shown]
	v_mul_f32_e32 v25, v25, v27
	v_div_scale_f32 v27, s[22:23], v26, v26, v25
	v_rcp_f32_e32 v28, v27
	s_nop 0
	v_fma_f32 v29, -v27, v28, 1.0
	v_fmac_f32_e32 v28, v29, v28
	v_div_scale_f32 v29, vcc, v25, v26, v25
	v_mul_f32_e32 v30, v29, v28
	v_fma_f32 v31, -v27, v30, v29
	v_fmac_f32_e32 v30, v31, v28
	v_fma_f32 v27, -v27, v30, v29
	v_div_fmas_f32 v27, v27, v28, v30
	v_div_fixup_f32 v25, v27, v26, v25
	v_med3_f32 v26, v25, -1.0, 1.0
.LBB597_74:                             ;   in Loop: Header=BB597_3 Depth=1
	s_or_b64 exec, exec, s[16:17]
	v_fmac_f32_e32 v24, v24, v26
	v_fma_mixlo_f16 v24, v24, s21, 0
	v_bfi_b32 v3, s18, v24, v3
.LBB597_75:                             ;   in Loop: Header=BB597_3 Depth=1
	s_or_b64 exec, exec, s[14:15]
	v_cvt_f32_f16_sdwa v7, v7 dst_sel:DWORD dst_unused:UNUSED_PAD src0_sel:WORD_1
	v_mul_f32_e32 v24, v7, v7
	v_mul_f32_e32 v24, v24, v7
	;; [unrolled: 1-line block ×3, first 2 shown]
	v_fmac_f32_e32 v25, 0x3d122279, v24
	v_cmp_ge_f32_e64 s[14:15], |v25|, s19
                                        ; implicit-def: $vgpr24
	s_and_saveexec_b64 s[16:17], s[14:15]
	s_xor_b64 s[14:15], exec, s[16:17]
	s_cbranch_execnz .LBB597_78
; %bb.76:                               ;   in Loop: Header=BB597_3 Depth=1
	s_andn2_saveexec_b64 s[14:15], s[14:15]
	s_cbranch_execnz .LBB597_79
.LBB597_77:                             ;   in Loop: Header=BB597_3 Depth=1
	s_or_b64 exec, exec, s[14:15]
	s_and_saveexec_b64 s[14:15], s[0:1]
	s_cbranch_execnz .LBB597_80
	s_branch .LBB597_85
.LBB597_78:                             ;   in Loop: Header=BB597_3 Depth=1
	v_bfi_b32 v24, s20, 1.0, v25
                                        ; implicit-def: $vgpr25
	s_andn2_saveexec_b64 s[14:15], s[14:15]
	s_cbranch_execz .LBB597_77
.LBB597_79:                             ;   in Loop: Header=BB597_3 Depth=1
	v_mul_f32_e32 v24, v25, v25
	v_fmaak_f32 v26, v25, v25, 0x43bd0000
	v_fmaak_f32 v26, v24, v26, 0x46875a00
	v_fmamk_f32 v27, v24, 0x41e00000, v14
	v_fmaak_f32 v26, v24, v26, 0x4803f7c0
	v_fmaak_f32 v27, v24, v27, 0x4773a200
	;; [unrolled: 1-line block ×3, first 2 shown]
	v_mul_f32_e32 v25, v25, v26
	v_div_scale_f32 v26, s[16:17], v24, v24, v25
	v_rcp_f32_e32 v27, v26
	s_nop 0
	v_fma_f32 v28, -v26, v27, 1.0
	v_fmac_f32_e32 v27, v28, v27
	v_div_scale_f32 v28, vcc, v25, v24, v25
	v_mul_f32_e32 v29, v28, v27
	v_fma_f32 v30, -v26, v29, v28
	v_fmac_f32_e32 v29, v30, v27
	v_fma_f32 v26, -v26, v29, v28
	v_div_fmas_f32 v26, v26, v27, v29
	v_div_fixup_f32 v24, v26, v24, v25
	v_med3_f32 v24, v24, -1.0, 1.0
	s_or_b64 exec, exec, s[14:15]
	s_and_saveexec_b64 s[14:15], s[0:1]
	s_cbranch_execz .LBB597_85
.LBB597_80:                             ;   in Loop: Header=BB597_3 Depth=1
	v_cvt_f32_f16_sdwa v25, v3 dst_sel:DWORD dst_unused:UNUSED_PAD src0_sel:WORD_1
	v_mul_f32_e32 v26, v25, v25
	v_mul_f32_e32 v27, v26, v25
	;; [unrolled: 1-line block ×3, first 2 shown]
	v_fmac_f32_e32 v26, 0x3d122279, v27
	v_cmp_ge_f32_e64 s[16:17], |v26|, s19
                                        ; implicit-def: $vgpr27
	s_and_saveexec_b64 s[22:23], s[16:17]
	s_xor_b64 s[16:17], exec, s[22:23]
; %bb.81:                               ;   in Loop: Header=BB597_3 Depth=1
	v_bfi_b32 v27, s20, 1.0, v26
                                        ; implicit-def: $vgpr26
; %bb.82:                               ;   in Loop: Header=BB597_3 Depth=1
	s_andn2_saveexec_b64 s[16:17], s[16:17]
	s_cbranch_execz .LBB597_84
; %bb.83:                               ;   in Loop: Header=BB597_3 Depth=1
	v_mul_f32_e32 v27, v26, v26
	v_fmaak_f32 v28, v26, v26, 0x43bd0000
	v_fmaak_f32 v28, v27, v28, 0x46875a00
	v_fmamk_f32 v29, v27, 0x41e00000, v14
	v_fmaak_f32 v28, v27, v28, 0x4803f7c0
	v_fmaak_f32 v29, v27, v29, 0x4773a200
	;; [unrolled: 1-line block ×3, first 2 shown]
	v_mul_f32_e32 v26, v26, v28
	v_div_scale_f32 v28, s[22:23], v27, v27, v26
	v_rcp_f32_e32 v29, v28
	s_nop 0
	v_fma_f32 v30, -v28, v29, 1.0
	v_fmac_f32_e32 v29, v30, v29
	v_div_scale_f32 v30, vcc, v26, v27, v26
	v_mul_f32_e32 v31, v30, v29
	v_fma_f32 v32, -v28, v31, v30
	v_fmac_f32_e32 v31, v32, v29
	v_fma_f32 v28, -v28, v31, v30
	v_div_fmas_f32 v28, v28, v29, v31
	v_div_fixup_f32 v26, v28, v27, v26
	v_med3_f32 v27, v26, -1.0, 1.0
.LBB597_84:                             ;   in Loop: Header=BB597_3 Depth=1
	s_or_b64 exec, exec, s[16:17]
	v_fmac_f32_e32 v25, v25, v27
	v_fma_mixhi_f16 v3, v25, s21, 0
.LBB597_85:                             ;   in Loop: Header=BB597_3 Depth=1
	s_or_b64 exec, exec, s[14:15]
	v_fmac_f32_e32 v12, v12, v13
	v_fmac_f32_e32 v16, v16, v17
	;; [unrolled: 1-line block ×4, first 2 shown]
	v_fma_mixlo_f16 v26, v12, s21, 0
	v_fmac_f32_e32 v4, v4, v15
	v_fma_mixlo_f16 v27, v16, s21, 0
	v_fmac_f32_e32 v5, v5, v18
	;; [unrolled: 2-line block ×4, first 2 shown]
	v_fma_mixhi_f16 v29, v7, s21, 0
	v_fma_mixhi_f16 v28, v6, s21, 0
	;; [unrolled: 1-line block ×4, first 2 shown]
	v_lshl_add_u64 v[4:5], s[4:5], 0, v[10:11]
	global_store_dwordx4 v[4:5], v[26:29], off offset:-16
	s_and_saveexec_b64 s[14:15], s[0:1]
	s_cbranch_execz .LBB597_2
; %bb.86:                               ;   in Loop: Header=BB597_3 Depth=1
	global_store_dwordx4 v[4:5], v[0:3], off
	s_branch .LBB597_2
.LBB597_87:
	s_endpgm
	.section	.rodata,"a",@progbits
	.p2align	6, 0x0
	.amdhsa_kernel _ZN5aiter21activation_kernel_vecIDF16_TnPFfRKT_EXadL_ZNS_16gelu_fast_kernelIDF16_EEfS3_EELi8EEEvPS1_PS2_l
		.amdhsa_group_segment_fixed_size 0
		.amdhsa_private_segment_fixed_size 0
		.amdhsa_kernarg_size 280
		.amdhsa_user_sgpr_count 2
		.amdhsa_user_sgpr_dispatch_ptr 0
		.amdhsa_user_sgpr_queue_ptr 0
		.amdhsa_user_sgpr_kernarg_segment_ptr 1
		.amdhsa_user_sgpr_dispatch_id 0
		.amdhsa_user_sgpr_kernarg_preload_length 0
		.amdhsa_user_sgpr_kernarg_preload_offset 0
		.amdhsa_user_sgpr_private_segment_size 0
		.amdhsa_uses_dynamic_stack 0
		.amdhsa_enable_private_segment 0
		.amdhsa_system_sgpr_workgroup_id_x 1
		.amdhsa_system_sgpr_workgroup_id_y 0
		.amdhsa_system_sgpr_workgroup_id_z 0
		.amdhsa_system_sgpr_workgroup_info 0
		.amdhsa_system_vgpr_workitem_id 0
		.amdhsa_next_free_vgpr 33
		.amdhsa_next_free_sgpr 24
		.amdhsa_accum_offset 36
		.amdhsa_reserve_vcc 1
		.amdhsa_float_round_mode_32 0
		.amdhsa_float_round_mode_16_64 0
		.amdhsa_float_denorm_mode_32 3
		.amdhsa_float_denorm_mode_16_64 3
		.amdhsa_dx10_clamp 1
		.amdhsa_ieee_mode 1
		.amdhsa_fp16_overflow 0
		.amdhsa_tg_split 0
		.amdhsa_exception_fp_ieee_invalid_op 0
		.amdhsa_exception_fp_denorm_src 0
		.amdhsa_exception_fp_ieee_div_zero 0
		.amdhsa_exception_fp_ieee_overflow 0
		.amdhsa_exception_fp_ieee_underflow 0
		.amdhsa_exception_fp_ieee_inexact 0
		.amdhsa_exception_int_div_zero 0
	.end_amdhsa_kernel
	.section	.text._ZN5aiter21activation_kernel_vecIDF16_TnPFfRKT_EXadL_ZNS_16gelu_fast_kernelIDF16_EEfS3_EELi8EEEvPS1_PS2_l,"axG",@progbits,_ZN5aiter21activation_kernel_vecIDF16_TnPFfRKT_EXadL_ZNS_16gelu_fast_kernelIDF16_EEfS3_EELi8EEEvPS1_PS2_l,comdat
.Lfunc_end597:
	.size	_ZN5aiter21activation_kernel_vecIDF16_TnPFfRKT_EXadL_ZNS_16gelu_fast_kernelIDF16_EEfS3_EELi8EEEvPS1_PS2_l, .Lfunc_end597-_ZN5aiter21activation_kernel_vecIDF16_TnPFfRKT_EXadL_ZNS_16gelu_fast_kernelIDF16_EEfS3_EELi8EEEvPS1_PS2_l
                                        ; -- End function
	.section	.AMDGPU.csdata,"",@progbits
; Kernel info:
; codeLenInByte = 4120
; NumSgprs: 30
; NumVgprs: 33
; NumAgprs: 0
; TotalNumVgprs: 33
; ScratchSize: 0
; MemoryBound: 0
; FloatMode: 240
; IeeeMode: 1
; LDSByteSize: 0 bytes/workgroup (compile time only)
; SGPRBlocks: 3
; VGPRBlocks: 4
; NumSGPRsForWavesPerEU: 30
; NumVGPRsForWavesPerEU: 33
; AccumOffset: 36
; Occupancy: 8
; WaveLimiterHint : 0
; COMPUTE_PGM_RSRC2:SCRATCH_EN: 0
; COMPUTE_PGM_RSRC2:USER_SGPR: 2
; COMPUTE_PGM_RSRC2:TRAP_HANDLER: 0
; COMPUTE_PGM_RSRC2:TGID_X_EN: 1
; COMPUTE_PGM_RSRC2:TGID_Y_EN: 0
; COMPUTE_PGM_RSRC2:TGID_Z_EN: 0
; COMPUTE_PGM_RSRC2:TIDIG_COMP_CNT: 0
; COMPUTE_PGM_RSRC3_GFX90A:ACCUM_OFFSET: 8
; COMPUTE_PGM_RSRC3_GFX90A:TG_SPLIT: 0
	.section	.text._ZN5aiter21activation_kernel_vecIDF16_TnPFfRKT_EXadL_ZNS_16gelu_fast_kernelIDF16_EEfS3_EELi4EEEvPS1_PS2_l,"axG",@progbits,_ZN5aiter21activation_kernel_vecIDF16_TnPFfRKT_EXadL_ZNS_16gelu_fast_kernelIDF16_EEfS3_EELi4EEEvPS1_PS2_l,comdat
	.protected	_ZN5aiter21activation_kernel_vecIDF16_TnPFfRKT_EXadL_ZNS_16gelu_fast_kernelIDF16_EEfS3_EELi4EEEvPS1_PS2_l ; -- Begin function _ZN5aiter21activation_kernel_vecIDF16_TnPFfRKT_EXadL_ZNS_16gelu_fast_kernelIDF16_EEfS3_EELi4EEEvPS1_PS2_l
	.globl	_ZN5aiter21activation_kernel_vecIDF16_TnPFfRKT_EXadL_ZNS_16gelu_fast_kernelIDF16_EEfS3_EELi4EEEvPS1_PS2_l
	.p2align	8
	.type	_ZN5aiter21activation_kernel_vecIDF16_TnPFfRKT_EXadL_ZNS_16gelu_fast_kernelIDF16_EEfS3_EELi4EEEvPS1_PS2_l,@function
_ZN5aiter21activation_kernel_vecIDF16_TnPFfRKT_EXadL_ZNS_16gelu_fast_kernelIDF16_EEfS3_EELi4EEEvPS1_PS2_l: ; @_ZN5aiter21activation_kernel_vecIDF16_TnPFfRKT_EXadL_ZNS_16gelu_fast_kernelIDF16_EEfS3_EELi4EEEvPS1_PS2_l
; %bb.0:
	s_load_dword s3, s[0:1], 0x24
	s_load_dwordx2 s[8:9], s[0:1], 0x10
	s_add_u32 s10, s0, 24
	s_addc_u32 s11, s1, 0
	v_mov_b32_e32 v1, 0
	s_waitcnt lgkmcnt(0)
	s_and_b32 s12, s3, 0xffff
	s_mul_i32 s2, s2, s12
	v_add_lshl_u32 v0, s2, v0, 3
	s_mov_b32 s18, 0xffff
	v_cmp_gt_i64_e32 vcc, s[8:9], v[0:1]
	s_and_saveexec_b64 s[2:3], vcc
	s_cbranch_execz .LBB598_47
; %bb.1:
	s_load_dword s2, s[10:11], 0x0
	s_load_dwordx4 s[4:7], s[0:1], 0x0
	s_mov_b32 s3, 0
	v_lshl_add_u64 v[2:3], v[0:1], 1, 8
	s_mov_b64 s[10:11], 0
	s_waitcnt lgkmcnt(0)
	s_mul_i32 s2, s2, s12
	s_lshl_b32 s2, s2, 3
	s_lshl_b64 s[12:13], s[2:3], 1
	s_mov_b32 s19, 0x40733333
	s_brev_b32 s20, -2
                                        ; implicit-def: $vgpr4
                                        ; implicit-def: $vgpr4
	;; [unrolled: 1-line block ×3, first 2 shown]
	v_mov_b32_e32 v10, 0x4544e000
                                        ; implicit-def: $vgpr4
	s_mov_b32 s21, 0.5
	s_mov_b32 s22, 0x5040100
                                        ; implicit-def: $vgpr4_vgpr5
	s_branch .LBB598_3
.LBB598_2:                              ;   in Loop: Header=BB598_3 Depth=1
	s_or_b64 exec, exec, s[14:15]
	v_lshl_add_u64 v[0:1], v[0:1], 0, s[2:3]
	v_cmp_le_i64_e32 vcc, s[8:9], v[0:1]
	s_or_b64 s[10:11], vcc, s[10:11]
	v_lshl_add_u64 v[2:3], v[2:3], 0, s[12:13]
	s_andn2_b64 exec, exec, s[10:11]
	s_cbranch_execz .LBB598_47
.LBB598_3:                              ; =>This Inner Loop Header: Depth=1
	v_lshl_add_u64 v[8:9], s[6:7], 0, v[2:3]
	global_load_dwordx2 v[6:7], v[8:9], off offset:-8
	v_lshl_add_u64 v[12:13], v[0:1], 0, 4
	v_cmp_gt_i64_e64 s[0:1], s[8:9], v[12:13]
	s_and_saveexec_b64 s[14:15], s[0:1]
	s_cbranch_execz .LBB598_5
; %bb.4:                                ;   in Loop: Header=BB598_3 Depth=1
	global_load_dwordx2 v[4:5], v[8:9], off
.LBB598_5:                              ;   in Loop: Header=BB598_3 Depth=1
	s_or_b64 exec, exec, s[14:15]
	s_waitcnt vmcnt(0)
	v_cvt_f32_f16_e32 v8, v6
	v_mul_f32_e32 v9, v8, v8
	v_mul_f32_e32 v9, v9, v8
	;; [unrolled: 1-line block ×3, first 2 shown]
	v_fmac_f32_e32 v11, 0x3d122279, v9
	v_cmp_ge_f32_e64 s[14:15], |v11|, s19
                                        ; implicit-def: $vgpr9
	s_and_saveexec_b64 s[16:17], s[14:15]
	s_xor_b64 s[14:15], exec, s[16:17]
	s_cbranch_execnz .LBB598_8
; %bb.6:                                ;   in Loop: Header=BB598_3 Depth=1
	s_andn2_saveexec_b64 s[14:15], s[14:15]
	s_cbranch_execnz .LBB598_9
.LBB598_7:                              ;   in Loop: Header=BB598_3 Depth=1
	s_or_b64 exec, exec, s[14:15]
	s_and_saveexec_b64 s[14:15], s[0:1]
	s_cbranch_execnz .LBB598_10
	s_branch .LBB598_15
.LBB598_8:                              ;   in Loop: Header=BB598_3 Depth=1
	v_bfi_b32 v9, s20, 1.0, v11
                                        ; implicit-def: $vgpr11
	s_andn2_saveexec_b64 s[14:15], s[14:15]
	s_cbranch_execz .LBB598_7
.LBB598_9:                              ;   in Loop: Header=BB598_3 Depth=1
	v_mul_f32_e32 v9, v11, v11
	v_fmaak_f32 v12, v11, v11, 0x43bd0000
	v_fmaak_f32 v12, v9, v12, 0x46875a00
	v_fmamk_f32 v13, v9, 0x41e00000, v10
	v_fmaak_f32 v12, v9, v12, 0x4803f7c0
	v_fmaak_f32 v13, v9, v13, 0x4773a200
	;; [unrolled: 1-line block ×3, first 2 shown]
	v_mul_f32_e32 v11, v11, v12
	v_div_scale_f32 v12, s[16:17], v9, v9, v11
	v_rcp_f32_e32 v13, v12
	s_nop 0
	v_fma_f32 v14, -v12, v13, 1.0
	v_fmac_f32_e32 v13, v14, v13
	v_div_scale_f32 v14, vcc, v11, v9, v11
	v_mul_f32_e32 v15, v14, v13
	v_fma_f32 v16, -v12, v15, v14
	v_fmac_f32_e32 v15, v16, v13
	v_fma_f32 v12, -v12, v15, v14
	v_div_fmas_f32 v12, v12, v13, v15
	v_div_fixup_f32 v9, v12, v9, v11
	v_med3_f32 v9, v9, -1.0, 1.0
	s_or_b64 exec, exec, s[14:15]
	s_and_saveexec_b64 s[14:15], s[0:1]
	s_cbranch_execz .LBB598_15
.LBB598_10:                             ;   in Loop: Header=BB598_3 Depth=1
	v_cvt_f32_f16_e32 v11, v4
	v_mul_f32_e32 v12, v11, v11
	v_mul_f32_e32 v13, v12, v11
	;; [unrolled: 1-line block ×3, first 2 shown]
	v_fmac_f32_e32 v12, 0x3d122279, v13
	v_cmp_ge_f32_e64 s[16:17], |v12|, s19
                                        ; implicit-def: $vgpr13
	s_and_saveexec_b64 s[24:25], s[16:17]
	s_xor_b64 s[16:17], exec, s[24:25]
; %bb.11:                               ;   in Loop: Header=BB598_3 Depth=1
	v_bfi_b32 v13, s20, 1.0, v12
                                        ; implicit-def: $vgpr12
; %bb.12:                               ;   in Loop: Header=BB598_3 Depth=1
	s_andn2_saveexec_b64 s[16:17], s[16:17]
	s_cbranch_execz .LBB598_14
; %bb.13:                               ;   in Loop: Header=BB598_3 Depth=1
	v_mul_f32_e32 v13, v12, v12
	v_fmaak_f32 v14, v12, v12, 0x43bd0000
	v_fmaak_f32 v14, v13, v14, 0x46875a00
	v_fmamk_f32 v15, v13, 0x41e00000, v10
	v_fmaak_f32 v14, v13, v14, 0x4803f7c0
	v_fmaak_f32 v15, v13, v15, 0x4773a200
	;; [unrolled: 1-line block ×3, first 2 shown]
	v_mul_f32_e32 v12, v12, v14
	v_div_scale_f32 v14, s[24:25], v13, v13, v12
	v_rcp_f32_e32 v15, v14
	s_nop 0
	v_fma_f32 v16, -v14, v15, 1.0
	v_fmac_f32_e32 v15, v16, v15
	v_div_scale_f32 v16, vcc, v12, v13, v12
	v_mul_f32_e32 v17, v16, v15
	v_fma_f32 v18, -v14, v17, v16
	v_fmac_f32_e32 v17, v18, v15
	v_fma_f32 v14, -v14, v17, v16
	v_div_fmas_f32 v14, v14, v15, v17
	v_div_fixup_f32 v12, v14, v13, v12
	v_med3_f32 v13, v12, -1.0, 1.0
.LBB598_14:                             ;   in Loop: Header=BB598_3 Depth=1
	s_or_b64 exec, exec, s[16:17]
	v_fmac_f32_e32 v11, v11, v13
	v_fma_mixlo_f16 v11, v11, s21, 0
	v_bfi_b32 v4, s18, v11, v4
.LBB598_15:                             ;   in Loop: Header=BB598_3 Depth=1
	s_or_b64 exec, exec, s[14:15]
	v_cvt_f32_f16_sdwa v6, v6 dst_sel:DWORD dst_unused:UNUSED_PAD src0_sel:WORD_1
	v_mul_f32_e32 v11, v6, v6
	v_mul_f32_e32 v11, v11, v6
	;; [unrolled: 1-line block ×3, first 2 shown]
	v_fmac_f32_e32 v12, 0x3d122279, v11
	v_cmp_ge_f32_e64 s[14:15], |v12|, s19
                                        ; implicit-def: $vgpr11
	s_and_saveexec_b64 s[16:17], s[14:15]
	s_xor_b64 s[14:15], exec, s[16:17]
	s_cbranch_execnz .LBB598_18
; %bb.16:                               ;   in Loop: Header=BB598_3 Depth=1
	s_andn2_saveexec_b64 s[14:15], s[14:15]
	s_cbranch_execnz .LBB598_19
.LBB598_17:                             ;   in Loop: Header=BB598_3 Depth=1
	s_or_b64 exec, exec, s[14:15]
	s_and_saveexec_b64 s[14:15], s[0:1]
	s_cbranch_execnz .LBB598_20
	s_branch .LBB598_25
.LBB598_18:                             ;   in Loop: Header=BB598_3 Depth=1
	v_bfi_b32 v11, s20, 1.0, v12
                                        ; implicit-def: $vgpr12
	s_andn2_saveexec_b64 s[14:15], s[14:15]
	s_cbranch_execz .LBB598_17
.LBB598_19:                             ;   in Loop: Header=BB598_3 Depth=1
	v_mul_f32_e32 v11, v12, v12
	v_fmaak_f32 v13, v12, v12, 0x43bd0000
	v_fmaak_f32 v13, v11, v13, 0x46875a00
	v_fmamk_f32 v14, v11, 0x41e00000, v10
	v_fmaak_f32 v13, v11, v13, 0x4803f7c0
	v_fmaak_f32 v14, v11, v14, 0x4773a200
	;; [unrolled: 1-line block ×3, first 2 shown]
	v_mul_f32_e32 v12, v12, v13
	v_div_scale_f32 v13, s[16:17], v11, v11, v12
	v_rcp_f32_e32 v14, v13
	s_nop 0
	v_fma_f32 v15, -v13, v14, 1.0
	v_fmac_f32_e32 v14, v15, v14
	v_div_scale_f32 v15, vcc, v12, v11, v12
	v_mul_f32_e32 v16, v15, v14
	v_fma_f32 v17, -v13, v16, v15
	v_fmac_f32_e32 v16, v17, v14
	v_fma_f32 v13, -v13, v16, v15
	v_div_fmas_f32 v13, v13, v14, v16
	v_div_fixup_f32 v11, v13, v11, v12
	v_med3_f32 v11, v11, -1.0, 1.0
	s_or_b64 exec, exec, s[14:15]
	s_and_saveexec_b64 s[14:15], s[0:1]
	s_cbranch_execz .LBB598_25
.LBB598_20:                             ;   in Loop: Header=BB598_3 Depth=1
	v_cvt_f32_f16_sdwa v12, v4 dst_sel:DWORD dst_unused:UNUSED_PAD src0_sel:WORD_1
	v_mul_f32_e32 v13, v12, v12
	v_mul_f32_e32 v14, v13, v12
	;; [unrolled: 1-line block ×3, first 2 shown]
	v_fmac_f32_e32 v13, 0x3d122279, v14
	v_cmp_ge_f32_e64 s[16:17], |v13|, s19
                                        ; implicit-def: $vgpr14
	s_and_saveexec_b64 s[24:25], s[16:17]
	s_xor_b64 s[16:17], exec, s[24:25]
; %bb.21:                               ;   in Loop: Header=BB598_3 Depth=1
	v_bfi_b32 v14, s20, 1.0, v13
                                        ; implicit-def: $vgpr13
; %bb.22:                               ;   in Loop: Header=BB598_3 Depth=1
	s_andn2_saveexec_b64 s[16:17], s[16:17]
	s_cbranch_execz .LBB598_24
; %bb.23:                               ;   in Loop: Header=BB598_3 Depth=1
	v_mul_f32_e32 v14, v13, v13
	v_fmaak_f32 v15, v13, v13, 0x43bd0000
	v_fmaak_f32 v15, v14, v15, 0x46875a00
	v_fmamk_f32 v16, v14, 0x41e00000, v10
	v_fmaak_f32 v15, v14, v15, 0x4803f7c0
	v_fmaak_f32 v16, v14, v16, 0x4773a200
	;; [unrolled: 1-line block ×3, first 2 shown]
	v_mul_f32_e32 v13, v13, v15
	v_div_scale_f32 v15, s[24:25], v14, v14, v13
	v_rcp_f32_e32 v16, v15
	s_nop 0
	v_fma_f32 v17, -v15, v16, 1.0
	v_fmac_f32_e32 v16, v17, v16
	v_div_scale_f32 v17, vcc, v13, v14, v13
	v_mul_f32_e32 v18, v17, v16
	v_fma_f32 v19, -v15, v18, v17
	v_fmac_f32_e32 v18, v19, v16
	v_fma_f32 v15, -v15, v18, v17
	v_div_fmas_f32 v15, v15, v16, v18
	v_div_fixup_f32 v13, v15, v14, v13
	v_med3_f32 v14, v13, -1.0, 1.0
.LBB598_24:                             ;   in Loop: Header=BB598_3 Depth=1
	s_or_b64 exec, exec, s[16:17]
	v_fmac_f32_e32 v12, v12, v14
	v_fma_mixlo_f16 v12, v12, s21, 0
	v_perm_b32 v4, v12, v4, s22
.LBB598_25:                             ;   in Loop: Header=BB598_3 Depth=1
	s_or_b64 exec, exec, s[14:15]
	v_cvt_f32_f16_e32 v12, v7
	v_mul_f32_e32 v13, v12, v12
	v_mul_f32_e32 v13, v13, v12
	v_mul_f32_e32 v14, 0x3f4c422a, v12
	v_fmac_f32_e32 v14, 0x3d122279, v13
	v_cmp_ge_f32_e64 s[14:15], |v14|, s19
                                        ; implicit-def: $vgpr13
	s_and_saveexec_b64 s[16:17], s[14:15]
	s_xor_b64 s[14:15], exec, s[16:17]
	s_cbranch_execnz .LBB598_28
; %bb.26:                               ;   in Loop: Header=BB598_3 Depth=1
	s_andn2_saveexec_b64 s[14:15], s[14:15]
	s_cbranch_execnz .LBB598_29
.LBB598_27:                             ;   in Loop: Header=BB598_3 Depth=1
	s_or_b64 exec, exec, s[14:15]
	s_and_saveexec_b64 s[14:15], s[0:1]
	s_cbranch_execnz .LBB598_30
	s_branch .LBB598_35
.LBB598_28:                             ;   in Loop: Header=BB598_3 Depth=1
	v_bfi_b32 v13, s20, 1.0, v14
                                        ; implicit-def: $vgpr14
	s_andn2_saveexec_b64 s[14:15], s[14:15]
	s_cbranch_execz .LBB598_27
.LBB598_29:                             ;   in Loop: Header=BB598_3 Depth=1
	v_mul_f32_e32 v13, v14, v14
	v_fmaak_f32 v15, v14, v14, 0x43bd0000
	v_fmaak_f32 v15, v13, v15, 0x46875a00
	v_fmamk_f32 v16, v13, 0x41e00000, v10
	v_fmaak_f32 v15, v13, v15, 0x4803f7c0
	v_fmaak_f32 v16, v13, v16, 0x4773a200
	v_fmaak_f32 v13, v13, v16, 0x4803f7c0
	v_mul_f32_e32 v14, v14, v15
	v_div_scale_f32 v15, s[16:17], v13, v13, v14
	v_rcp_f32_e32 v16, v15
	s_nop 0
	v_fma_f32 v17, -v15, v16, 1.0
	v_fmac_f32_e32 v16, v17, v16
	v_div_scale_f32 v17, vcc, v14, v13, v14
	v_mul_f32_e32 v18, v17, v16
	v_fma_f32 v19, -v15, v18, v17
	v_fmac_f32_e32 v18, v19, v16
	v_fma_f32 v15, -v15, v18, v17
	v_div_fmas_f32 v15, v15, v16, v18
	v_div_fixup_f32 v13, v15, v13, v14
	v_med3_f32 v13, v13, -1.0, 1.0
	s_or_b64 exec, exec, s[14:15]
	s_and_saveexec_b64 s[14:15], s[0:1]
	s_cbranch_execz .LBB598_35
.LBB598_30:                             ;   in Loop: Header=BB598_3 Depth=1
	v_cvt_f32_f16_e32 v14, v5
	v_mul_f32_e32 v15, v14, v14
	v_mul_f32_e32 v16, v15, v14
	;; [unrolled: 1-line block ×3, first 2 shown]
	v_fmac_f32_e32 v15, 0x3d122279, v16
	v_cmp_ge_f32_e64 s[16:17], |v15|, s19
                                        ; implicit-def: $vgpr16
	s_and_saveexec_b64 s[24:25], s[16:17]
	s_xor_b64 s[16:17], exec, s[24:25]
; %bb.31:                               ;   in Loop: Header=BB598_3 Depth=1
	v_bfi_b32 v16, s20, 1.0, v15
                                        ; implicit-def: $vgpr15
; %bb.32:                               ;   in Loop: Header=BB598_3 Depth=1
	s_andn2_saveexec_b64 s[16:17], s[16:17]
	s_cbranch_execz .LBB598_34
; %bb.33:                               ;   in Loop: Header=BB598_3 Depth=1
	v_mul_f32_e32 v16, v15, v15
	v_fmaak_f32 v17, v15, v15, 0x43bd0000
	v_fmaak_f32 v17, v16, v17, 0x46875a00
	v_fmamk_f32 v18, v16, 0x41e00000, v10
	v_fmaak_f32 v17, v16, v17, 0x4803f7c0
	v_fmaak_f32 v18, v16, v18, 0x4773a200
	;; [unrolled: 1-line block ×3, first 2 shown]
	v_mul_f32_e32 v15, v15, v17
	v_div_scale_f32 v17, s[24:25], v16, v16, v15
	v_rcp_f32_e32 v18, v17
	s_nop 0
	v_fma_f32 v19, -v17, v18, 1.0
	v_fmac_f32_e32 v18, v19, v18
	v_div_scale_f32 v19, vcc, v15, v16, v15
	v_mul_f32_e32 v20, v19, v18
	v_fma_f32 v21, -v17, v20, v19
	v_fmac_f32_e32 v20, v21, v18
	v_fma_f32 v17, -v17, v20, v19
	v_div_fmas_f32 v17, v17, v18, v20
	v_div_fixup_f32 v15, v17, v16, v15
	v_med3_f32 v16, v15, -1.0, 1.0
.LBB598_34:                             ;   in Loop: Header=BB598_3 Depth=1
	s_or_b64 exec, exec, s[16:17]
	v_fmac_f32_e32 v14, v14, v16
	v_fma_mixlo_f16 v14, v14, s21, 0
	v_bfi_b32 v5, s18, v14, v5
.LBB598_35:                             ;   in Loop: Header=BB598_3 Depth=1
	s_or_b64 exec, exec, s[14:15]
	v_cvt_f32_f16_sdwa v7, v7 dst_sel:DWORD dst_unused:UNUSED_PAD src0_sel:WORD_1
	v_mul_f32_e32 v14, v7, v7
	v_mul_f32_e32 v14, v14, v7
	;; [unrolled: 1-line block ×3, first 2 shown]
	v_fmac_f32_e32 v15, 0x3d122279, v14
	v_cmp_ge_f32_e64 s[14:15], |v15|, s19
                                        ; implicit-def: $vgpr14
	s_and_saveexec_b64 s[16:17], s[14:15]
	s_xor_b64 s[14:15], exec, s[16:17]
	s_cbranch_execnz .LBB598_38
; %bb.36:                               ;   in Loop: Header=BB598_3 Depth=1
	s_andn2_saveexec_b64 s[14:15], s[14:15]
	s_cbranch_execnz .LBB598_39
.LBB598_37:                             ;   in Loop: Header=BB598_3 Depth=1
	s_or_b64 exec, exec, s[14:15]
	s_and_saveexec_b64 s[14:15], s[0:1]
	s_cbranch_execnz .LBB598_40
	s_branch .LBB598_45
.LBB598_38:                             ;   in Loop: Header=BB598_3 Depth=1
	v_bfi_b32 v14, s20, 1.0, v15
                                        ; implicit-def: $vgpr15
	s_andn2_saveexec_b64 s[14:15], s[14:15]
	s_cbranch_execz .LBB598_37
.LBB598_39:                             ;   in Loop: Header=BB598_3 Depth=1
	v_mul_f32_e32 v14, v15, v15
	v_fmaak_f32 v16, v15, v15, 0x43bd0000
	v_fmaak_f32 v16, v14, v16, 0x46875a00
	v_fmamk_f32 v17, v14, 0x41e00000, v10
	v_fmaak_f32 v16, v14, v16, 0x4803f7c0
	v_fmaak_f32 v17, v14, v17, 0x4773a200
	;; [unrolled: 1-line block ×3, first 2 shown]
	v_mul_f32_e32 v15, v15, v16
	v_div_scale_f32 v16, s[16:17], v14, v14, v15
	v_rcp_f32_e32 v17, v16
	s_nop 0
	v_fma_f32 v18, -v16, v17, 1.0
	v_fmac_f32_e32 v17, v18, v17
	v_div_scale_f32 v18, vcc, v15, v14, v15
	v_mul_f32_e32 v19, v18, v17
	v_fma_f32 v20, -v16, v19, v18
	v_fmac_f32_e32 v19, v20, v17
	v_fma_f32 v16, -v16, v19, v18
	v_div_fmas_f32 v16, v16, v17, v19
	v_div_fixup_f32 v14, v16, v14, v15
	v_med3_f32 v14, v14, -1.0, 1.0
	s_or_b64 exec, exec, s[14:15]
	s_and_saveexec_b64 s[14:15], s[0:1]
	s_cbranch_execz .LBB598_45
.LBB598_40:                             ;   in Loop: Header=BB598_3 Depth=1
	v_cvt_f32_f16_sdwa v15, v5 dst_sel:DWORD dst_unused:UNUSED_PAD src0_sel:WORD_1
	v_mul_f32_e32 v16, v15, v15
	v_mul_f32_e32 v17, v16, v15
	;; [unrolled: 1-line block ×3, first 2 shown]
	v_fmac_f32_e32 v16, 0x3d122279, v17
	v_cmp_ge_f32_e64 s[16:17], |v16|, s19
                                        ; implicit-def: $vgpr17
	s_and_saveexec_b64 s[24:25], s[16:17]
	s_xor_b64 s[16:17], exec, s[24:25]
; %bb.41:                               ;   in Loop: Header=BB598_3 Depth=1
	v_bfi_b32 v17, s20, 1.0, v16
                                        ; implicit-def: $vgpr16
; %bb.42:                               ;   in Loop: Header=BB598_3 Depth=1
	s_andn2_saveexec_b64 s[16:17], s[16:17]
	s_cbranch_execz .LBB598_44
; %bb.43:                               ;   in Loop: Header=BB598_3 Depth=1
	v_mul_f32_e32 v17, v16, v16
	v_fmaak_f32 v18, v16, v16, 0x43bd0000
	v_fmaak_f32 v18, v17, v18, 0x46875a00
	v_fmamk_f32 v19, v17, 0x41e00000, v10
	v_fmaak_f32 v18, v17, v18, 0x4803f7c0
	v_fmaak_f32 v19, v17, v19, 0x4773a200
	v_fmaak_f32 v17, v17, v19, 0x4803f7c0
	v_mul_f32_e32 v16, v16, v18
	v_div_scale_f32 v18, s[24:25], v17, v17, v16
	v_rcp_f32_e32 v19, v18
	s_nop 0
	v_fma_f32 v20, -v18, v19, 1.0
	v_fmac_f32_e32 v19, v20, v19
	v_div_scale_f32 v20, vcc, v16, v17, v16
	v_mul_f32_e32 v21, v20, v19
	v_fma_f32 v22, -v18, v21, v20
	v_fmac_f32_e32 v21, v22, v19
	v_fma_f32 v18, -v18, v21, v20
	v_div_fmas_f32 v18, v18, v19, v21
	v_div_fixup_f32 v16, v18, v17, v16
	v_med3_f32 v17, v16, -1.0, 1.0
.LBB598_44:                             ;   in Loop: Header=BB598_3 Depth=1
	s_or_b64 exec, exec, s[16:17]
	v_fmac_f32_e32 v15, v15, v17
	v_fma_mixlo_f16 v15, v15, s21, 0
	v_perm_b32 v5, v15, v5, s22
.LBB598_45:                             ;   in Loop: Header=BB598_3 Depth=1
	s_or_b64 exec, exec, s[14:15]
	v_fmac_f32_e32 v8, v8, v9
	v_fmac_f32_e32 v12, v12, v13
	v_fma_mixlo_f16 v8, v8, s21, 0
	v_fmac_f32_e32 v6, v6, v11
	v_fma_mixlo_f16 v9, v12, s21, 0
	v_fmac_f32_e32 v7, v7, v14
	v_fma_mixhi_f16 v9, v7, s21, 0
	v_fma_mixhi_f16 v8, v6, s21, 0
	v_lshl_add_u64 v[6:7], s[4:5], 0, v[2:3]
	global_store_dwordx2 v[6:7], v[8:9], off offset:-8
	s_and_saveexec_b64 s[14:15], s[0:1]
	s_cbranch_execz .LBB598_2
; %bb.46:                               ;   in Loop: Header=BB598_3 Depth=1
	global_store_dwordx2 v[6:7], v[4:5], off
	s_branch .LBB598_2
.LBB598_47:
	s_endpgm
	.section	.rodata,"a",@progbits
	.p2align	6, 0x0
	.amdhsa_kernel _ZN5aiter21activation_kernel_vecIDF16_TnPFfRKT_EXadL_ZNS_16gelu_fast_kernelIDF16_EEfS3_EELi4EEEvPS1_PS2_l
		.amdhsa_group_segment_fixed_size 0
		.amdhsa_private_segment_fixed_size 0
		.amdhsa_kernarg_size 280
		.amdhsa_user_sgpr_count 2
		.amdhsa_user_sgpr_dispatch_ptr 0
		.amdhsa_user_sgpr_queue_ptr 0
		.amdhsa_user_sgpr_kernarg_segment_ptr 1
		.amdhsa_user_sgpr_dispatch_id 0
		.amdhsa_user_sgpr_kernarg_preload_length 0
		.amdhsa_user_sgpr_kernarg_preload_offset 0
		.amdhsa_user_sgpr_private_segment_size 0
		.amdhsa_uses_dynamic_stack 0
		.amdhsa_enable_private_segment 0
		.amdhsa_system_sgpr_workgroup_id_x 1
		.amdhsa_system_sgpr_workgroup_id_y 0
		.amdhsa_system_sgpr_workgroup_id_z 0
		.amdhsa_system_sgpr_workgroup_info 0
		.amdhsa_system_vgpr_workitem_id 0
		.amdhsa_next_free_vgpr 23
		.amdhsa_next_free_sgpr 26
		.amdhsa_accum_offset 24
		.amdhsa_reserve_vcc 1
		.amdhsa_float_round_mode_32 0
		.amdhsa_float_round_mode_16_64 0
		.amdhsa_float_denorm_mode_32 3
		.amdhsa_float_denorm_mode_16_64 3
		.amdhsa_dx10_clamp 1
		.amdhsa_ieee_mode 1
		.amdhsa_fp16_overflow 0
		.amdhsa_tg_split 0
		.amdhsa_exception_fp_ieee_invalid_op 0
		.amdhsa_exception_fp_denorm_src 0
		.amdhsa_exception_fp_ieee_div_zero 0
		.amdhsa_exception_fp_ieee_overflow 0
		.amdhsa_exception_fp_ieee_underflow 0
		.amdhsa_exception_fp_ieee_inexact 0
		.amdhsa_exception_int_div_zero 0
	.end_amdhsa_kernel
	.section	.text._ZN5aiter21activation_kernel_vecIDF16_TnPFfRKT_EXadL_ZNS_16gelu_fast_kernelIDF16_EEfS3_EELi4EEEvPS1_PS2_l,"axG",@progbits,_ZN5aiter21activation_kernel_vecIDF16_TnPFfRKT_EXadL_ZNS_16gelu_fast_kernelIDF16_EEfS3_EELi4EEEvPS1_PS2_l,comdat
.Lfunc_end598:
	.size	_ZN5aiter21activation_kernel_vecIDF16_TnPFfRKT_EXadL_ZNS_16gelu_fast_kernelIDF16_EEfS3_EELi4EEEvPS1_PS2_l, .Lfunc_end598-_ZN5aiter21activation_kernel_vecIDF16_TnPFfRKT_EXadL_ZNS_16gelu_fast_kernelIDF16_EEfS3_EELi4EEEvPS1_PS2_l
                                        ; -- End function
	.section	.AMDGPU.csdata,"",@progbits
; Kernel info:
; codeLenInByte = 2224
; NumSgprs: 32
; NumVgprs: 23
; NumAgprs: 0
; TotalNumVgprs: 23
; ScratchSize: 0
; MemoryBound: 0
; FloatMode: 240
; IeeeMode: 1
; LDSByteSize: 0 bytes/workgroup (compile time only)
; SGPRBlocks: 3
; VGPRBlocks: 2
; NumSGPRsForWavesPerEU: 32
; NumVGPRsForWavesPerEU: 23
; AccumOffset: 24
; Occupancy: 8
; WaveLimiterHint : 0
; COMPUTE_PGM_RSRC2:SCRATCH_EN: 0
; COMPUTE_PGM_RSRC2:USER_SGPR: 2
; COMPUTE_PGM_RSRC2:TRAP_HANDLER: 0
; COMPUTE_PGM_RSRC2:TGID_X_EN: 1
; COMPUTE_PGM_RSRC2:TGID_Y_EN: 0
; COMPUTE_PGM_RSRC2:TGID_Z_EN: 0
; COMPUTE_PGM_RSRC2:TIDIG_COMP_CNT: 0
; COMPUTE_PGM_RSRC3_GFX90A:ACCUM_OFFSET: 5
; COMPUTE_PGM_RSRC3_GFX90A:TG_SPLIT: 0
	.section	.text._ZN5aiter21activation_kernel_vecIDF16_TnPFfRKT_EXadL_ZNS_16gelu_fast_kernelIDF16_EEfS3_EELi2EEEvPS1_PS2_l,"axG",@progbits,_ZN5aiter21activation_kernel_vecIDF16_TnPFfRKT_EXadL_ZNS_16gelu_fast_kernelIDF16_EEfS3_EELi2EEEvPS1_PS2_l,comdat
	.protected	_ZN5aiter21activation_kernel_vecIDF16_TnPFfRKT_EXadL_ZNS_16gelu_fast_kernelIDF16_EEfS3_EELi2EEEvPS1_PS2_l ; -- Begin function _ZN5aiter21activation_kernel_vecIDF16_TnPFfRKT_EXadL_ZNS_16gelu_fast_kernelIDF16_EEfS3_EELi2EEEvPS1_PS2_l
	.globl	_ZN5aiter21activation_kernel_vecIDF16_TnPFfRKT_EXadL_ZNS_16gelu_fast_kernelIDF16_EEfS3_EELi2EEEvPS1_PS2_l
	.p2align	8
	.type	_ZN5aiter21activation_kernel_vecIDF16_TnPFfRKT_EXadL_ZNS_16gelu_fast_kernelIDF16_EEfS3_EELi2EEEvPS1_PS2_l,@function
_ZN5aiter21activation_kernel_vecIDF16_TnPFfRKT_EXadL_ZNS_16gelu_fast_kernelIDF16_EEfS3_EELi2EEEvPS1_PS2_l: ; @_ZN5aiter21activation_kernel_vecIDF16_TnPFfRKT_EXadL_ZNS_16gelu_fast_kernelIDF16_EEfS3_EELi2EEEvPS1_PS2_l
; %bb.0:
	s_load_dword s3, s[0:1], 0x24
	s_load_dwordx2 s[8:9], s[0:1], 0x10
	s_add_u32 s10, s0, 24
	s_addc_u32 s11, s1, 0
	v_mov_b32_e32 v1, 0
	s_waitcnt lgkmcnt(0)
	s_and_b32 s12, s3, 0xffff
	s_mul_i32 s2, s2, s12
	v_add_lshl_u32 v0, s2, v0, 2
	s_mov_b32 s18, 0xffff
	v_cmp_gt_i64_e32 vcc, s[8:9], v[0:1]
	s_and_saveexec_b64 s[2:3], vcc
	s_cbranch_execz .LBB599_27
; %bb.1:
	s_load_dword s2, s[10:11], 0x0
	s_load_dwordx4 s[4:7], s[0:1], 0x0
	s_mov_b32 s3, 0
	v_lshl_add_u64 v[2:3], v[0:1], 1, 4
	s_mov_b64 s[10:11], 0
	s_waitcnt lgkmcnt(0)
	s_mul_i32 s2, s2, s12
	s_lshl_b32 s2, s2, 2
	s_lshl_b64 s[12:13], s[2:3], 1
	s_mov_b32 s19, 0x40733333
	s_brev_b32 s20, -2
	v_mov_b32_e32 v6, 0x4544e000
	s_mov_b32 s21, 0.5
                                        ; implicit-def: $vgpr4
                                        ; implicit-def: $vgpr4
	;; [unrolled: 1-line block ×4, first 2 shown]
                                        ; implicit-def: $vgpr7
	s_branch .LBB599_3
.LBB599_2:                              ;   in Loop: Header=BB599_3 Depth=1
	s_or_b64 exec, exec, s[14:15]
	v_lshl_add_u64 v[0:1], v[0:1], 0, s[2:3]
	v_cmp_le_i64_e32 vcc, s[8:9], v[0:1]
	s_or_b64 s[10:11], vcc, s[10:11]
	v_lshl_add_u64 v[2:3], v[2:3], 0, s[12:13]
	s_andn2_b64 exec, exec, s[10:11]
	s_cbranch_execz .LBB599_27
.LBB599_3:                              ; =>This Inner Loop Header: Depth=1
	v_lshl_add_u64 v[4:5], s[6:7], 0, v[2:3]
	global_load_dword v8, v[4:5], off offset:-4
	v_lshl_add_u64 v[10:11], v[0:1], 0, 2
	v_cmp_gt_i64_e64 s[0:1], s[8:9], v[10:11]
	s_and_saveexec_b64 s[14:15], s[0:1]
	s_cbranch_execz .LBB599_5
; %bb.4:                                ;   in Loop: Header=BB599_3 Depth=1
	global_load_dword v7, v[4:5], off
.LBB599_5:                              ;   in Loop: Header=BB599_3 Depth=1
	s_or_b64 exec, exec, s[14:15]
	s_waitcnt vmcnt(0)
	v_cvt_f32_f16_e32 v4, v8
	v_mul_f32_e32 v5, v4, v4
	v_mul_f32_e32 v5, v5, v4
	;; [unrolled: 1-line block ×3, first 2 shown]
	v_fmac_f32_e32 v9, 0x3d122279, v5
	v_cmp_ge_f32_e64 s[14:15], |v9|, s19
                                        ; implicit-def: $vgpr5
	s_and_saveexec_b64 s[16:17], s[14:15]
	s_xor_b64 s[14:15], exec, s[16:17]
	s_cbranch_execnz .LBB599_8
; %bb.6:                                ;   in Loop: Header=BB599_3 Depth=1
	s_andn2_saveexec_b64 s[14:15], s[14:15]
	s_cbranch_execnz .LBB599_9
.LBB599_7:                              ;   in Loop: Header=BB599_3 Depth=1
	s_or_b64 exec, exec, s[14:15]
	s_and_saveexec_b64 s[14:15], s[0:1]
	s_cbranch_execnz .LBB599_10
	s_branch .LBB599_15
.LBB599_8:                              ;   in Loop: Header=BB599_3 Depth=1
	v_bfi_b32 v5, s20, 1.0, v9
                                        ; implicit-def: $vgpr9
	s_andn2_saveexec_b64 s[14:15], s[14:15]
	s_cbranch_execz .LBB599_7
.LBB599_9:                              ;   in Loop: Header=BB599_3 Depth=1
	v_mul_f32_e32 v5, v9, v9
	v_fmaak_f32 v10, v9, v9, 0x43bd0000
	v_fmaak_f32 v10, v5, v10, 0x46875a00
	v_fmamk_f32 v11, v5, 0x41e00000, v6
	v_fmaak_f32 v10, v5, v10, 0x4803f7c0
	v_fmaak_f32 v11, v5, v11, 0x4773a200
	;; [unrolled: 1-line block ×3, first 2 shown]
	v_mul_f32_e32 v9, v9, v10
	v_div_scale_f32 v10, s[16:17], v5, v5, v9
	v_rcp_f32_e32 v11, v10
	s_nop 0
	v_fma_f32 v12, -v10, v11, 1.0
	v_fmac_f32_e32 v11, v12, v11
	v_div_scale_f32 v12, vcc, v9, v5, v9
	v_mul_f32_e32 v13, v12, v11
	v_fma_f32 v14, -v10, v13, v12
	v_fmac_f32_e32 v13, v14, v11
	v_fma_f32 v10, -v10, v13, v12
	v_div_fmas_f32 v10, v10, v11, v13
	v_div_fixup_f32 v5, v10, v5, v9
	v_med3_f32 v5, v5, -1.0, 1.0
	s_or_b64 exec, exec, s[14:15]
	s_and_saveexec_b64 s[14:15], s[0:1]
	s_cbranch_execz .LBB599_15
.LBB599_10:                             ;   in Loop: Header=BB599_3 Depth=1
	v_cvt_f32_f16_e32 v9, v7
	v_mul_f32_e32 v10, v9, v9
	v_mul_f32_e32 v11, v10, v9
	;; [unrolled: 1-line block ×3, first 2 shown]
	v_fmac_f32_e32 v10, 0x3d122279, v11
	v_cmp_ge_f32_e64 s[16:17], |v10|, s19
                                        ; implicit-def: $vgpr11
	s_and_saveexec_b64 s[22:23], s[16:17]
	s_xor_b64 s[16:17], exec, s[22:23]
; %bb.11:                               ;   in Loop: Header=BB599_3 Depth=1
	v_bfi_b32 v11, s20, 1.0, v10
                                        ; implicit-def: $vgpr10
; %bb.12:                               ;   in Loop: Header=BB599_3 Depth=1
	s_andn2_saveexec_b64 s[16:17], s[16:17]
	s_cbranch_execz .LBB599_14
; %bb.13:                               ;   in Loop: Header=BB599_3 Depth=1
	v_mul_f32_e32 v11, v10, v10
	v_fmaak_f32 v12, v10, v10, 0x43bd0000
	v_fmaak_f32 v12, v11, v12, 0x46875a00
	v_fmamk_f32 v13, v11, 0x41e00000, v6
	v_fmaak_f32 v12, v11, v12, 0x4803f7c0
	v_fmaak_f32 v13, v11, v13, 0x4773a200
	;; [unrolled: 1-line block ×3, first 2 shown]
	v_mul_f32_e32 v10, v10, v12
	v_div_scale_f32 v12, s[22:23], v11, v11, v10
	v_rcp_f32_e32 v13, v12
	s_nop 0
	v_fma_f32 v14, -v12, v13, 1.0
	v_fmac_f32_e32 v13, v14, v13
	v_div_scale_f32 v14, vcc, v10, v11, v10
	v_mul_f32_e32 v15, v14, v13
	v_fma_f32 v16, -v12, v15, v14
	v_fmac_f32_e32 v15, v16, v13
	v_fma_f32 v12, -v12, v15, v14
	v_div_fmas_f32 v12, v12, v13, v15
	v_div_fixup_f32 v10, v12, v11, v10
	v_med3_f32 v11, v10, -1.0, 1.0
.LBB599_14:                             ;   in Loop: Header=BB599_3 Depth=1
	s_or_b64 exec, exec, s[16:17]
	v_fmac_f32_e32 v9, v9, v11
	v_fma_mixlo_f16 v9, v9, s21, 0
	v_bfi_b32 v7, s18, v9, v7
.LBB599_15:                             ;   in Loop: Header=BB599_3 Depth=1
	s_or_b64 exec, exec, s[14:15]
	v_cvt_f32_f16_sdwa v8, v8 dst_sel:DWORD dst_unused:UNUSED_PAD src0_sel:WORD_1
	v_mul_f32_e32 v9, v8, v8
	v_mul_f32_e32 v9, v9, v8
	;; [unrolled: 1-line block ×3, first 2 shown]
	v_fmac_f32_e32 v10, 0x3d122279, v9
	v_cmp_ge_f32_e64 s[14:15], |v10|, s19
                                        ; implicit-def: $vgpr9
	s_and_saveexec_b64 s[16:17], s[14:15]
	s_xor_b64 s[14:15], exec, s[16:17]
	s_cbranch_execnz .LBB599_18
; %bb.16:                               ;   in Loop: Header=BB599_3 Depth=1
	s_andn2_saveexec_b64 s[14:15], s[14:15]
	s_cbranch_execnz .LBB599_19
.LBB599_17:                             ;   in Loop: Header=BB599_3 Depth=1
	s_or_b64 exec, exec, s[14:15]
	s_and_saveexec_b64 s[14:15], s[0:1]
	s_cbranch_execnz .LBB599_20
	s_branch .LBB599_25
.LBB599_18:                             ;   in Loop: Header=BB599_3 Depth=1
	v_bfi_b32 v9, s20, 1.0, v10
                                        ; implicit-def: $vgpr10
	s_andn2_saveexec_b64 s[14:15], s[14:15]
	s_cbranch_execz .LBB599_17
.LBB599_19:                             ;   in Loop: Header=BB599_3 Depth=1
	v_mul_f32_e32 v9, v10, v10
	v_fmaak_f32 v11, v10, v10, 0x43bd0000
	v_fmaak_f32 v11, v9, v11, 0x46875a00
	v_fmamk_f32 v12, v9, 0x41e00000, v6
	v_fmaak_f32 v11, v9, v11, 0x4803f7c0
	v_fmaak_f32 v12, v9, v12, 0x4773a200
	;; [unrolled: 1-line block ×3, first 2 shown]
	v_mul_f32_e32 v10, v10, v11
	v_div_scale_f32 v11, s[16:17], v9, v9, v10
	v_rcp_f32_e32 v12, v11
	s_nop 0
	v_fma_f32 v13, -v11, v12, 1.0
	v_fmac_f32_e32 v12, v13, v12
	v_div_scale_f32 v13, vcc, v10, v9, v10
	v_mul_f32_e32 v14, v13, v12
	v_fma_f32 v15, -v11, v14, v13
	v_fmac_f32_e32 v14, v15, v12
	v_fma_f32 v11, -v11, v14, v13
	v_div_fmas_f32 v11, v11, v12, v14
	v_div_fixup_f32 v9, v11, v9, v10
	v_med3_f32 v9, v9, -1.0, 1.0
	s_or_b64 exec, exec, s[14:15]
	s_and_saveexec_b64 s[14:15], s[0:1]
	s_cbranch_execz .LBB599_25
.LBB599_20:                             ;   in Loop: Header=BB599_3 Depth=1
	v_cvt_f32_f16_sdwa v10, v7 dst_sel:DWORD dst_unused:UNUSED_PAD src0_sel:WORD_1
	v_mul_f32_e32 v11, v10, v10
	v_mul_f32_e32 v12, v11, v10
	;; [unrolled: 1-line block ×3, first 2 shown]
	v_fmac_f32_e32 v11, 0x3d122279, v12
	v_cmp_ge_f32_e64 s[16:17], |v11|, s19
                                        ; implicit-def: $vgpr12
	s_and_saveexec_b64 s[22:23], s[16:17]
	s_xor_b64 s[16:17], exec, s[22:23]
; %bb.21:                               ;   in Loop: Header=BB599_3 Depth=1
	v_bfi_b32 v12, s20, 1.0, v11
                                        ; implicit-def: $vgpr11
; %bb.22:                               ;   in Loop: Header=BB599_3 Depth=1
	s_andn2_saveexec_b64 s[16:17], s[16:17]
	s_cbranch_execz .LBB599_24
; %bb.23:                               ;   in Loop: Header=BB599_3 Depth=1
	v_mul_f32_e32 v12, v11, v11
	v_fmaak_f32 v13, v11, v11, 0x43bd0000
	v_fmaak_f32 v13, v12, v13, 0x46875a00
	v_fmamk_f32 v14, v12, 0x41e00000, v6
	v_fmaak_f32 v13, v12, v13, 0x4803f7c0
	v_fmaak_f32 v14, v12, v14, 0x4773a200
	;; [unrolled: 1-line block ×3, first 2 shown]
	v_mul_f32_e32 v11, v11, v13
	v_div_scale_f32 v13, s[22:23], v12, v12, v11
	v_rcp_f32_e32 v14, v13
	s_nop 0
	v_fma_f32 v15, -v13, v14, 1.0
	v_fmac_f32_e32 v14, v15, v14
	v_div_scale_f32 v15, vcc, v11, v12, v11
	v_mul_f32_e32 v16, v15, v14
	v_fma_f32 v17, -v13, v16, v15
	v_fmac_f32_e32 v16, v17, v14
	v_fma_f32 v13, -v13, v16, v15
	v_div_fmas_f32 v13, v13, v14, v16
	v_div_fixup_f32 v11, v13, v12, v11
	v_med3_f32 v12, v11, -1.0, 1.0
.LBB599_24:                             ;   in Loop: Header=BB599_3 Depth=1
	s_or_b64 exec, exec, s[16:17]
	v_fmac_f32_e32 v10, v10, v12
	v_fma_mixhi_f16 v7, v10, s21, 0
.LBB599_25:                             ;   in Loop: Header=BB599_3 Depth=1
	s_or_b64 exec, exec, s[14:15]
	v_fmac_f32_e32 v4, v4, v5
	v_fma_mixlo_f16 v10, v4, s21, 0
	v_fmac_f32_e32 v8, v8, v9
	v_fma_mixhi_f16 v10, v8, s21, 0
	v_lshl_add_u64 v[4:5], s[4:5], 0, v[2:3]
	global_store_dword v[4:5], v10, off offset:-4
	s_and_saveexec_b64 s[14:15], s[0:1]
	s_cbranch_execz .LBB599_2
; %bb.26:                               ;   in Loop: Header=BB599_3 Depth=1
	global_store_dword v[4:5], v7, off
	s_branch .LBB599_2
.LBB599_27:
	s_endpgm
	.section	.rodata,"a",@progbits
	.p2align	6, 0x0
	.amdhsa_kernel _ZN5aiter21activation_kernel_vecIDF16_TnPFfRKT_EXadL_ZNS_16gelu_fast_kernelIDF16_EEfS3_EELi2EEEvPS1_PS2_l
		.amdhsa_group_segment_fixed_size 0
		.amdhsa_private_segment_fixed_size 0
		.amdhsa_kernarg_size 280
		.amdhsa_user_sgpr_count 2
		.amdhsa_user_sgpr_dispatch_ptr 0
		.amdhsa_user_sgpr_queue_ptr 0
		.amdhsa_user_sgpr_kernarg_segment_ptr 1
		.amdhsa_user_sgpr_dispatch_id 0
		.amdhsa_user_sgpr_kernarg_preload_length 0
		.amdhsa_user_sgpr_kernarg_preload_offset 0
		.amdhsa_user_sgpr_private_segment_size 0
		.amdhsa_uses_dynamic_stack 0
		.amdhsa_enable_private_segment 0
		.amdhsa_system_sgpr_workgroup_id_x 1
		.amdhsa_system_sgpr_workgroup_id_y 0
		.amdhsa_system_sgpr_workgroup_id_z 0
		.amdhsa_system_sgpr_workgroup_info 0
		.amdhsa_system_vgpr_workitem_id 0
		.amdhsa_next_free_vgpr 18
		.amdhsa_next_free_sgpr 24
		.amdhsa_accum_offset 20
		.amdhsa_reserve_vcc 1
		.amdhsa_float_round_mode_32 0
		.amdhsa_float_round_mode_16_64 0
		.amdhsa_float_denorm_mode_32 3
		.amdhsa_float_denorm_mode_16_64 3
		.amdhsa_dx10_clamp 1
		.amdhsa_ieee_mode 1
		.amdhsa_fp16_overflow 0
		.amdhsa_tg_split 0
		.amdhsa_exception_fp_ieee_invalid_op 0
		.amdhsa_exception_fp_denorm_src 0
		.amdhsa_exception_fp_ieee_div_zero 0
		.amdhsa_exception_fp_ieee_overflow 0
		.amdhsa_exception_fp_ieee_underflow 0
		.amdhsa_exception_fp_ieee_inexact 0
		.amdhsa_exception_int_div_zero 0
	.end_amdhsa_kernel
	.section	.text._ZN5aiter21activation_kernel_vecIDF16_TnPFfRKT_EXadL_ZNS_16gelu_fast_kernelIDF16_EEfS3_EELi2EEEvPS1_PS2_l,"axG",@progbits,_ZN5aiter21activation_kernel_vecIDF16_TnPFfRKT_EXadL_ZNS_16gelu_fast_kernelIDF16_EEfS3_EELi2EEEvPS1_PS2_l,comdat
.Lfunc_end599:
	.size	_ZN5aiter21activation_kernel_vecIDF16_TnPFfRKT_EXadL_ZNS_16gelu_fast_kernelIDF16_EEfS3_EELi2EEEvPS1_PS2_l, .Lfunc_end599-_ZN5aiter21activation_kernel_vecIDF16_TnPFfRKT_EXadL_ZNS_16gelu_fast_kernelIDF16_EEfS3_EELi2EEEvPS1_PS2_l
                                        ; -- End function
	.section	.AMDGPU.csdata,"",@progbits
; Kernel info:
; codeLenInByte = 1240
; NumSgprs: 30
; NumVgprs: 18
; NumAgprs: 0
; TotalNumVgprs: 18
; ScratchSize: 0
; MemoryBound: 0
; FloatMode: 240
; IeeeMode: 1
; LDSByteSize: 0 bytes/workgroup (compile time only)
; SGPRBlocks: 3
; VGPRBlocks: 2
; NumSGPRsForWavesPerEU: 30
; NumVGPRsForWavesPerEU: 18
; AccumOffset: 20
; Occupancy: 8
; WaveLimiterHint : 0
; COMPUTE_PGM_RSRC2:SCRATCH_EN: 0
; COMPUTE_PGM_RSRC2:USER_SGPR: 2
; COMPUTE_PGM_RSRC2:TRAP_HANDLER: 0
; COMPUTE_PGM_RSRC2:TGID_X_EN: 1
; COMPUTE_PGM_RSRC2:TGID_Y_EN: 0
; COMPUTE_PGM_RSRC2:TGID_Z_EN: 0
; COMPUTE_PGM_RSRC2:TIDIG_COMP_CNT: 0
; COMPUTE_PGM_RSRC3_GFX90A:ACCUM_OFFSET: 4
; COMPUTE_PGM_RSRC3_GFX90A:TG_SPLIT: 0
	.section	.text._ZN5aiter21activation_kernel_vecIDF16_TnPFfRKT_EXadL_ZNS_16gelu_fast_kernelIDF16_EEfS3_EELi1EEEvPS1_PS2_l,"axG",@progbits,_ZN5aiter21activation_kernel_vecIDF16_TnPFfRKT_EXadL_ZNS_16gelu_fast_kernelIDF16_EEfS3_EELi1EEEvPS1_PS2_l,comdat
	.protected	_ZN5aiter21activation_kernel_vecIDF16_TnPFfRKT_EXadL_ZNS_16gelu_fast_kernelIDF16_EEfS3_EELi1EEEvPS1_PS2_l ; -- Begin function _ZN5aiter21activation_kernel_vecIDF16_TnPFfRKT_EXadL_ZNS_16gelu_fast_kernelIDF16_EEfS3_EELi1EEEvPS1_PS2_l
	.globl	_ZN5aiter21activation_kernel_vecIDF16_TnPFfRKT_EXadL_ZNS_16gelu_fast_kernelIDF16_EEfS3_EELi1EEEvPS1_PS2_l
	.p2align	8
	.type	_ZN5aiter21activation_kernel_vecIDF16_TnPFfRKT_EXadL_ZNS_16gelu_fast_kernelIDF16_EEfS3_EELi1EEEvPS1_PS2_l,@function
_ZN5aiter21activation_kernel_vecIDF16_TnPFfRKT_EXadL_ZNS_16gelu_fast_kernelIDF16_EEfS3_EELi1EEEvPS1_PS2_l: ; @_ZN5aiter21activation_kernel_vecIDF16_TnPFfRKT_EXadL_ZNS_16gelu_fast_kernelIDF16_EEfS3_EELi1EEEvPS1_PS2_l
; %bb.0:
	s_load_dword s3, s[0:1], 0x24
	s_load_dwordx2 s[8:9], s[0:1], 0x10
	s_add_u32 s10, s0, 24
	s_addc_u32 s11, s1, 0
	v_mov_b32_e32 v1, 0
	s_waitcnt lgkmcnt(0)
	s_and_b32 s12, s3, 0xffff
	s_mul_i32 s2, s2, s12
	v_add_lshl_u32 v0, s2, v0, 1
	v_cmp_gt_i64_e32 vcc, s[8:9], v[0:1]
	s_and_saveexec_b64 s[2:3], vcc
	s_cbranch_execz .LBB600_15
; %bb.1:
	s_load_dword s2, s[10:11], 0x0
	s_load_dwordx4 s[4:7], s[0:1], 0x0
	s_mov_b32 s3, 0
	v_lshlrev_b64 v[2:3], 1, v[0:1]
	s_mov_b64 s[10:11], 0
	s_waitcnt lgkmcnt(0)
	s_mul_i32 s2, s2, s12
	s_lshl_b32 s2, s2, 1
	s_lshl_b64 s[12:13], s[2:3], 1
	s_mov_b32 s16, 0x40733333
	s_brev_b32 s17, -2
	v_mov_b32_e32 v6, 0x4544e000
	s_mov_b32 s18, 0.5
                                        ; implicit-def: $vgpr4
                                        ; implicit-def: $vgpr4
	;; [unrolled: 1-line block ×4, first 2 shown]
                                        ; implicit-def: $vgpr7
	s_branch .LBB600_4
.LBB600_2:                              ;   in Loop: Header=BB600_4 Depth=1
	s_or_b64 exec, exec, s[0:1]
	v_fmac_f32_e32 v7, v7, v9
	v_fma_mixlo_f16 v7, v7, s18, 0
	v_lshl_add_u64 v[10:11], s[4:5], 0, v[2:3]
	v_or_b32_e32 v4, 1, v0
	v_mov_b32_e32 v5, v1
	global_store_short v[10:11], v8, off
	v_mov_b32_e32 v8, v7
.LBB600_3:                              ;   in Loop: Header=BB600_4 Depth=1
	s_or_b64 exec, exec, s[14:15]
	v_lshl_add_u64 v[0:1], v[0:1], 0, s[2:3]
	v_cmp_le_i64_e32 vcc, s[8:9], v[0:1]
	v_lshl_add_u64 v[4:5], v[4:5], 1, s[4:5]
	s_or_b64 s[10:11], vcc, s[10:11]
	v_lshl_add_u64 v[2:3], v[2:3], 0, s[12:13]
	global_store_short v[4:5], v8, off
	s_andn2_b64 exec, exec, s[10:11]
	s_cbranch_execz .LBB600_15
.LBB600_4:                              ; =>This Inner Loop Header: Depth=1
	v_lshl_add_u64 v[4:5], s[6:7], 0, v[2:3]
	global_load_ushort v8, v[4:5], off
	v_lshl_add_u64 v[10:11], v[0:1], 0, 1
	v_cmp_gt_i64_e64 s[0:1], s[8:9], v[10:11]
	s_and_saveexec_b64 s[14:15], s[0:1]
	s_cbranch_execz .LBB600_6
; %bb.5:                                ;   in Loop: Header=BB600_4 Depth=1
	global_load_ushort v7, v[4:5], off offset:2
.LBB600_6:                              ;   in Loop: Header=BB600_4 Depth=1
	s_or_b64 exec, exec, s[14:15]
	s_waitcnt vmcnt(0)
	v_cvt_f32_f16_e32 v4, v8
	v_mul_f32_e32 v5, v4, v4
	v_mul_f32_e32 v8, v5, v4
	v_mul_f32_e32 v5, 0x3f4c422a, v4
	v_fmac_f32_e32 v5, 0x3d122279, v8
	v_cmp_ge_f32_e64 s[14:15], |v5|, s16
                                        ; implicit-def: $vgpr8
	s_and_saveexec_b64 s[20:21], s[14:15]
	s_xor_b64 s[14:15], exec, s[20:21]
; %bb.7:                                ;   in Loop: Header=BB600_4 Depth=1
	v_bfi_b32 v8, s17, 1.0, v5
                                        ; implicit-def: $vgpr5
; %bb.8:                                ;   in Loop: Header=BB600_4 Depth=1
	s_andn2_saveexec_b64 s[14:15], s[14:15]
	s_cbranch_execz .LBB600_10
; %bb.9:                                ;   in Loop: Header=BB600_4 Depth=1
	v_mul_f32_e32 v8, v5, v5
	v_fmaak_f32 v9, v5, v5, 0x43bd0000
	v_fmaak_f32 v9, v8, v9, 0x46875a00
	v_fmamk_f32 v10, v8, 0x41e00000, v6
	v_fmaak_f32 v9, v8, v9, 0x4803f7c0
	v_fmaak_f32 v10, v8, v10, 0x4773a200
	;; [unrolled: 1-line block ×3, first 2 shown]
	v_mul_f32_e32 v5, v5, v9
	v_div_scale_f32 v9, s[20:21], v8, v8, v5
	v_rcp_f32_e32 v10, v9
	s_nop 0
	v_fma_f32 v11, -v9, v10, 1.0
	v_fmac_f32_e32 v10, v11, v10
	v_div_scale_f32 v11, vcc, v5, v8, v5
	v_mul_f32_e32 v12, v11, v10
	v_fma_f32 v13, -v9, v12, v11
	v_fmac_f32_e32 v12, v13, v10
	v_fma_f32 v9, -v9, v12, v11
	v_div_fmas_f32 v9, v9, v10, v12
	v_div_fixup_f32 v5, v9, v8, v5
	v_med3_f32 v8, v5, -1.0, 1.0
.LBB600_10:                             ;   in Loop: Header=BB600_4 Depth=1
	s_or_b64 exec, exec, s[14:15]
	v_fmac_f32_e32 v4, v4, v8
	v_fma_mixlo_f16 v8, v4, s18, 0
	v_mov_b64_e32 v[4:5], v[0:1]
	s_and_saveexec_b64 s[14:15], s[0:1]
	s_cbranch_execz .LBB600_3
; %bb.11:                               ;   in Loop: Header=BB600_4 Depth=1
	v_cvt_f32_f16_e32 v7, v7
                                        ; implicit-def: $vgpr9
	v_mul_f32_e32 v4, v7, v7
	v_mul_f32_e32 v5, v4, v7
	;; [unrolled: 1-line block ×3, first 2 shown]
	v_fmac_f32_e32 v4, 0x3d122279, v5
	v_cmp_ge_f32_e64 s[0:1], |v4|, s16
	s_and_saveexec_b64 s[20:21], s[0:1]
	s_xor_b64 s[0:1], exec, s[20:21]
; %bb.12:                               ;   in Loop: Header=BB600_4 Depth=1
	v_bfi_b32 v9, s17, 1.0, v4
                                        ; implicit-def: $vgpr4
; %bb.13:                               ;   in Loop: Header=BB600_4 Depth=1
	s_andn2_saveexec_b64 s[0:1], s[0:1]
	s_cbranch_execz .LBB600_2
; %bb.14:                               ;   in Loop: Header=BB600_4 Depth=1
	v_mul_f32_e32 v5, v4, v4
	v_fmaak_f32 v9, v4, v4, 0x43bd0000
	v_fmaak_f32 v9, v5, v9, 0x46875a00
	v_fmamk_f32 v10, v5, 0x41e00000, v6
	v_fmaak_f32 v9, v5, v9, 0x4803f7c0
	v_fmaak_f32 v10, v5, v10, 0x4773a200
	v_fmaak_f32 v5, v5, v10, 0x4803f7c0
	v_mul_f32_e32 v4, v4, v9
	v_div_scale_f32 v9, s[20:21], v5, v5, v4
	v_rcp_f32_e32 v10, v9
	s_nop 0
	v_fma_f32 v11, -v9, v10, 1.0
	v_fmac_f32_e32 v10, v11, v10
	v_div_scale_f32 v11, vcc, v4, v5, v4
	v_mul_f32_e32 v12, v11, v10
	v_fma_f32 v13, -v9, v12, v11
	v_fmac_f32_e32 v12, v13, v10
	v_fma_f32 v9, -v9, v12, v11
	v_div_fmas_f32 v9, v9, v10, v12
	v_div_fixup_f32 v4, v9, v5, v4
	v_med3_f32 v9, v4, -1.0, 1.0
	s_branch .LBB600_2
.LBB600_15:
	s_endpgm
	.section	.rodata,"a",@progbits
	.p2align	6, 0x0
	.amdhsa_kernel _ZN5aiter21activation_kernel_vecIDF16_TnPFfRKT_EXadL_ZNS_16gelu_fast_kernelIDF16_EEfS3_EELi1EEEvPS1_PS2_l
		.amdhsa_group_segment_fixed_size 0
		.amdhsa_private_segment_fixed_size 0
		.amdhsa_kernarg_size 280
		.amdhsa_user_sgpr_count 2
		.amdhsa_user_sgpr_dispatch_ptr 0
		.amdhsa_user_sgpr_queue_ptr 0
		.amdhsa_user_sgpr_kernarg_segment_ptr 1
		.amdhsa_user_sgpr_dispatch_id 0
		.amdhsa_user_sgpr_kernarg_preload_length 0
		.amdhsa_user_sgpr_kernarg_preload_offset 0
		.amdhsa_user_sgpr_private_segment_size 0
		.amdhsa_uses_dynamic_stack 0
		.amdhsa_enable_private_segment 0
		.amdhsa_system_sgpr_workgroup_id_x 1
		.amdhsa_system_sgpr_workgroup_id_y 0
		.amdhsa_system_sgpr_workgroup_id_z 0
		.amdhsa_system_sgpr_workgroup_info 0
		.amdhsa_system_vgpr_workitem_id 0
		.amdhsa_next_free_vgpr 14
		.amdhsa_next_free_sgpr 22
		.amdhsa_accum_offset 16
		.amdhsa_reserve_vcc 1
		.amdhsa_float_round_mode_32 0
		.amdhsa_float_round_mode_16_64 0
		.amdhsa_float_denorm_mode_32 3
		.amdhsa_float_denorm_mode_16_64 3
		.amdhsa_dx10_clamp 1
		.amdhsa_ieee_mode 1
		.amdhsa_fp16_overflow 0
		.amdhsa_tg_split 0
		.amdhsa_exception_fp_ieee_invalid_op 0
		.amdhsa_exception_fp_denorm_src 0
		.amdhsa_exception_fp_ieee_div_zero 0
		.amdhsa_exception_fp_ieee_overflow 0
		.amdhsa_exception_fp_ieee_underflow 0
		.amdhsa_exception_fp_ieee_inexact 0
		.amdhsa_exception_int_div_zero 0
	.end_amdhsa_kernel
	.section	.text._ZN5aiter21activation_kernel_vecIDF16_TnPFfRKT_EXadL_ZNS_16gelu_fast_kernelIDF16_EEfS3_EELi1EEEvPS1_PS2_l,"axG",@progbits,_ZN5aiter21activation_kernel_vecIDF16_TnPFfRKT_EXadL_ZNS_16gelu_fast_kernelIDF16_EEfS3_EELi1EEEvPS1_PS2_l,comdat
.Lfunc_end600:
	.size	_ZN5aiter21activation_kernel_vecIDF16_TnPFfRKT_EXadL_ZNS_16gelu_fast_kernelIDF16_EEfS3_EELi1EEEvPS1_PS2_l, .Lfunc_end600-_ZN5aiter21activation_kernel_vecIDF16_TnPFfRKT_EXadL_ZNS_16gelu_fast_kernelIDF16_EEfS3_EELi1EEEvPS1_PS2_l
                                        ; -- End function
	.section	.AMDGPU.csdata,"",@progbits
; Kernel info:
; codeLenInByte = 728
; NumSgprs: 28
; NumVgprs: 14
; NumAgprs: 0
; TotalNumVgprs: 14
; ScratchSize: 0
; MemoryBound: 0
; FloatMode: 240
; IeeeMode: 1
; LDSByteSize: 0 bytes/workgroup (compile time only)
; SGPRBlocks: 3
; VGPRBlocks: 1
; NumSGPRsForWavesPerEU: 28
; NumVGPRsForWavesPerEU: 14
; AccumOffset: 16
; Occupancy: 8
; WaveLimiterHint : 0
; COMPUTE_PGM_RSRC2:SCRATCH_EN: 0
; COMPUTE_PGM_RSRC2:USER_SGPR: 2
; COMPUTE_PGM_RSRC2:TRAP_HANDLER: 0
; COMPUTE_PGM_RSRC2:TGID_X_EN: 1
; COMPUTE_PGM_RSRC2:TGID_Y_EN: 0
; COMPUTE_PGM_RSRC2:TGID_Z_EN: 0
; COMPUTE_PGM_RSRC2:TIDIG_COMP_CNT: 0
; COMPUTE_PGM_RSRC3_GFX90A:ACCUM_OFFSET: 3
; COMPUTE_PGM_RSRC3_GFX90A:TG_SPLIT: 0
	.section	.text._ZN5aiter21activation_kernel_vecItTnPFfRKT_EXadL_ZNS_16gelu_fast_kernelItEEfS3_EELi32EEEvPS1_PS2_l,"axG",@progbits,_ZN5aiter21activation_kernel_vecItTnPFfRKT_EXadL_ZNS_16gelu_fast_kernelItEEfS3_EELi32EEEvPS1_PS2_l,comdat
	.protected	_ZN5aiter21activation_kernel_vecItTnPFfRKT_EXadL_ZNS_16gelu_fast_kernelItEEfS3_EELi32EEEvPS1_PS2_l ; -- Begin function _ZN5aiter21activation_kernel_vecItTnPFfRKT_EXadL_ZNS_16gelu_fast_kernelItEEfS3_EELi32EEEvPS1_PS2_l
	.globl	_ZN5aiter21activation_kernel_vecItTnPFfRKT_EXadL_ZNS_16gelu_fast_kernelItEEfS3_EELi32EEEvPS1_PS2_l
	.p2align	8
	.type	_ZN5aiter21activation_kernel_vecItTnPFfRKT_EXadL_ZNS_16gelu_fast_kernelItEEfS3_EELi32EEEvPS1_PS2_l,@function
_ZN5aiter21activation_kernel_vecItTnPFfRKT_EXadL_ZNS_16gelu_fast_kernelItEEfS3_EELi32EEEvPS1_PS2_l: ; @_ZN5aiter21activation_kernel_vecItTnPFfRKT_EXadL_ZNS_16gelu_fast_kernelItEEfS3_EELi32EEEvPS1_PS2_l
; %bb.0:
	s_load_dword s3, s[0:1], 0x24
	s_load_dwordx2 s[8:9], s[0:1], 0x10
	s_add_u32 s10, s0, 24
	s_addc_u32 s11, s1, 0
	v_mov_b32_e32 v33, 0
	s_waitcnt lgkmcnt(0)
	s_and_b32 s12, s3, 0xffff
	s_mul_i32 s2, s2, s12
	v_add_lshl_u32 v32, s2, v0, 6
	s_mov_b32 s18, 0xffff
	v_cmp_gt_i64_e32 vcc, s[8:9], v[32:33]
	s_and_saveexec_b64 s[2:3], vcc
	s_cbranch_execz .LBB601_327
; %bb.1:
	s_load_dword s2, s[10:11], 0x0
	s_load_dwordx4 s[4:7], s[0:1], 0x0
	s_mov_b32 s3, 0
	v_lshl_add_u64 v[34:35], v[32:33], 1, 64
	s_mov_b64 s[10:11], 0
	s_waitcnt lgkmcnt(0)
	s_mul_i32 s2, s2, s12
	s_lshl_b32 s2, s2, 6
	s_lshl_b64 s[12:13], s[2:3], 1
	s_mov_b32 s19, 0x40733333
	s_brev_b32 s20, -2
                                        ; implicit-def: $vgpr0
                                        ; implicit-def: $vgpr0
                                        ; implicit-def: $vgpr0
	v_mov_b32_e32 v38, 0x4544e000
                                        ; implicit-def: $vgpr0
	s_mov_b32 s21, 0x7060302
                                        ; implicit-def: $vgpr0_vgpr1_vgpr2_vgpr3_vgpr4_vgpr5_vgpr6_vgpr7_vgpr8_vgpr9_vgpr10_vgpr11_vgpr12_vgpr13_vgpr14_vgpr15
	s_branch .LBB601_3
.LBB601_2:                              ;   in Loop: Header=BB601_3 Depth=1
	s_or_b64 exec, exec, s[14:15]
	v_lshl_add_u64 v[32:33], v[32:33], 0, s[2:3]
	v_cmp_le_i64_e32 vcc, s[8:9], v[32:33]
	s_or_b64 s[10:11], vcc, s[10:11]
	v_lshl_add_u64 v[34:35], v[34:35], 0, s[12:13]
	s_andn2_b64 exec, exec, s[10:11]
	s_cbranch_execz .LBB601_327
.LBB601_3:                              ; =>This Inner Loop Header: Depth=1
	v_lshl_add_u64 v[36:37], s[6:7], 0, v[34:35]
	global_load_dwordx4 v[16:19], v[36:37], off offset:-16
	global_load_dwordx4 v[20:23], v[36:37], off offset:-32
	;; [unrolled: 1-line block ×4, first 2 shown]
	v_lshl_add_u64 v[40:41], v[32:33], 0, 32
	v_cmp_gt_i64_e64 s[0:1], s[8:9], v[40:41]
	s_and_saveexec_b64 s[14:15], s[0:1]
	s_cbranch_execz .LBB601_5
; %bb.4:                                ;   in Loop: Header=BB601_3 Depth=1
	global_load_dwordx4 v[12:15], v[36:37], off offset:48
	global_load_dwordx4 v[8:11], v[36:37], off offset:32
	;; [unrolled: 1-line block ×3, first 2 shown]
	global_load_dwordx4 v[0:3], v[36:37], off
.LBB601_5:                              ;   in Loop: Header=BB601_3 Depth=1
	s_or_b64 exec, exec, s[14:15]
	s_waitcnt vmcnt(0)
	v_lshlrev_b32_e32 v36, 16, v28
	v_mul_f32_e32 v37, v36, v36
	v_mul_f32_e32 v37, v37, v36
	;; [unrolled: 1-line block ×3, first 2 shown]
	v_fmac_f32_e32 v39, 0x3d122279, v37
	v_cmp_ge_f32_e64 s[14:15], |v39|, s19
                                        ; implicit-def: $vgpr37
	s_and_saveexec_b64 s[16:17], s[14:15]
	s_xor_b64 s[14:15], exec, s[16:17]
	s_cbranch_execnz .LBB601_8
; %bb.6:                                ;   in Loop: Header=BB601_3 Depth=1
	s_andn2_saveexec_b64 s[14:15], s[14:15]
	s_cbranch_execnz .LBB601_9
.LBB601_7:                              ;   in Loop: Header=BB601_3 Depth=1
	s_or_b64 exec, exec, s[14:15]
	s_and_saveexec_b64 s[14:15], s[0:1]
	s_cbranch_execnz .LBB601_10
	s_branch .LBB601_15
.LBB601_8:                              ;   in Loop: Header=BB601_3 Depth=1
	v_bfi_b32 v37, s20, 1.0, v39
                                        ; implicit-def: $vgpr39
	s_andn2_saveexec_b64 s[14:15], s[14:15]
	s_cbranch_execz .LBB601_7
.LBB601_9:                              ;   in Loop: Header=BB601_3 Depth=1
	v_mul_f32_e32 v37, v39, v39
	v_fmaak_f32 v40, v39, v39, 0x43bd0000
	v_fmaak_f32 v40, v37, v40, 0x46875a00
	v_fmamk_f32 v41, v37, 0x41e00000, v38
	v_fmaak_f32 v40, v37, v40, 0x4803f7c0
	v_fmaak_f32 v41, v37, v41, 0x4773a200
	;; [unrolled: 1-line block ×3, first 2 shown]
	v_mul_f32_e32 v39, v39, v40
	v_div_scale_f32 v40, s[16:17], v37, v37, v39
	v_rcp_f32_e32 v41, v40
	s_nop 0
	v_fma_f32 v42, -v40, v41, 1.0
	v_fmac_f32_e32 v41, v42, v41
	v_div_scale_f32 v42, vcc, v39, v37, v39
	v_mul_f32_e32 v43, v42, v41
	v_fma_f32 v44, -v40, v43, v42
	v_fmac_f32_e32 v43, v44, v41
	v_fma_f32 v40, -v40, v43, v42
	v_div_fmas_f32 v40, v40, v41, v43
	v_div_fixup_f32 v37, v40, v37, v39
	v_med3_f32 v37, v37, -1.0, 1.0
	s_or_b64 exec, exec, s[14:15]
	s_and_saveexec_b64 s[14:15], s[0:1]
	s_cbranch_execz .LBB601_15
.LBB601_10:                             ;   in Loop: Header=BB601_3 Depth=1
	v_lshlrev_b32_e32 v39, 16, v0
	v_mul_f32_e32 v40, v39, v39
	v_mul_f32_e32 v41, v40, v39
	;; [unrolled: 1-line block ×3, first 2 shown]
	v_fmac_f32_e32 v40, 0x3d122279, v41
	v_cmp_ge_f32_e64 s[16:17], |v40|, s19
                                        ; implicit-def: $vgpr41
	s_and_saveexec_b64 s[22:23], s[16:17]
	s_xor_b64 s[16:17], exec, s[22:23]
; %bb.11:                               ;   in Loop: Header=BB601_3 Depth=1
	v_bfi_b32 v41, s20, 1.0, v40
                                        ; implicit-def: $vgpr40
; %bb.12:                               ;   in Loop: Header=BB601_3 Depth=1
	s_andn2_saveexec_b64 s[16:17], s[16:17]
	s_cbranch_execz .LBB601_14
; %bb.13:                               ;   in Loop: Header=BB601_3 Depth=1
	v_mul_f32_e32 v41, v40, v40
	v_fmaak_f32 v42, v40, v40, 0x43bd0000
	v_fmaak_f32 v42, v41, v42, 0x46875a00
	v_fmamk_f32 v43, v41, 0x41e00000, v38
	v_fmaak_f32 v42, v41, v42, 0x4803f7c0
	v_fmaak_f32 v43, v41, v43, 0x4773a200
	;; [unrolled: 1-line block ×3, first 2 shown]
	v_mul_f32_e32 v40, v40, v42
	v_div_scale_f32 v42, s[22:23], v41, v41, v40
	v_rcp_f32_e32 v43, v42
	s_nop 0
	v_fma_f32 v44, -v42, v43, 1.0
	v_fmac_f32_e32 v43, v44, v43
	v_div_scale_f32 v44, vcc, v40, v41, v40
	v_mul_f32_e32 v45, v44, v43
	v_fma_f32 v46, -v42, v45, v44
	v_fmac_f32_e32 v45, v46, v43
	v_fma_f32 v42, -v42, v45, v44
	v_div_fmas_f32 v42, v42, v43, v45
	v_div_fixup_f32 v40, v42, v41, v40
	v_med3_f32 v41, v40, -1.0, 1.0
.LBB601_14:                             ;   in Loop: Header=BB601_3 Depth=1
	s_or_b64 exec, exec, s[16:17]
	v_fmac_f32_e32 v39, v39, v41
	v_mul_f32_e32 v39, 0.5, v39
	v_perm_b32 v0, v0, v39, s21
.LBB601_15:                             ;   in Loop: Header=BB601_3 Depth=1
	s_or_b64 exec, exec, s[14:15]
	v_and_b32_e32 v28, 0xffff0000, v28
	v_mul_f32_e32 v39, v28, v28
	v_mul_f32_e32 v39, v39, v28
	;; [unrolled: 1-line block ×3, first 2 shown]
	v_fmac_f32_e32 v40, 0x3d122279, v39
	v_cmp_ge_f32_e64 s[14:15], |v40|, s19
                                        ; implicit-def: $vgpr39
	s_and_saveexec_b64 s[16:17], s[14:15]
	s_xor_b64 s[14:15], exec, s[16:17]
	s_cbranch_execnz .LBB601_18
; %bb.16:                               ;   in Loop: Header=BB601_3 Depth=1
	s_andn2_saveexec_b64 s[14:15], s[14:15]
	s_cbranch_execnz .LBB601_19
.LBB601_17:                             ;   in Loop: Header=BB601_3 Depth=1
	s_or_b64 exec, exec, s[14:15]
	s_and_saveexec_b64 s[14:15], s[0:1]
	s_cbranch_execnz .LBB601_20
	s_branch .LBB601_25
.LBB601_18:                             ;   in Loop: Header=BB601_3 Depth=1
	v_bfi_b32 v39, s20, 1.0, v40
                                        ; implicit-def: $vgpr40
	s_andn2_saveexec_b64 s[14:15], s[14:15]
	s_cbranch_execz .LBB601_17
.LBB601_19:                             ;   in Loop: Header=BB601_3 Depth=1
	v_mul_f32_e32 v39, v40, v40
	v_fmaak_f32 v41, v40, v40, 0x43bd0000
	v_fmaak_f32 v41, v39, v41, 0x46875a00
	v_fmamk_f32 v42, v39, 0x41e00000, v38
	v_fmaak_f32 v41, v39, v41, 0x4803f7c0
	v_fmaak_f32 v42, v39, v42, 0x4773a200
	;; [unrolled: 1-line block ×3, first 2 shown]
	v_mul_f32_e32 v40, v40, v41
	v_div_scale_f32 v41, s[16:17], v39, v39, v40
	v_rcp_f32_e32 v42, v41
	s_nop 0
	v_fma_f32 v43, -v41, v42, 1.0
	v_fmac_f32_e32 v42, v43, v42
	v_div_scale_f32 v43, vcc, v40, v39, v40
	v_mul_f32_e32 v44, v43, v42
	v_fma_f32 v45, -v41, v44, v43
	v_fmac_f32_e32 v44, v45, v42
	v_fma_f32 v41, -v41, v44, v43
	v_div_fmas_f32 v41, v41, v42, v44
	v_div_fixup_f32 v39, v41, v39, v40
	v_med3_f32 v39, v39, -1.0, 1.0
	s_or_b64 exec, exec, s[14:15]
	s_and_saveexec_b64 s[14:15], s[0:1]
	s_cbranch_execz .LBB601_25
.LBB601_20:                             ;   in Loop: Header=BB601_3 Depth=1
	v_and_b32_e32 v40, 0xffff0000, v0
	v_mul_f32_e32 v41, v40, v40
	v_mul_f32_e32 v42, v41, v40
	;; [unrolled: 1-line block ×3, first 2 shown]
	v_fmac_f32_e32 v41, 0x3d122279, v42
	v_cmp_ge_f32_e64 s[16:17], |v41|, s19
                                        ; implicit-def: $vgpr42
	s_and_saveexec_b64 s[22:23], s[16:17]
	s_xor_b64 s[16:17], exec, s[22:23]
; %bb.21:                               ;   in Loop: Header=BB601_3 Depth=1
	v_bfi_b32 v42, s20, 1.0, v41
                                        ; implicit-def: $vgpr41
; %bb.22:                               ;   in Loop: Header=BB601_3 Depth=1
	s_andn2_saveexec_b64 s[16:17], s[16:17]
	s_cbranch_execz .LBB601_24
; %bb.23:                               ;   in Loop: Header=BB601_3 Depth=1
	v_mul_f32_e32 v42, v41, v41
	v_fmaak_f32 v43, v41, v41, 0x43bd0000
	v_fmaak_f32 v43, v42, v43, 0x46875a00
	v_fmamk_f32 v44, v42, 0x41e00000, v38
	v_fmaak_f32 v43, v42, v43, 0x4803f7c0
	v_fmaak_f32 v44, v42, v44, 0x4773a200
	;; [unrolled: 1-line block ×3, first 2 shown]
	v_mul_f32_e32 v41, v41, v43
	v_div_scale_f32 v43, s[22:23], v42, v42, v41
	v_rcp_f32_e32 v44, v43
	s_nop 0
	v_fma_f32 v45, -v43, v44, 1.0
	v_fmac_f32_e32 v44, v45, v44
	v_div_scale_f32 v45, vcc, v41, v42, v41
	v_mul_f32_e32 v46, v45, v44
	v_fma_f32 v47, -v43, v46, v45
	v_fmac_f32_e32 v46, v47, v44
	v_fma_f32 v43, -v43, v46, v45
	v_div_fmas_f32 v43, v43, v44, v46
	v_div_fixup_f32 v41, v43, v42, v41
	v_med3_f32 v42, v41, -1.0, 1.0
.LBB601_24:                             ;   in Loop: Header=BB601_3 Depth=1
	s_or_b64 exec, exec, s[16:17]
	v_fmac_f32_e32 v40, v40, v42
	v_mul_f32_e32 v40, 0.5, v40
	v_bfi_b32 v0, s18, v0, v40
.LBB601_25:                             ;   in Loop: Header=BB601_3 Depth=1
	s_or_b64 exec, exec, s[14:15]
	v_lshlrev_b32_e32 v40, 16, v29
	v_mul_f32_e32 v41, v40, v40
	v_mul_f32_e32 v41, v41, v40
	;; [unrolled: 1-line block ×3, first 2 shown]
	v_fmac_f32_e32 v42, 0x3d122279, v41
	v_cmp_ge_f32_e64 s[14:15], |v42|, s19
                                        ; implicit-def: $vgpr41
	s_and_saveexec_b64 s[16:17], s[14:15]
	s_xor_b64 s[14:15], exec, s[16:17]
	s_cbranch_execnz .LBB601_28
; %bb.26:                               ;   in Loop: Header=BB601_3 Depth=1
	s_andn2_saveexec_b64 s[14:15], s[14:15]
	s_cbranch_execnz .LBB601_29
.LBB601_27:                             ;   in Loop: Header=BB601_3 Depth=1
	s_or_b64 exec, exec, s[14:15]
	s_and_saveexec_b64 s[14:15], s[0:1]
	s_cbranch_execnz .LBB601_30
	s_branch .LBB601_35
.LBB601_28:                             ;   in Loop: Header=BB601_3 Depth=1
	v_bfi_b32 v41, s20, 1.0, v42
                                        ; implicit-def: $vgpr42
	s_andn2_saveexec_b64 s[14:15], s[14:15]
	s_cbranch_execz .LBB601_27
.LBB601_29:                             ;   in Loop: Header=BB601_3 Depth=1
	v_mul_f32_e32 v41, v42, v42
	v_fmaak_f32 v43, v42, v42, 0x43bd0000
	v_fmaak_f32 v43, v41, v43, 0x46875a00
	v_fmamk_f32 v44, v41, 0x41e00000, v38
	v_fmaak_f32 v43, v41, v43, 0x4803f7c0
	v_fmaak_f32 v44, v41, v44, 0x4773a200
	;; [unrolled: 1-line block ×3, first 2 shown]
	v_mul_f32_e32 v42, v42, v43
	v_div_scale_f32 v43, s[16:17], v41, v41, v42
	v_rcp_f32_e32 v44, v43
	s_nop 0
	v_fma_f32 v45, -v43, v44, 1.0
	v_fmac_f32_e32 v44, v45, v44
	v_div_scale_f32 v45, vcc, v42, v41, v42
	v_mul_f32_e32 v46, v45, v44
	v_fma_f32 v47, -v43, v46, v45
	v_fmac_f32_e32 v46, v47, v44
	v_fma_f32 v43, -v43, v46, v45
	v_div_fmas_f32 v43, v43, v44, v46
	v_div_fixup_f32 v41, v43, v41, v42
	v_med3_f32 v41, v41, -1.0, 1.0
	s_or_b64 exec, exec, s[14:15]
	s_and_saveexec_b64 s[14:15], s[0:1]
	s_cbranch_execz .LBB601_35
.LBB601_30:                             ;   in Loop: Header=BB601_3 Depth=1
	v_lshlrev_b32_e32 v42, 16, v1
	v_mul_f32_e32 v43, v42, v42
	v_mul_f32_e32 v44, v43, v42
	;; [unrolled: 1-line block ×3, first 2 shown]
	v_fmac_f32_e32 v43, 0x3d122279, v44
	v_cmp_ge_f32_e64 s[16:17], |v43|, s19
                                        ; implicit-def: $vgpr44
	s_and_saveexec_b64 s[22:23], s[16:17]
	s_xor_b64 s[16:17], exec, s[22:23]
; %bb.31:                               ;   in Loop: Header=BB601_3 Depth=1
	v_bfi_b32 v44, s20, 1.0, v43
                                        ; implicit-def: $vgpr43
; %bb.32:                               ;   in Loop: Header=BB601_3 Depth=1
	s_andn2_saveexec_b64 s[16:17], s[16:17]
	s_cbranch_execz .LBB601_34
; %bb.33:                               ;   in Loop: Header=BB601_3 Depth=1
	v_mul_f32_e32 v44, v43, v43
	v_fmaak_f32 v45, v43, v43, 0x43bd0000
	v_fmaak_f32 v45, v44, v45, 0x46875a00
	v_fmamk_f32 v46, v44, 0x41e00000, v38
	v_fmaak_f32 v45, v44, v45, 0x4803f7c0
	v_fmaak_f32 v46, v44, v46, 0x4773a200
	;; [unrolled: 1-line block ×3, first 2 shown]
	v_mul_f32_e32 v43, v43, v45
	v_div_scale_f32 v45, s[22:23], v44, v44, v43
	v_rcp_f32_e32 v46, v45
	s_nop 0
	v_fma_f32 v47, -v45, v46, 1.0
	v_fmac_f32_e32 v46, v47, v46
	v_div_scale_f32 v47, vcc, v43, v44, v43
	v_mul_f32_e32 v48, v47, v46
	v_fma_f32 v49, -v45, v48, v47
	v_fmac_f32_e32 v48, v49, v46
	v_fma_f32 v45, -v45, v48, v47
	v_div_fmas_f32 v45, v45, v46, v48
	v_div_fixup_f32 v43, v45, v44, v43
	v_med3_f32 v44, v43, -1.0, 1.0
.LBB601_34:                             ;   in Loop: Header=BB601_3 Depth=1
	s_or_b64 exec, exec, s[16:17]
	v_fmac_f32_e32 v42, v42, v44
	v_mul_f32_e32 v42, 0.5, v42
	v_perm_b32 v1, v1, v42, s21
.LBB601_35:                             ;   in Loop: Header=BB601_3 Depth=1
	s_or_b64 exec, exec, s[14:15]
	v_and_b32_e32 v29, 0xffff0000, v29
	v_mul_f32_e32 v42, v29, v29
	v_mul_f32_e32 v42, v42, v29
	;; [unrolled: 1-line block ×3, first 2 shown]
	v_fmac_f32_e32 v43, 0x3d122279, v42
	v_cmp_ge_f32_e64 s[14:15], |v43|, s19
                                        ; implicit-def: $vgpr42
	s_and_saveexec_b64 s[16:17], s[14:15]
	s_xor_b64 s[14:15], exec, s[16:17]
	s_cbranch_execnz .LBB601_38
; %bb.36:                               ;   in Loop: Header=BB601_3 Depth=1
	s_andn2_saveexec_b64 s[14:15], s[14:15]
	s_cbranch_execnz .LBB601_39
.LBB601_37:                             ;   in Loop: Header=BB601_3 Depth=1
	s_or_b64 exec, exec, s[14:15]
	s_and_saveexec_b64 s[14:15], s[0:1]
	s_cbranch_execnz .LBB601_40
	s_branch .LBB601_45
.LBB601_38:                             ;   in Loop: Header=BB601_3 Depth=1
	v_bfi_b32 v42, s20, 1.0, v43
                                        ; implicit-def: $vgpr43
	s_andn2_saveexec_b64 s[14:15], s[14:15]
	s_cbranch_execz .LBB601_37
.LBB601_39:                             ;   in Loop: Header=BB601_3 Depth=1
	v_mul_f32_e32 v42, v43, v43
	v_fmaak_f32 v44, v43, v43, 0x43bd0000
	v_fmaak_f32 v44, v42, v44, 0x46875a00
	v_fmamk_f32 v45, v42, 0x41e00000, v38
	v_fmaak_f32 v44, v42, v44, 0x4803f7c0
	v_fmaak_f32 v45, v42, v45, 0x4773a200
	;; [unrolled: 1-line block ×3, first 2 shown]
	v_mul_f32_e32 v43, v43, v44
	v_div_scale_f32 v44, s[16:17], v42, v42, v43
	v_rcp_f32_e32 v45, v44
	s_nop 0
	v_fma_f32 v46, -v44, v45, 1.0
	v_fmac_f32_e32 v45, v46, v45
	v_div_scale_f32 v46, vcc, v43, v42, v43
	v_mul_f32_e32 v47, v46, v45
	v_fma_f32 v48, -v44, v47, v46
	v_fmac_f32_e32 v47, v48, v45
	v_fma_f32 v44, -v44, v47, v46
	v_div_fmas_f32 v44, v44, v45, v47
	v_div_fixup_f32 v42, v44, v42, v43
	v_med3_f32 v42, v42, -1.0, 1.0
	s_or_b64 exec, exec, s[14:15]
	s_and_saveexec_b64 s[14:15], s[0:1]
	s_cbranch_execz .LBB601_45
.LBB601_40:                             ;   in Loop: Header=BB601_3 Depth=1
	v_and_b32_e32 v43, 0xffff0000, v1
	v_mul_f32_e32 v44, v43, v43
	v_mul_f32_e32 v45, v44, v43
	;; [unrolled: 1-line block ×3, first 2 shown]
	v_fmac_f32_e32 v44, 0x3d122279, v45
	v_cmp_ge_f32_e64 s[16:17], |v44|, s19
                                        ; implicit-def: $vgpr45
	s_and_saveexec_b64 s[22:23], s[16:17]
	s_xor_b64 s[16:17], exec, s[22:23]
; %bb.41:                               ;   in Loop: Header=BB601_3 Depth=1
	v_bfi_b32 v45, s20, 1.0, v44
                                        ; implicit-def: $vgpr44
; %bb.42:                               ;   in Loop: Header=BB601_3 Depth=1
	s_andn2_saveexec_b64 s[16:17], s[16:17]
	s_cbranch_execz .LBB601_44
; %bb.43:                               ;   in Loop: Header=BB601_3 Depth=1
	v_mul_f32_e32 v45, v44, v44
	v_fmaak_f32 v46, v44, v44, 0x43bd0000
	v_fmaak_f32 v46, v45, v46, 0x46875a00
	v_fmamk_f32 v47, v45, 0x41e00000, v38
	v_fmaak_f32 v46, v45, v46, 0x4803f7c0
	v_fmaak_f32 v47, v45, v47, 0x4773a200
	;; [unrolled: 1-line block ×3, first 2 shown]
	v_mul_f32_e32 v44, v44, v46
	v_div_scale_f32 v46, s[22:23], v45, v45, v44
	v_rcp_f32_e32 v47, v46
	s_nop 0
	v_fma_f32 v48, -v46, v47, 1.0
	v_fmac_f32_e32 v47, v48, v47
	v_div_scale_f32 v48, vcc, v44, v45, v44
	v_mul_f32_e32 v49, v48, v47
	v_fma_f32 v50, -v46, v49, v48
	v_fmac_f32_e32 v49, v50, v47
	v_fma_f32 v46, -v46, v49, v48
	v_div_fmas_f32 v46, v46, v47, v49
	v_div_fixup_f32 v44, v46, v45, v44
	v_med3_f32 v45, v44, -1.0, 1.0
.LBB601_44:                             ;   in Loop: Header=BB601_3 Depth=1
	s_or_b64 exec, exec, s[16:17]
	v_fmac_f32_e32 v43, v43, v45
	v_mul_f32_e32 v43, 0.5, v43
	v_bfi_b32 v1, s18, v1, v43
.LBB601_45:                             ;   in Loop: Header=BB601_3 Depth=1
	s_or_b64 exec, exec, s[14:15]
	v_lshlrev_b32_e32 v43, 16, v30
	v_mul_f32_e32 v44, v43, v43
	v_mul_f32_e32 v44, v44, v43
	;; [unrolled: 1-line block ×3, first 2 shown]
	v_fmac_f32_e32 v45, 0x3d122279, v44
	v_cmp_ge_f32_e64 s[14:15], |v45|, s19
                                        ; implicit-def: $vgpr44
	s_and_saveexec_b64 s[16:17], s[14:15]
	s_xor_b64 s[14:15], exec, s[16:17]
	s_cbranch_execnz .LBB601_48
; %bb.46:                               ;   in Loop: Header=BB601_3 Depth=1
	s_andn2_saveexec_b64 s[14:15], s[14:15]
	s_cbranch_execnz .LBB601_49
.LBB601_47:                             ;   in Loop: Header=BB601_3 Depth=1
	s_or_b64 exec, exec, s[14:15]
	s_and_saveexec_b64 s[14:15], s[0:1]
	s_cbranch_execnz .LBB601_50
	s_branch .LBB601_55
.LBB601_48:                             ;   in Loop: Header=BB601_3 Depth=1
	v_bfi_b32 v44, s20, 1.0, v45
                                        ; implicit-def: $vgpr45
	s_andn2_saveexec_b64 s[14:15], s[14:15]
	s_cbranch_execz .LBB601_47
.LBB601_49:                             ;   in Loop: Header=BB601_3 Depth=1
	v_mul_f32_e32 v44, v45, v45
	v_fmaak_f32 v46, v45, v45, 0x43bd0000
	v_fmaak_f32 v46, v44, v46, 0x46875a00
	v_fmamk_f32 v47, v44, 0x41e00000, v38
	v_fmaak_f32 v46, v44, v46, 0x4803f7c0
	v_fmaak_f32 v47, v44, v47, 0x4773a200
	;; [unrolled: 1-line block ×3, first 2 shown]
	v_mul_f32_e32 v45, v45, v46
	v_div_scale_f32 v46, s[16:17], v44, v44, v45
	v_rcp_f32_e32 v47, v46
	s_nop 0
	v_fma_f32 v48, -v46, v47, 1.0
	v_fmac_f32_e32 v47, v48, v47
	v_div_scale_f32 v48, vcc, v45, v44, v45
	v_mul_f32_e32 v49, v48, v47
	v_fma_f32 v50, -v46, v49, v48
	v_fmac_f32_e32 v49, v50, v47
	v_fma_f32 v46, -v46, v49, v48
	v_div_fmas_f32 v46, v46, v47, v49
	v_div_fixup_f32 v44, v46, v44, v45
	v_med3_f32 v44, v44, -1.0, 1.0
	s_or_b64 exec, exec, s[14:15]
	s_and_saveexec_b64 s[14:15], s[0:1]
	s_cbranch_execz .LBB601_55
.LBB601_50:                             ;   in Loop: Header=BB601_3 Depth=1
	v_lshlrev_b32_e32 v45, 16, v2
	v_mul_f32_e32 v46, v45, v45
	v_mul_f32_e32 v47, v46, v45
	;; [unrolled: 1-line block ×3, first 2 shown]
	v_fmac_f32_e32 v46, 0x3d122279, v47
	v_cmp_ge_f32_e64 s[16:17], |v46|, s19
                                        ; implicit-def: $vgpr47
	s_and_saveexec_b64 s[22:23], s[16:17]
	s_xor_b64 s[16:17], exec, s[22:23]
; %bb.51:                               ;   in Loop: Header=BB601_3 Depth=1
	v_bfi_b32 v47, s20, 1.0, v46
                                        ; implicit-def: $vgpr46
; %bb.52:                               ;   in Loop: Header=BB601_3 Depth=1
	s_andn2_saveexec_b64 s[16:17], s[16:17]
	s_cbranch_execz .LBB601_54
; %bb.53:                               ;   in Loop: Header=BB601_3 Depth=1
	v_mul_f32_e32 v47, v46, v46
	v_fmaak_f32 v48, v46, v46, 0x43bd0000
	v_fmaak_f32 v48, v47, v48, 0x46875a00
	v_fmamk_f32 v49, v47, 0x41e00000, v38
	v_fmaak_f32 v48, v47, v48, 0x4803f7c0
	v_fmaak_f32 v49, v47, v49, 0x4773a200
	;; [unrolled: 1-line block ×3, first 2 shown]
	v_mul_f32_e32 v46, v46, v48
	v_div_scale_f32 v48, s[22:23], v47, v47, v46
	v_rcp_f32_e32 v49, v48
	s_nop 0
	v_fma_f32 v50, -v48, v49, 1.0
	v_fmac_f32_e32 v49, v50, v49
	v_div_scale_f32 v50, vcc, v46, v47, v46
	v_mul_f32_e32 v51, v50, v49
	v_fma_f32 v52, -v48, v51, v50
	v_fmac_f32_e32 v51, v52, v49
	v_fma_f32 v48, -v48, v51, v50
	v_div_fmas_f32 v48, v48, v49, v51
	v_div_fixup_f32 v46, v48, v47, v46
	v_med3_f32 v47, v46, -1.0, 1.0
.LBB601_54:                             ;   in Loop: Header=BB601_3 Depth=1
	s_or_b64 exec, exec, s[16:17]
	v_fmac_f32_e32 v45, v45, v47
	v_mul_f32_e32 v45, 0.5, v45
	v_perm_b32 v2, v2, v45, s21
.LBB601_55:                             ;   in Loop: Header=BB601_3 Depth=1
	s_or_b64 exec, exec, s[14:15]
	v_and_b32_e32 v30, 0xffff0000, v30
	v_mul_f32_e32 v45, v30, v30
	v_mul_f32_e32 v45, v45, v30
	;; [unrolled: 1-line block ×3, first 2 shown]
	v_fmac_f32_e32 v46, 0x3d122279, v45
	v_cmp_ge_f32_e64 s[14:15], |v46|, s19
                                        ; implicit-def: $vgpr45
	s_and_saveexec_b64 s[16:17], s[14:15]
	s_xor_b64 s[14:15], exec, s[16:17]
	s_cbranch_execnz .LBB601_58
; %bb.56:                               ;   in Loop: Header=BB601_3 Depth=1
	s_andn2_saveexec_b64 s[14:15], s[14:15]
	s_cbranch_execnz .LBB601_59
.LBB601_57:                             ;   in Loop: Header=BB601_3 Depth=1
	s_or_b64 exec, exec, s[14:15]
	s_and_saveexec_b64 s[14:15], s[0:1]
	s_cbranch_execnz .LBB601_60
	s_branch .LBB601_65
.LBB601_58:                             ;   in Loop: Header=BB601_3 Depth=1
	v_bfi_b32 v45, s20, 1.0, v46
                                        ; implicit-def: $vgpr46
	s_andn2_saveexec_b64 s[14:15], s[14:15]
	s_cbranch_execz .LBB601_57
.LBB601_59:                             ;   in Loop: Header=BB601_3 Depth=1
	v_mul_f32_e32 v45, v46, v46
	v_fmaak_f32 v47, v46, v46, 0x43bd0000
	v_fmaak_f32 v47, v45, v47, 0x46875a00
	v_fmamk_f32 v48, v45, 0x41e00000, v38
	v_fmaak_f32 v47, v45, v47, 0x4803f7c0
	v_fmaak_f32 v48, v45, v48, 0x4773a200
	;; [unrolled: 1-line block ×3, first 2 shown]
	v_mul_f32_e32 v46, v46, v47
	v_div_scale_f32 v47, s[16:17], v45, v45, v46
	v_rcp_f32_e32 v48, v47
	s_nop 0
	v_fma_f32 v49, -v47, v48, 1.0
	v_fmac_f32_e32 v48, v49, v48
	v_div_scale_f32 v49, vcc, v46, v45, v46
	v_mul_f32_e32 v50, v49, v48
	v_fma_f32 v51, -v47, v50, v49
	v_fmac_f32_e32 v50, v51, v48
	v_fma_f32 v47, -v47, v50, v49
	v_div_fmas_f32 v47, v47, v48, v50
	v_div_fixup_f32 v45, v47, v45, v46
	v_med3_f32 v45, v45, -1.0, 1.0
	s_or_b64 exec, exec, s[14:15]
	s_and_saveexec_b64 s[14:15], s[0:1]
	s_cbranch_execz .LBB601_65
.LBB601_60:                             ;   in Loop: Header=BB601_3 Depth=1
	v_and_b32_e32 v46, 0xffff0000, v2
	v_mul_f32_e32 v47, v46, v46
	v_mul_f32_e32 v48, v47, v46
	;; [unrolled: 1-line block ×3, first 2 shown]
	v_fmac_f32_e32 v47, 0x3d122279, v48
	v_cmp_ge_f32_e64 s[16:17], |v47|, s19
                                        ; implicit-def: $vgpr48
	s_and_saveexec_b64 s[22:23], s[16:17]
	s_xor_b64 s[16:17], exec, s[22:23]
; %bb.61:                               ;   in Loop: Header=BB601_3 Depth=1
	v_bfi_b32 v48, s20, 1.0, v47
                                        ; implicit-def: $vgpr47
; %bb.62:                               ;   in Loop: Header=BB601_3 Depth=1
	s_andn2_saveexec_b64 s[16:17], s[16:17]
	s_cbranch_execz .LBB601_64
; %bb.63:                               ;   in Loop: Header=BB601_3 Depth=1
	v_mul_f32_e32 v48, v47, v47
	v_fmaak_f32 v49, v47, v47, 0x43bd0000
	v_fmaak_f32 v49, v48, v49, 0x46875a00
	v_fmamk_f32 v50, v48, 0x41e00000, v38
	v_fmaak_f32 v49, v48, v49, 0x4803f7c0
	v_fmaak_f32 v50, v48, v50, 0x4773a200
	;; [unrolled: 1-line block ×3, first 2 shown]
	v_mul_f32_e32 v47, v47, v49
	v_div_scale_f32 v49, s[22:23], v48, v48, v47
	v_rcp_f32_e32 v50, v49
	s_nop 0
	v_fma_f32 v51, -v49, v50, 1.0
	v_fmac_f32_e32 v50, v51, v50
	v_div_scale_f32 v51, vcc, v47, v48, v47
	v_mul_f32_e32 v52, v51, v50
	v_fma_f32 v53, -v49, v52, v51
	v_fmac_f32_e32 v52, v53, v50
	v_fma_f32 v49, -v49, v52, v51
	v_div_fmas_f32 v49, v49, v50, v52
	v_div_fixup_f32 v47, v49, v48, v47
	v_med3_f32 v48, v47, -1.0, 1.0
.LBB601_64:                             ;   in Loop: Header=BB601_3 Depth=1
	s_or_b64 exec, exec, s[16:17]
	v_fmac_f32_e32 v46, v46, v48
	v_mul_f32_e32 v46, 0.5, v46
	v_bfi_b32 v2, s18, v2, v46
.LBB601_65:                             ;   in Loop: Header=BB601_3 Depth=1
	s_or_b64 exec, exec, s[14:15]
	v_lshlrev_b32_e32 v46, 16, v31
	v_mul_f32_e32 v47, v46, v46
	v_mul_f32_e32 v47, v47, v46
	;; [unrolled: 1-line block ×3, first 2 shown]
	v_fmac_f32_e32 v48, 0x3d122279, v47
	v_cmp_ge_f32_e64 s[14:15], |v48|, s19
                                        ; implicit-def: $vgpr47
	s_and_saveexec_b64 s[16:17], s[14:15]
	s_xor_b64 s[14:15], exec, s[16:17]
	s_cbranch_execnz .LBB601_68
; %bb.66:                               ;   in Loop: Header=BB601_3 Depth=1
	s_andn2_saveexec_b64 s[14:15], s[14:15]
	s_cbranch_execnz .LBB601_69
.LBB601_67:                             ;   in Loop: Header=BB601_3 Depth=1
	s_or_b64 exec, exec, s[14:15]
	s_and_saveexec_b64 s[14:15], s[0:1]
	s_cbranch_execnz .LBB601_70
	s_branch .LBB601_75
.LBB601_68:                             ;   in Loop: Header=BB601_3 Depth=1
	v_bfi_b32 v47, s20, 1.0, v48
                                        ; implicit-def: $vgpr48
	s_andn2_saveexec_b64 s[14:15], s[14:15]
	s_cbranch_execz .LBB601_67
.LBB601_69:                             ;   in Loop: Header=BB601_3 Depth=1
	v_mul_f32_e32 v47, v48, v48
	v_fmaak_f32 v49, v48, v48, 0x43bd0000
	v_fmaak_f32 v49, v47, v49, 0x46875a00
	v_fmamk_f32 v50, v47, 0x41e00000, v38
	v_fmaak_f32 v49, v47, v49, 0x4803f7c0
	v_fmaak_f32 v50, v47, v50, 0x4773a200
	;; [unrolled: 1-line block ×3, first 2 shown]
	v_mul_f32_e32 v48, v48, v49
	v_div_scale_f32 v49, s[16:17], v47, v47, v48
	v_rcp_f32_e32 v50, v49
	s_nop 0
	v_fma_f32 v51, -v49, v50, 1.0
	v_fmac_f32_e32 v50, v51, v50
	v_div_scale_f32 v51, vcc, v48, v47, v48
	v_mul_f32_e32 v52, v51, v50
	v_fma_f32 v53, -v49, v52, v51
	v_fmac_f32_e32 v52, v53, v50
	v_fma_f32 v49, -v49, v52, v51
	v_div_fmas_f32 v49, v49, v50, v52
	v_div_fixup_f32 v47, v49, v47, v48
	v_med3_f32 v47, v47, -1.0, 1.0
	s_or_b64 exec, exec, s[14:15]
	s_and_saveexec_b64 s[14:15], s[0:1]
	s_cbranch_execz .LBB601_75
.LBB601_70:                             ;   in Loop: Header=BB601_3 Depth=1
	v_lshlrev_b32_e32 v48, 16, v3
	v_mul_f32_e32 v49, v48, v48
	v_mul_f32_e32 v50, v49, v48
	;; [unrolled: 1-line block ×3, first 2 shown]
	v_fmac_f32_e32 v49, 0x3d122279, v50
	v_cmp_ge_f32_e64 s[16:17], |v49|, s19
                                        ; implicit-def: $vgpr50
	s_and_saveexec_b64 s[22:23], s[16:17]
	s_xor_b64 s[16:17], exec, s[22:23]
; %bb.71:                               ;   in Loop: Header=BB601_3 Depth=1
	v_bfi_b32 v50, s20, 1.0, v49
                                        ; implicit-def: $vgpr49
; %bb.72:                               ;   in Loop: Header=BB601_3 Depth=1
	s_andn2_saveexec_b64 s[16:17], s[16:17]
	s_cbranch_execz .LBB601_74
; %bb.73:                               ;   in Loop: Header=BB601_3 Depth=1
	v_mul_f32_e32 v50, v49, v49
	v_fmaak_f32 v51, v49, v49, 0x43bd0000
	v_fmaak_f32 v51, v50, v51, 0x46875a00
	v_fmamk_f32 v52, v50, 0x41e00000, v38
	v_fmaak_f32 v51, v50, v51, 0x4803f7c0
	v_fmaak_f32 v52, v50, v52, 0x4773a200
	;; [unrolled: 1-line block ×3, first 2 shown]
	v_mul_f32_e32 v49, v49, v51
	v_div_scale_f32 v51, s[22:23], v50, v50, v49
	v_rcp_f32_e32 v52, v51
	s_nop 0
	v_fma_f32 v53, -v51, v52, 1.0
	v_fmac_f32_e32 v52, v53, v52
	v_div_scale_f32 v53, vcc, v49, v50, v49
	v_mul_f32_e32 v54, v53, v52
	v_fma_f32 v55, -v51, v54, v53
	v_fmac_f32_e32 v54, v55, v52
	v_fma_f32 v51, -v51, v54, v53
	v_div_fmas_f32 v51, v51, v52, v54
	v_div_fixup_f32 v49, v51, v50, v49
	v_med3_f32 v50, v49, -1.0, 1.0
.LBB601_74:                             ;   in Loop: Header=BB601_3 Depth=1
	s_or_b64 exec, exec, s[16:17]
	v_fmac_f32_e32 v48, v48, v50
	v_mul_f32_e32 v48, 0.5, v48
	v_perm_b32 v3, v3, v48, s21
.LBB601_75:                             ;   in Loop: Header=BB601_3 Depth=1
	s_or_b64 exec, exec, s[14:15]
	v_and_b32_e32 v31, 0xffff0000, v31
	v_mul_f32_e32 v48, v31, v31
	v_mul_f32_e32 v48, v48, v31
	;; [unrolled: 1-line block ×3, first 2 shown]
	v_fmac_f32_e32 v49, 0x3d122279, v48
	v_cmp_ge_f32_e64 s[14:15], |v49|, s19
                                        ; implicit-def: $vgpr48
	s_and_saveexec_b64 s[16:17], s[14:15]
	s_xor_b64 s[14:15], exec, s[16:17]
	s_cbranch_execnz .LBB601_78
; %bb.76:                               ;   in Loop: Header=BB601_3 Depth=1
	s_andn2_saveexec_b64 s[14:15], s[14:15]
	s_cbranch_execnz .LBB601_79
.LBB601_77:                             ;   in Loop: Header=BB601_3 Depth=1
	s_or_b64 exec, exec, s[14:15]
	s_and_saveexec_b64 s[14:15], s[0:1]
	s_cbranch_execnz .LBB601_80
	s_branch .LBB601_85
.LBB601_78:                             ;   in Loop: Header=BB601_3 Depth=1
	v_bfi_b32 v48, s20, 1.0, v49
                                        ; implicit-def: $vgpr49
	s_andn2_saveexec_b64 s[14:15], s[14:15]
	s_cbranch_execz .LBB601_77
.LBB601_79:                             ;   in Loop: Header=BB601_3 Depth=1
	v_mul_f32_e32 v48, v49, v49
	v_fmaak_f32 v50, v49, v49, 0x43bd0000
	v_fmaak_f32 v50, v48, v50, 0x46875a00
	v_fmamk_f32 v51, v48, 0x41e00000, v38
	v_fmaak_f32 v50, v48, v50, 0x4803f7c0
	v_fmaak_f32 v51, v48, v51, 0x4773a200
	;; [unrolled: 1-line block ×3, first 2 shown]
	v_mul_f32_e32 v49, v49, v50
	v_div_scale_f32 v50, s[16:17], v48, v48, v49
	v_rcp_f32_e32 v51, v50
	s_nop 0
	v_fma_f32 v52, -v50, v51, 1.0
	v_fmac_f32_e32 v51, v52, v51
	v_div_scale_f32 v52, vcc, v49, v48, v49
	v_mul_f32_e32 v53, v52, v51
	v_fma_f32 v54, -v50, v53, v52
	v_fmac_f32_e32 v53, v54, v51
	v_fma_f32 v50, -v50, v53, v52
	v_div_fmas_f32 v50, v50, v51, v53
	v_div_fixup_f32 v48, v50, v48, v49
	v_med3_f32 v48, v48, -1.0, 1.0
	s_or_b64 exec, exec, s[14:15]
	s_and_saveexec_b64 s[14:15], s[0:1]
	s_cbranch_execz .LBB601_85
.LBB601_80:                             ;   in Loop: Header=BB601_3 Depth=1
	v_and_b32_e32 v49, 0xffff0000, v3
	v_mul_f32_e32 v50, v49, v49
	v_mul_f32_e32 v51, v50, v49
	;; [unrolled: 1-line block ×3, first 2 shown]
	v_fmac_f32_e32 v50, 0x3d122279, v51
	v_cmp_ge_f32_e64 s[16:17], |v50|, s19
                                        ; implicit-def: $vgpr51
	s_and_saveexec_b64 s[22:23], s[16:17]
	s_xor_b64 s[16:17], exec, s[22:23]
; %bb.81:                               ;   in Loop: Header=BB601_3 Depth=1
	v_bfi_b32 v51, s20, 1.0, v50
                                        ; implicit-def: $vgpr50
; %bb.82:                               ;   in Loop: Header=BB601_3 Depth=1
	s_andn2_saveexec_b64 s[16:17], s[16:17]
	s_cbranch_execz .LBB601_84
; %bb.83:                               ;   in Loop: Header=BB601_3 Depth=1
	v_mul_f32_e32 v51, v50, v50
	v_fmaak_f32 v52, v50, v50, 0x43bd0000
	v_fmaak_f32 v52, v51, v52, 0x46875a00
	v_fmamk_f32 v53, v51, 0x41e00000, v38
	v_fmaak_f32 v52, v51, v52, 0x4803f7c0
	v_fmaak_f32 v53, v51, v53, 0x4773a200
	;; [unrolled: 1-line block ×3, first 2 shown]
	v_mul_f32_e32 v50, v50, v52
	v_div_scale_f32 v52, s[22:23], v51, v51, v50
	v_rcp_f32_e32 v53, v52
	s_nop 0
	v_fma_f32 v54, -v52, v53, 1.0
	v_fmac_f32_e32 v53, v54, v53
	v_div_scale_f32 v54, vcc, v50, v51, v50
	v_mul_f32_e32 v55, v54, v53
	v_fma_f32 v56, -v52, v55, v54
	v_fmac_f32_e32 v55, v56, v53
	v_fma_f32 v52, -v52, v55, v54
	v_div_fmas_f32 v52, v52, v53, v55
	v_div_fixup_f32 v50, v52, v51, v50
	v_med3_f32 v51, v50, -1.0, 1.0
.LBB601_84:                             ;   in Loop: Header=BB601_3 Depth=1
	s_or_b64 exec, exec, s[16:17]
	v_fmac_f32_e32 v49, v49, v51
	v_mul_f32_e32 v49, 0.5, v49
	v_bfi_b32 v3, s18, v3, v49
.LBB601_85:                             ;   in Loop: Header=BB601_3 Depth=1
	s_or_b64 exec, exec, s[14:15]
	v_lshlrev_b32_e32 v49, 16, v24
	v_mul_f32_e32 v50, v49, v49
	v_mul_f32_e32 v50, v50, v49
	;; [unrolled: 1-line block ×3, first 2 shown]
	v_fmac_f32_e32 v51, 0x3d122279, v50
	v_cmp_ge_f32_e64 s[14:15], |v51|, s19
                                        ; implicit-def: $vgpr50
	s_and_saveexec_b64 s[16:17], s[14:15]
	s_xor_b64 s[14:15], exec, s[16:17]
	s_cbranch_execnz .LBB601_88
; %bb.86:                               ;   in Loop: Header=BB601_3 Depth=1
	s_andn2_saveexec_b64 s[14:15], s[14:15]
	s_cbranch_execnz .LBB601_89
.LBB601_87:                             ;   in Loop: Header=BB601_3 Depth=1
	s_or_b64 exec, exec, s[14:15]
	s_and_saveexec_b64 s[14:15], s[0:1]
	s_cbranch_execnz .LBB601_90
	s_branch .LBB601_95
.LBB601_88:                             ;   in Loop: Header=BB601_3 Depth=1
	v_bfi_b32 v50, s20, 1.0, v51
                                        ; implicit-def: $vgpr51
	s_andn2_saveexec_b64 s[14:15], s[14:15]
	s_cbranch_execz .LBB601_87
.LBB601_89:                             ;   in Loop: Header=BB601_3 Depth=1
	v_mul_f32_e32 v50, v51, v51
	v_fmaak_f32 v52, v51, v51, 0x43bd0000
	v_fmaak_f32 v52, v50, v52, 0x46875a00
	v_fmamk_f32 v53, v50, 0x41e00000, v38
	v_fmaak_f32 v52, v50, v52, 0x4803f7c0
	v_fmaak_f32 v53, v50, v53, 0x4773a200
	;; [unrolled: 1-line block ×3, first 2 shown]
	v_mul_f32_e32 v51, v51, v52
	v_div_scale_f32 v52, s[16:17], v50, v50, v51
	v_rcp_f32_e32 v53, v52
	s_nop 0
	v_fma_f32 v54, -v52, v53, 1.0
	v_fmac_f32_e32 v53, v54, v53
	v_div_scale_f32 v54, vcc, v51, v50, v51
	v_mul_f32_e32 v55, v54, v53
	v_fma_f32 v56, -v52, v55, v54
	v_fmac_f32_e32 v55, v56, v53
	v_fma_f32 v52, -v52, v55, v54
	v_div_fmas_f32 v52, v52, v53, v55
	v_div_fixup_f32 v50, v52, v50, v51
	v_med3_f32 v50, v50, -1.0, 1.0
	s_or_b64 exec, exec, s[14:15]
	s_and_saveexec_b64 s[14:15], s[0:1]
	s_cbranch_execz .LBB601_95
.LBB601_90:                             ;   in Loop: Header=BB601_3 Depth=1
	v_lshlrev_b32_e32 v51, 16, v4
	v_mul_f32_e32 v52, v51, v51
	v_mul_f32_e32 v53, v52, v51
	;; [unrolled: 1-line block ×3, first 2 shown]
	v_fmac_f32_e32 v52, 0x3d122279, v53
	v_cmp_ge_f32_e64 s[16:17], |v52|, s19
                                        ; implicit-def: $vgpr53
	s_and_saveexec_b64 s[22:23], s[16:17]
	s_xor_b64 s[16:17], exec, s[22:23]
; %bb.91:                               ;   in Loop: Header=BB601_3 Depth=1
	v_bfi_b32 v53, s20, 1.0, v52
                                        ; implicit-def: $vgpr52
; %bb.92:                               ;   in Loop: Header=BB601_3 Depth=1
	s_andn2_saveexec_b64 s[16:17], s[16:17]
	s_cbranch_execz .LBB601_94
; %bb.93:                               ;   in Loop: Header=BB601_3 Depth=1
	v_mul_f32_e32 v53, v52, v52
	v_fmaak_f32 v54, v52, v52, 0x43bd0000
	v_fmaak_f32 v54, v53, v54, 0x46875a00
	v_fmamk_f32 v55, v53, 0x41e00000, v38
	v_fmaak_f32 v54, v53, v54, 0x4803f7c0
	v_fmaak_f32 v55, v53, v55, 0x4773a200
	;; [unrolled: 1-line block ×3, first 2 shown]
	v_mul_f32_e32 v52, v52, v54
	v_div_scale_f32 v54, s[22:23], v53, v53, v52
	v_rcp_f32_e32 v55, v54
	s_nop 0
	v_fma_f32 v56, -v54, v55, 1.0
	v_fmac_f32_e32 v55, v56, v55
	v_div_scale_f32 v56, vcc, v52, v53, v52
	v_mul_f32_e32 v57, v56, v55
	v_fma_f32 v58, -v54, v57, v56
	v_fmac_f32_e32 v57, v58, v55
	v_fma_f32 v54, -v54, v57, v56
	v_div_fmas_f32 v54, v54, v55, v57
	v_div_fixup_f32 v52, v54, v53, v52
	v_med3_f32 v53, v52, -1.0, 1.0
.LBB601_94:                             ;   in Loop: Header=BB601_3 Depth=1
	s_or_b64 exec, exec, s[16:17]
	v_fmac_f32_e32 v51, v51, v53
	v_mul_f32_e32 v51, 0.5, v51
	v_perm_b32 v4, v4, v51, s21
.LBB601_95:                             ;   in Loop: Header=BB601_3 Depth=1
	s_or_b64 exec, exec, s[14:15]
	v_and_b32_e32 v24, 0xffff0000, v24
	v_mul_f32_e32 v51, v24, v24
	v_mul_f32_e32 v51, v51, v24
	;; [unrolled: 1-line block ×3, first 2 shown]
	v_fmac_f32_e32 v52, 0x3d122279, v51
	v_cmp_ge_f32_e64 s[14:15], |v52|, s19
                                        ; implicit-def: $vgpr51
	s_and_saveexec_b64 s[16:17], s[14:15]
	s_xor_b64 s[14:15], exec, s[16:17]
	s_cbranch_execnz .LBB601_98
; %bb.96:                               ;   in Loop: Header=BB601_3 Depth=1
	s_andn2_saveexec_b64 s[14:15], s[14:15]
	s_cbranch_execnz .LBB601_99
.LBB601_97:                             ;   in Loop: Header=BB601_3 Depth=1
	s_or_b64 exec, exec, s[14:15]
	s_and_saveexec_b64 s[14:15], s[0:1]
	s_cbranch_execnz .LBB601_100
	s_branch .LBB601_105
.LBB601_98:                             ;   in Loop: Header=BB601_3 Depth=1
	v_bfi_b32 v51, s20, 1.0, v52
                                        ; implicit-def: $vgpr52
	s_andn2_saveexec_b64 s[14:15], s[14:15]
	s_cbranch_execz .LBB601_97
.LBB601_99:                             ;   in Loop: Header=BB601_3 Depth=1
	v_mul_f32_e32 v51, v52, v52
	v_fmaak_f32 v53, v52, v52, 0x43bd0000
	v_fmaak_f32 v53, v51, v53, 0x46875a00
	v_fmamk_f32 v54, v51, 0x41e00000, v38
	v_fmaak_f32 v53, v51, v53, 0x4803f7c0
	v_fmaak_f32 v54, v51, v54, 0x4773a200
	;; [unrolled: 1-line block ×3, first 2 shown]
	v_mul_f32_e32 v52, v52, v53
	v_div_scale_f32 v53, s[16:17], v51, v51, v52
	v_rcp_f32_e32 v54, v53
	s_nop 0
	v_fma_f32 v55, -v53, v54, 1.0
	v_fmac_f32_e32 v54, v55, v54
	v_div_scale_f32 v55, vcc, v52, v51, v52
	v_mul_f32_e32 v56, v55, v54
	v_fma_f32 v57, -v53, v56, v55
	v_fmac_f32_e32 v56, v57, v54
	v_fma_f32 v53, -v53, v56, v55
	v_div_fmas_f32 v53, v53, v54, v56
	v_div_fixup_f32 v51, v53, v51, v52
	v_med3_f32 v51, v51, -1.0, 1.0
	s_or_b64 exec, exec, s[14:15]
	s_and_saveexec_b64 s[14:15], s[0:1]
	s_cbranch_execz .LBB601_105
.LBB601_100:                            ;   in Loop: Header=BB601_3 Depth=1
	v_and_b32_e32 v52, 0xffff0000, v4
	v_mul_f32_e32 v53, v52, v52
	v_mul_f32_e32 v54, v53, v52
	;; [unrolled: 1-line block ×3, first 2 shown]
	v_fmac_f32_e32 v53, 0x3d122279, v54
	v_cmp_ge_f32_e64 s[16:17], |v53|, s19
                                        ; implicit-def: $vgpr54
	s_and_saveexec_b64 s[22:23], s[16:17]
	s_xor_b64 s[16:17], exec, s[22:23]
; %bb.101:                              ;   in Loop: Header=BB601_3 Depth=1
	v_bfi_b32 v54, s20, 1.0, v53
                                        ; implicit-def: $vgpr53
; %bb.102:                              ;   in Loop: Header=BB601_3 Depth=1
	s_andn2_saveexec_b64 s[16:17], s[16:17]
	s_cbranch_execz .LBB601_104
; %bb.103:                              ;   in Loop: Header=BB601_3 Depth=1
	v_mul_f32_e32 v54, v53, v53
	v_fmaak_f32 v55, v53, v53, 0x43bd0000
	v_fmaak_f32 v55, v54, v55, 0x46875a00
	v_fmamk_f32 v56, v54, 0x41e00000, v38
	v_fmaak_f32 v55, v54, v55, 0x4803f7c0
	v_fmaak_f32 v56, v54, v56, 0x4773a200
	;; [unrolled: 1-line block ×3, first 2 shown]
	v_mul_f32_e32 v53, v53, v55
	v_div_scale_f32 v55, s[22:23], v54, v54, v53
	v_rcp_f32_e32 v56, v55
	s_nop 0
	v_fma_f32 v57, -v55, v56, 1.0
	v_fmac_f32_e32 v56, v57, v56
	v_div_scale_f32 v57, vcc, v53, v54, v53
	v_mul_f32_e32 v58, v57, v56
	v_fma_f32 v59, -v55, v58, v57
	v_fmac_f32_e32 v58, v59, v56
	v_fma_f32 v55, -v55, v58, v57
	v_div_fmas_f32 v55, v55, v56, v58
	v_div_fixup_f32 v53, v55, v54, v53
	v_med3_f32 v54, v53, -1.0, 1.0
.LBB601_104:                            ;   in Loop: Header=BB601_3 Depth=1
	s_or_b64 exec, exec, s[16:17]
	v_fmac_f32_e32 v52, v52, v54
	v_mul_f32_e32 v52, 0.5, v52
	v_bfi_b32 v4, s18, v4, v52
.LBB601_105:                            ;   in Loop: Header=BB601_3 Depth=1
	s_or_b64 exec, exec, s[14:15]
	v_lshlrev_b32_e32 v52, 16, v25
	v_mul_f32_e32 v53, v52, v52
	v_mul_f32_e32 v53, v53, v52
	;; [unrolled: 1-line block ×3, first 2 shown]
	v_fmac_f32_e32 v54, 0x3d122279, v53
	v_cmp_ge_f32_e64 s[14:15], |v54|, s19
                                        ; implicit-def: $vgpr53
	s_and_saveexec_b64 s[16:17], s[14:15]
	s_xor_b64 s[14:15], exec, s[16:17]
	s_cbranch_execnz .LBB601_108
; %bb.106:                              ;   in Loop: Header=BB601_3 Depth=1
	s_andn2_saveexec_b64 s[14:15], s[14:15]
	s_cbranch_execnz .LBB601_109
.LBB601_107:                            ;   in Loop: Header=BB601_3 Depth=1
	s_or_b64 exec, exec, s[14:15]
	s_and_saveexec_b64 s[14:15], s[0:1]
	s_cbranch_execnz .LBB601_110
	s_branch .LBB601_115
.LBB601_108:                            ;   in Loop: Header=BB601_3 Depth=1
	v_bfi_b32 v53, s20, 1.0, v54
                                        ; implicit-def: $vgpr54
	s_andn2_saveexec_b64 s[14:15], s[14:15]
	s_cbranch_execz .LBB601_107
.LBB601_109:                            ;   in Loop: Header=BB601_3 Depth=1
	v_mul_f32_e32 v53, v54, v54
	v_fmaak_f32 v55, v54, v54, 0x43bd0000
	v_fmaak_f32 v55, v53, v55, 0x46875a00
	v_fmamk_f32 v56, v53, 0x41e00000, v38
	v_fmaak_f32 v55, v53, v55, 0x4803f7c0
	v_fmaak_f32 v56, v53, v56, 0x4773a200
	;; [unrolled: 1-line block ×3, first 2 shown]
	v_mul_f32_e32 v54, v54, v55
	v_div_scale_f32 v55, s[16:17], v53, v53, v54
	v_rcp_f32_e32 v56, v55
	s_nop 0
	v_fma_f32 v57, -v55, v56, 1.0
	v_fmac_f32_e32 v56, v57, v56
	v_div_scale_f32 v57, vcc, v54, v53, v54
	v_mul_f32_e32 v58, v57, v56
	v_fma_f32 v59, -v55, v58, v57
	v_fmac_f32_e32 v58, v59, v56
	v_fma_f32 v55, -v55, v58, v57
	v_div_fmas_f32 v55, v55, v56, v58
	v_div_fixup_f32 v53, v55, v53, v54
	v_med3_f32 v53, v53, -1.0, 1.0
	s_or_b64 exec, exec, s[14:15]
	s_and_saveexec_b64 s[14:15], s[0:1]
	s_cbranch_execz .LBB601_115
.LBB601_110:                            ;   in Loop: Header=BB601_3 Depth=1
	v_lshlrev_b32_e32 v54, 16, v5
	v_mul_f32_e32 v55, v54, v54
	v_mul_f32_e32 v56, v55, v54
	;; [unrolled: 1-line block ×3, first 2 shown]
	v_fmac_f32_e32 v55, 0x3d122279, v56
	v_cmp_ge_f32_e64 s[16:17], |v55|, s19
                                        ; implicit-def: $vgpr56
	s_and_saveexec_b64 s[22:23], s[16:17]
	s_xor_b64 s[16:17], exec, s[22:23]
; %bb.111:                              ;   in Loop: Header=BB601_3 Depth=1
	v_bfi_b32 v56, s20, 1.0, v55
                                        ; implicit-def: $vgpr55
; %bb.112:                              ;   in Loop: Header=BB601_3 Depth=1
	s_andn2_saveexec_b64 s[16:17], s[16:17]
	s_cbranch_execz .LBB601_114
; %bb.113:                              ;   in Loop: Header=BB601_3 Depth=1
	v_mul_f32_e32 v56, v55, v55
	v_fmaak_f32 v57, v55, v55, 0x43bd0000
	v_fmaak_f32 v57, v56, v57, 0x46875a00
	v_fmamk_f32 v58, v56, 0x41e00000, v38
	v_fmaak_f32 v57, v56, v57, 0x4803f7c0
	v_fmaak_f32 v58, v56, v58, 0x4773a200
	;; [unrolled: 1-line block ×3, first 2 shown]
	v_mul_f32_e32 v55, v55, v57
	v_div_scale_f32 v57, s[22:23], v56, v56, v55
	v_rcp_f32_e32 v58, v57
	s_nop 0
	v_fma_f32 v59, -v57, v58, 1.0
	v_fmac_f32_e32 v58, v59, v58
	v_div_scale_f32 v59, vcc, v55, v56, v55
	v_mul_f32_e32 v60, v59, v58
	v_fma_f32 v61, -v57, v60, v59
	v_fmac_f32_e32 v60, v61, v58
	v_fma_f32 v57, -v57, v60, v59
	v_div_fmas_f32 v57, v57, v58, v60
	v_div_fixup_f32 v55, v57, v56, v55
	v_med3_f32 v56, v55, -1.0, 1.0
.LBB601_114:                            ;   in Loop: Header=BB601_3 Depth=1
	s_or_b64 exec, exec, s[16:17]
	v_fmac_f32_e32 v54, v54, v56
	v_mul_f32_e32 v54, 0.5, v54
	v_perm_b32 v5, v5, v54, s21
.LBB601_115:                            ;   in Loop: Header=BB601_3 Depth=1
	s_or_b64 exec, exec, s[14:15]
	v_and_b32_e32 v25, 0xffff0000, v25
	v_mul_f32_e32 v54, v25, v25
	v_mul_f32_e32 v54, v54, v25
	;; [unrolled: 1-line block ×3, first 2 shown]
	v_fmac_f32_e32 v55, 0x3d122279, v54
	v_cmp_ge_f32_e64 s[14:15], |v55|, s19
                                        ; implicit-def: $vgpr54
	s_and_saveexec_b64 s[16:17], s[14:15]
	s_xor_b64 s[14:15], exec, s[16:17]
	s_cbranch_execnz .LBB601_118
; %bb.116:                              ;   in Loop: Header=BB601_3 Depth=1
	s_andn2_saveexec_b64 s[14:15], s[14:15]
	s_cbranch_execnz .LBB601_119
.LBB601_117:                            ;   in Loop: Header=BB601_3 Depth=1
	s_or_b64 exec, exec, s[14:15]
	s_and_saveexec_b64 s[14:15], s[0:1]
	s_cbranch_execnz .LBB601_120
	s_branch .LBB601_125
.LBB601_118:                            ;   in Loop: Header=BB601_3 Depth=1
	v_bfi_b32 v54, s20, 1.0, v55
                                        ; implicit-def: $vgpr55
	s_andn2_saveexec_b64 s[14:15], s[14:15]
	s_cbranch_execz .LBB601_117
.LBB601_119:                            ;   in Loop: Header=BB601_3 Depth=1
	v_mul_f32_e32 v54, v55, v55
	v_fmaak_f32 v56, v55, v55, 0x43bd0000
	v_fmaak_f32 v56, v54, v56, 0x46875a00
	v_fmamk_f32 v57, v54, 0x41e00000, v38
	v_fmaak_f32 v56, v54, v56, 0x4803f7c0
	v_fmaak_f32 v57, v54, v57, 0x4773a200
	;; [unrolled: 1-line block ×3, first 2 shown]
	v_mul_f32_e32 v55, v55, v56
	v_div_scale_f32 v56, s[16:17], v54, v54, v55
	v_rcp_f32_e32 v57, v56
	s_nop 0
	v_fma_f32 v58, -v56, v57, 1.0
	v_fmac_f32_e32 v57, v58, v57
	v_div_scale_f32 v58, vcc, v55, v54, v55
	v_mul_f32_e32 v59, v58, v57
	v_fma_f32 v60, -v56, v59, v58
	v_fmac_f32_e32 v59, v60, v57
	v_fma_f32 v56, -v56, v59, v58
	v_div_fmas_f32 v56, v56, v57, v59
	v_div_fixup_f32 v54, v56, v54, v55
	v_med3_f32 v54, v54, -1.0, 1.0
	s_or_b64 exec, exec, s[14:15]
	s_and_saveexec_b64 s[14:15], s[0:1]
	s_cbranch_execz .LBB601_125
.LBB601_120:                            ;   in Loop: Header=BB601_3 Depth=1
	v_and_b32_e32 v55, 0xffff0000, v5
	v_mul_f32_e32 v56, v55, v55
	v_mul_f32_e32 v57, v56, v55
	;; [unrolled: 1-line block ×3, first 2 shown]
	v_fmac_f32_e32 v56, 0x3d122279, v57
	v_cmp_ge_f32_e64 s[16:17], |v56|, s19
                                        ; implicit-def: $vgpr57
	s_and_saveexec_b64 s[22:23], s[16:17]
	s_xor_b64 s[16:17], exec, s[22:23]
; %bb.121:                              ;   in Loop: Header=BB601_3 Depth=1
	v_bfi_b32 v57, s20, 1.0, v56
                                        ; implicit-def: $vgpr56
; %bb.122:                              ;   in Loop: Header=BB601_3 Depth=1
	s_andn2_saveexec_b64 s[16:17], s[16:17]
	s_cbranch_execz .LBB601_124
; %bb.123:                              ;   in Loop: Header=BB601_3 Depth=1
	v_mul_f32_e32 v57, v56, v56
	v_fmaak_f32 v58, v56, v56, 0x43bd0000
	v_fmaak_f32 v58, v57, v58, 0x46875a00
	v_fmamk_f32 v59, v57, 0x41e00000, v38
	v_fmaak_f32 v58, v57, v58, 0x4803f7c0
	v_fmaak_f32 v59, v57, v59, 0x4773a200
	;; [unrolled: 1-line block ×3, first 2 shown]
	v_mul_f32_e32 v56, v56, v58
	v_div_scale_f32 v58, s[22:23], v57, v57, v56
	v_rcp_f32_e32 v59, v58
	s_nop 0
	v_fma_f32 v60, -v58, v59, 1.0
	v_fmac_f32_e32 v59, v60, v59
	v_div_scale_f32 v60, vcc, v56, v57, v56
	v_mul_f32_e32 v61, v60, v59
	v_fma_f32 v62, -v58, v61, v60
	v_fmac_f32_e32 v61, v62, v59
	v_fma_f32 v58, -v58, v61, v60
	v_div_fmas_f32 v58, v58, v59, v61
	v_div_fixup_f32 v56, v58, v57, v56
	v_med3_f32 v57, v56, -1.0, 1.0
.LBB601_124:                            ;   in Loop: Header=BB601_3 Depth=1
	s_or_b64 exec, exec, s[16:17]
	v_fmac_f32_e32 v55, v55, v57
	v_mul_f32_e32 v55, 0.5, v55
	v_bfi_b32 v5, s18, v5, v55
.LBB601_125:                            ;   in Loop: Header=BB601_3 Depth=1
	s_or_b64 exec, exec, s[14:15]
	v_lshlrev_b32_e32 v55, 16, v26
	v_mul_f32_e32 v56, v55, v55
	v_mul_f32_e32 v56, v56, v55
	;; [unrolled: 1-line block ×3, first 2 shown]
	v_fmac_f32_e32 v57, 0x3d122279, v56
	v_cmp_ge_f32_e64 s[14:15], |v57|, s19
                                        ; implicit-def: $vgpr56
	s_and_saveexec_b64 s[16:17], s[14:15]
	s_xor_b64 s[14:15], exec, s[16:17]
	s_cbranch_execnz .LBB601_128
; %bb.126:                              ;   in Loop: Header=BB601_3 Depth=1
	s_andn2_saveexec_b64 s[14:15], s[14:15]
	s_cbranch_execnz .LBB601_129
.LBB601_127:                            ;   in Loop: Header=BB601_3 Depth=1
	s_or_b64 exec, exec, s[14:15]
	s_and_saveexec_b64 s[14:15], s[0:1]
	s_cbranch_execnz .LBB601_130
	s_branch .LBB601_135
.LBB601_128:                            ;   in Loop: Header=BB601_3 Depth=1
	v_bfi_b32 v56, s20, 1.0, v57
                                        ; implicit-def: $vgpr57
	s_andn2_saveexec_b64 s[14:15], s[14:15]
	s_cbranch_execz .LBB601_127
.LBB601_129:                            ;   in Loop: Header=BB601_3 Depth=1
	v_mul_f32_e32 v56, v57, v57
	v_fmaak_f32 v58, v57, v57, 0x43bd0000
	v_fmaak_f32 v58, v56, v58, 0x46875a00
	v_fmamk_f32 v59, v56, 0x41e00000, v38
	v_fmaak_f32 v58, v56, v58, 0x4803f7c0
	v_fmaak_f32 v59, v56, v59, 0x4773a200
	;; [unrolled: 1-line block ×3, first 2 shown]
	v_mul_f32_e32 v57, v57, v58
	v_div_scale_f32 v58, s[16:17], v56, v56, v57
	v_rcp_f32_e32 v59, v58
	s_nop 0
	v_fma_f32 v60, -v58, v59, 1.0
	v_fmac_f32_e32 v59, v60, v59
	v_div_scale_f32 v60, vcc, v57, v56, v57
	v_mul_f32_e32 v61, v60, v59
	v_fma_f32 v62, -v58, v61, v60
	v_fmac_f32_e32 v61, v62, v59
	v_fma_f32 v58, -v58, v61, v60
	v_div_fmas_f32 v58, v58, v59, v61
	v_div_fixup_f32 v56, v58, v56, v57
	v_med3_f32 v56, v56, -1.0, 1.0
	s_or_b64 exec, exec, s[14:15]
	s_and_saveexec_b64 s[14:15], s[0:1]
	s_cbranch_execz .LBB601_135
.LBB601_130:                            ;   in Loop: Header=BB601_3 Depth=1
	v_lshlrev_b32_e32 v57, 16, v6
	v_mul_f32_e32 v58, v57, v57
	v_mul_f32_e32 v59, v58, v57
	;; [unrolled: 1-line block ×3, first 2 shown]
	v_fmac_f32_e32 v58, 0x3d122279, v59
	v_cmp_ge_f32_e64 s[16:17], |v58|, s19
                                        ; implicit-def: $vgpr59
	s_and_saveexec_b64 s[22:23], s[16:17]
	s_xor_b64 s[16:17], exec, s[22:23]
; %bb.131:                              ;   in Loop: Header=BB601_3 Depth=1
	v_bfi_b32 v59, s20, 1.0, v58
                                        ; implicit-def: $vgpr58
; %bb.132:                              ;   in Loop: Header=BB601_3 Depth=1
	s_andn2_saveexec_b64 s[16:17], s[16:17]
	s_cbranch_execz .LBB601_134
; %bb.133:                              ;   in Loop: Header=BB601_3 Depth=1
	v_mul_f32_e32 v59, v58, v58
	v_fmaak_f32 v60, v58, v58, 0x43bd0000
	v_fmaak_f32 v60, v59, v60, 0x46875a00
	v_fmamk_f32 v61, v59, 0x41e00000, v38
	v_fmaak_f32 v60, v59, v60, 0x4803f7c0
	v_fmaak_f32 v61, v59, v61, 0x4773a200
	;; [unrolled: 1-line block ×3, first 2 shown]
	v_mul_f32_e32 v58, v58, v60
	v_div_scale_f32 v60, s[22:23], v59, v59, v58
	v_rcp_f32_e32 v61, v60
	s_nop 0
	v_fma_f32 v62, -v60, v61, 1.0
	v_fmac_f32_e32 v61, v62, v61
	v_div_scale_f32 v62, vcc, v58, v59, v58
	v_mul_f32_e32 v63, v62, v61
	v_fma_f32 v64, -v60, v63, v62
	v_fmac_f32_e32 v63, v64, v61
	v_fma_f32 v60, -v60, v63, v62
	v_div_fmas_f32 v60, v60, v61, v63
	v_div_fixup_f32 v58, v60, v59, v58
	v_med3_f32 v59, v58, -1.0, 1.0
.LBB601_134:                            ;   in Loop: Header=BB601_3 Depth=1
	s_or_b64 exec, exec, s[16:17]
	v_fmac_f32_e32 v57, v57, v59
	v_mul_f32_e32 v57, 0.5, v57
	v_perm_b32 v6, v6, v57, s21
.LBB601_135:                            ;   in Loop: Header=BB601_3 Depth=1
	s_or_b64 exec, exec, s[14:15]
	v_and_b32_e32 v26, 0xffff0000, v26
	v_mul_f32_e32 v57, v26, v26
	v_mul_f32_e32 v57, v57, v26
	;; [unrolled: 1-line block ×3, first 2 shown]
	v_fmac_f32_e32 v58, 0x3d122279, v57
	v_cmp_ge_f32_e64 s[14:15], |v58|, s19
                                        ; implicit-def: $vgpr57
	s_and_saveexec_b64 s[16:17], s[14:15]
	s_xor_b64 s[14:15], exec, s[16:17]
	s_cbranch_execnz .LBB601_138
; %bb.136:                              ;   in Loop: Header=BB601_3 Depth=1
	s_andn2_saveexec_b64 s[14:15], s[14:15]
	s_cbranch_execnz .LBB601_139
.LBB601_137:                            ;   in Loop: Header=BB601_3 Depth=1
	s_or_b64 exec, exec, s[14:15]
	s_and_saveexec_b64 s[14:15], s[0:1]
	s_cbranch_execnz .LBB601_140
	s_branch .LBB601_145
.LBB601_138:                            ;   in Loop: Header=BB601_3 Depth=1
	v_bfi_b32 v57, s20, 1.0, v58
                                        ; implicit-def: $vgpr58
	s_andn2_saveexec_b64 s[14:15], s[14:15]
	s_cbranch_execz .LBB601_137
.LBB601_139:                            ;   in Loop: Header=BB601_3 Depth=1
	v_mul_f32_e32 v57, v58, v58
	v_fmaak_f32 v59, v58, v58, 0x43bd0000
	v_fmaak_f32 v59, v57, v59, 0x46875a00
	v_fmamk_f32 v60, v57, 0x41e00000, v38
	v_fmaak_f32 v59, v57, v59, 0x4803f7c0
	v_fmaak_f32 v60, v57, v60, 0x4773a200
	;; [unrolled: 1-line block ×3, first 2 shown]
	v_mul_f32_e32 v58, v58, v59
	v_div_scale_f32 v59, s[16:17], v57, v57, v58
	v_rcp_f32_e32 v60, v59
	s_nop 0
	v_fma_f32 v61, -v59, v60, 1.0
	v_fmac_f32_e32 v60, v61, v60
	v_div_scale_f32 v61, vcc, v58, v57, v58
	v_mul_f32_e32 v62, v61, v60
	v_fma_f32 v63, -v59, v62, v61
	v_fmac_f32_e32 v62, v63, v60
	v_fma_f32 v59, -v59, v62, v61
	v_div_fmas_f32 v59, v59, v60, v62
	v_div_fixup_f32 v57, v59, v57, v58
	v_med3_f32 v57, v57, -1.0, 1.0
	s_or_b64 exec, exec, s[14:15]
	s_and_saveexec_b64 s[14:15], s[0:1]
	s_cbranch_execz .LBB601_145
.LBB601_140:                            ;   in Loop: Header=BB601_3 Depth=1
	v_and_b32_e32 v58, 0xffff0000, v6
	v_mul_f32_e32 v59, v58, v58
	v_mul_f32_e32 v60, v59, v58
	;; [unrolled: 1-line block ×3, first 2 shown]
	v_fmac_f32_e32 v59, 0x3d122279, v60
	v_cmp_ge_f32_e64 s[16:17], |v59|, s19
                                        ; implicit-def: $vgpr60
	s_and_saveexec_b64 s[22:23], s[16:17]
	s_xor_b64 s[16:17], exec, s[22:23]
; %bb.141:                              ;   in Loop: Header=BB601_3 Depth=1
	v_bfi_b32 v60, s20, 1.0, v59
                                        ; implicit-def: $vgpr59
; %bb.142:                              ;   in Loop: Header=BB601_3 Depth=1
	s_andn2_saveexec_b64 s[16:17], s[16:17]
	s_cbranch_execz .LBB601_144
; %bb.143:                              ;   in Loop: Header=BB601_3 Depth=1
	v_mul_f32_e32 v60, v59, v59
	v_fmaak_f32 v61, v59, v59, 0x43bd0000
	v_fmaak_f32 v61, v60, v61, 0x46875a00
	v_fmamk_f32 v62, v60, 0x41e00000, v38
	v_fmaak_f32 v61, v60, v61, 0x4803f7c0
	v_fmaak_f32 v62, v60, v62, 0x4773a200
	;; [unrolled: 1-line block ×3, first 2 shown]
	v_mul_f32_e32 v59, v59, v61
	v_div_scale_f32 v61, s[22:23], v60, v60, v59
	v_rcp_f32_e32 v62, v61
	s_nop 0
	v_fma_f32 v63, -v61, v62, 1.0
	v_fmac_f32_e32 v62, v63, v62
	v_div_scale_f32 v63, vcc, v59, v60, v59
	v_mul_f32_e32 v64, v63, v62
	v_fma_f32 v65, -v61, v64, v63
	v_fmac_f32_e32 v64, v65, v62
	v_fma_f32 v61, -v61, v64, v63
	v_div_fmas_f32 v61, v61, v62, v64
	v_div_fixup_f32 v59, v61, v60, v59
	v_med3_f32 v60, v59, -1.0, 1.0
.LBB601_144:                            ;   in Loop: Header=BB601_3 Depth=1
	s_or_b64 exec, exec, s[16:17]
	v_fmac_f32_e32 v58, v58, v60
	v_mul_f32_e32 v58, 0.5, v58
	v_bfi_b32 v6, s18, v6, v58
.LBB601_145:                            ;   in Loop: Header=BB601_3 Depth=1
	s_or_b64 exec, exec, s[14:15]
	v_lshlrev_b32_e32 v58, 16, v27
	v_mul_f32_e32 v59, v58, v58
	v_mul_f32_e32 v59, v59, v58
	;; [unrolled: 1-line block ×3, first 2 shown]
	v_fmac_f32_e32 v60, 0x3d122279, v59
	v_cmp_ge_f32_e64 s[14:15], |v60|, s19
                                        ; implicit-def: $vgpr59
	s_and_saveexec_b64 s[16:17], s[14:15]
	s_xor_b64 s[14:15], exec, s[16:17]
	s_cbranch_execnz .LBB601_148
; %bb.146:                              ;   in Loop: Header=BB601_3 Depth=1
	s_andn2_saveexec_b64 s[14:15], s[14:15]
	s_cbranch_execnz .LBB601_149
.LBB601_147:                            ;   in Loop: Header=BB601_3 Depth=1
	s_or_b64 exec, exec, s[14:15]
	s_and_saveexec_b64 s[14:15], s[0:1]
	s_cbranch_execnz .LBB601_150
	s_branch .LBB601_155
.LBB601_148:                            ;   in Loop: Header=BB601_3 Depth=1
	v_bfi_b32 v59, s20, 1.0, v60
                                        ; implicit-def: $vgpr60
	s_andn2_saveexec_b64 s[14:15], s[14:15]
	s_cbranch_execz .LBB601_147
.LBB601_149:                            ;   in Loop: Header=BB601_3 Depth=1
	v_mul_f32_e32 v59, v60, v60
	v_fmaak_f32 v61, v60, v60, 0x43bd0000
	v_fmaak_f32 v61, v59, v61, 0x46875a00
	v_fmamk_f32 v62, v59, 0x41e00000, v38
	v_fmaak_f32 v61, v59, v61, 0x4803f7c0
	v_fmaak_f32 v62, v59, v62, 0x4773a200
	;; [unrolled: 1-line block ×3, first 2 shown]
	v_mul_f32_e32 v60, v60, v61
	v_div_scale_f32 v61, s[16:17], v59, v59, v60
	v_rcp_f32_e32 v62, v61
	s_nop 0
	v_fma_f32 v63, -v61, v62, 1.0
	v_fmac_f32_e32 v62, v63, v62
	v_div_scale_f32 v63, vcc, v60, v59, v60
	v_mul_f32_e32 v64, v63, v62
	v_fma_f32 v65, -v61, v64, v63
	v_fmac_f32_e32 v64, v65, v62
	v_fma_f32 v61, -v61, v64, v63
	v_div_fmas_f32 v61, v61, v62, v64
	v_div_fixup_f32 v59, v61, v59, v60
	v_med3_f32 v59, v59, -1.0, 1.0
	s_or_b64 exec, exec, s[14:15]
	s_and_saveexec_b64 s[14:15], s[0:1]
	s_cbranch_execz .LBB601_155
.LBB601_150:                            ;   in Loop: Header=BB601_3 Depth=1
	v_lshlrev_b32_e32 v60, 16, v7
	v_mul_f32_e32 v61, v60, v60
	v_mul_f32_e32 v62, v61, v60
	;; [unrolled: 1-line block ×3, first 2 shown]
	v_fmac_f32_e32 v61, 0x3d122279, v62
	v_cmp_ge_f32_e64 s[16:17], |v61|, s19
                                        ; implicit-def: $vgpr62
	s_and_saveexec_b64 s[22:23], s[16:17]
	s_xor_b64 s[16:17], exec, s[22:23]
; %bb.151:                              ;   in Loop: Header=BB601_3 Depth=1
	v_bfi_b32 v62, s20, 1.0, v61
                                        ; implicit-def: $vgpr61
; %bb.152:                              ;   in Loop: Header=BB601_3 Depth=1
	s_andn2_saveexec_b64 s[16:17], s[16:17]
	s_cbranch_execz .LBB601_154
; %bb.153:                              ;   in Loop: Header=BB601_3 Depth=1
	v_mul_f32_e32 v62, v61, v61
	v_fmaak_f32 v63, v61, v61, 0x43bd0000
	v_fmaak_f32 v63, v62, v63, 0x46875a00
	v_fmamk_f32 v64, v62, 0x41e00000, v38
	v_fmaak_f32 v63, v62, v63, 0x4803f7c0
	v_fmaak_f32 v64, v62, v64, 0x4773a200
	;; [unrolled: 1-line block ×3, first 2 shown]
	v_mul_f32_e32 v61, v61, v63
	v_div_scale_f32 v63, s[22:23], v62, v62, v61
	v_rcp_f32_e32 v64, v63
	s_nop 0
	v_fma_f32 v65, -v63, v64, 1.0
	v_fmac_f32_e32 v64, v65, v64
	v_div_scale_f32 v65, vcc, v61, v62, v61
	v_mul_f32_e32 v66, v65, v64
	v_fma_f32 v67, -v63, v66, v65
	v_fmac_f32_e32 v66, v67, v64
	v_fma_f32 v63, -v63, v66, v65
	v_div_fmas_f32 v63, v63, v64, v66
	v_div_fixup_f32 v61, v63, v62, v61
	v_med3_f32 v62, v61, -1.0, 1.0
.LBB601_154:                            ;   in Loop: Header=BB601_3 Depth=1
	s_or_b64 exec, exec, s[16:17]
	v_fmac_f32_e32 v60, v60, v62
	v_mul_f32_e32 v60, 0.5, v60
	v_perm_b32 v7, v7, v60, s21
.LBB601_155:                            ;   in Loop: Header=BB601_3 Depth=1
	s_or_b64 exec, exec, s[14:15]
	v_and_b32_e32 v27, 0xffff0000, v27
	v_mul_f32_e32 v60, v27, v27
	v_mul_f32_e32 v60, v60, v27
	;; [unrolled: 1-line block ×3, first 2 shown]
	v_fmac_f32_e32 v61, 0x3d122279, v60
	v_cmp_ge_f32_e64 s[14:15], |v61|, s19
                                        ; implicit-def: $vgpr60
	s_and_saveexec_b64 s[16:17], s[14:15]
	s_xor_b64 s[14:15], exec, s[16:17]
	s_cbranch_execnz .LBB601_158
; %bb.156:                              ;   in Loop: Header=BB601_3 Depth=1
	s_andn2_saveexec_b64 s[14:15], s[14:15]
	s_cbranch_execnz .LBB601_159
.LBB601_157:                            ;   in Loop: Header=BB601_3 Depth=1
	s_or_b64 exec, exec, s[14:15]
	s_and_saveexec_b64 s[14:15], s[0:1]
	s_cbranch_execnz .LBB601_160
	s_branch .LBB601_165
.LBB601_158:                            ;   in Loop: Header=BB601_3 Depth=1
	v_bfi_b32 v60, s20, 1.0, v61
                                        ; implicit-def: $vgpr61
	s_andn2_saveexec_b64 s[14:15], s[14:15]
	s_cbranch_execz .LBB601_157
.LBB601_159:                            ;   in Loop: Header=BB601_3 Depth=1
	v_mul_f32_e32 v60, v61, v61
	v_fmaak_f32 v62, v61, v61, 0x43bd0000
	v_fmaak_f32 v62, v60, v62, 0x46875a00
	v_fmamk_f32 v63, v60, 0x41e00000, v38
	v_fmaak_f32 v62, v60, v62, 0x4803f7c0
	v_fmaak_f32 v63, v60, v63, 0x4773a200
	;; [unrolled: 1-line block ×3, first 2 shown]
	v_mul_f32_e32 v61, v61, v62
	v_div_scale_f32 v62, s[16:17], v60, v60, v61
	v_rcp_f32_e32 v63, v62
	s_nop 0
	v_fma_f32 v64, -v62, v63, 1.0
	v_fmac_f32_e32 v63, v64, v63
	v_div_scale_f32 v64, vcc, v61, v60, v61
	v_mul_f32_e32 v65, v64, v63
	v_fma_f32 v66, -v62, v65, v64
	v_fmac_f32_e32 v65, v66, v63
	v_fma_f32 v62, -v62, v65, v64
	v_div_fmas_f32 v62, v62, v63, v65
	v_div_fixup_f32 v60, v62, v60, v61
	v_med3_f32 v60, v60, -1.0, 1.0
	s_or_b64 exec, exec, s[14:15]
	s_and_saveexec_b64 s[14:15], s[0:1]
	s_cbranch_execz .LBB601_165
.LBB601_160:                            ;   in Loop: Header=BB601_3 Depth=1
	v_and_b32_e32 v61, 0xffff0000, v7
	v_mul_f32_e32 v62, v61, v61
	v_mul_f32_e32 v63, v62, v61
	;; [unrolled: 1-line block ×3, first 2 shown]
	v_fmac_f32_e32 v62, 0x3d122279, v63
	v_cmp_ge_f32_e64 s[16:17], |v62|, s19
                                        ; implicit-def: $vgpr63
	s_and_saveexec_b64 s[22:23], s[16:17]
	s_xor_b64 s[16:17], exec, s[22:23]
; %bb.161:                              ;   in Loop: Header=BB601_3 Depth=1
	v_bfi_b32 v63, s20, 1.0, v62
                                        ; implicit-def: $vgpr62
; %bb.162:                              ;   in Loop: Header=BB601_3 Depth=1
	s_andn2_saveexec_b64 s[16:17], s[16:17]
	s_cbranch_execz .LBB601_164
; %bb.163:                              ;   in Loop: Header=BB601_3 Depth=1
	v_mul_f32_e32 v63, v62, v62
	v_fmaak_f32 v64, v62, v62, 0x43bd0000
	v_fmaak_f32 v64, v63, v64, 0x46875a00
	v_fmamk_f32 v65, v63, 0x41e00000, v38
	v_fmaak_f32 v64, v63, v64, 0x4803f7c0
	v_fmaak_f32 v65, v63, v65, 0x4773a200
	;; [unrolled: 1-line block ×3, first 2 shown]
	v_mul_f32_e32 v62, v62, v64
	v_div_scale_f32 v64, s[22:23], v63, v63, v62
	v_rcp_f32_e32 v65, v64
	s_nop 0
	v_fma_f32 v66, -v64, v65, 1.0
	v_fmac_f32_e32 v65, v66, v65
	v_div_scale_f32 v66, vcc, v62, v63, v62
	v_mul_f32_e32 v67, v66, v65
	v_fma_f32 v68, -v64, v67, v66
	v_fmac_f32_e32 v67, v68, v65
	v_fma_f32 v64, -v64, v67, v66
	v_div_fmas_f32 v64, v64, v65, v67
	v_div_fixup_f32 v62, v64, v63, v62
	v_med3_f32 v63, v62, -1.0, 1.0
.LBB601_164:                            ;   in Loop: Header=BB601_3 Depth=1
	s_or_b64 exec, exec, s[16:17]
	v_fmac_f32_e32 v61, v61, v63
	v_mul_f32_e32 v61, 0.5, v61
	v_bfi_b32 v7, s18, v7, v61
.LBB601_165:                            ;   in Loop: Header=BB601_3 Depth=1
	s_or_b64 exec, exec, s[14:15]
	v_lshlrev_b32_e32 v61, 16, v20
	v_mul_f32_e32 v62, v61, v61
	v_mul_f32_e32 v62, v62, v61
	;; [unrolled: 1-line block ×3, first 2 shown]
	v_fmac_f32_e32 v63, 0x3d122279, v62
	v_cmp_ge_f32_e64 s[14:15], |v63|, s19
                                        ; implicit-def: $vgpr62
	s_and_saveexec_b64 s[16:17], s[14:15]
	s_xor_b64 s[14:15], exec, s[16:17]
	s_cbranch_execnz .LBB601_168
; %bb.166:                              ;   in Loop: Header=BB601_3 Depth=1
	s_andn2_saveexec_b64 s[14:15], s[14:15]
	s_cbranch_execnz .LBB601_169
.LBB601_167:                            ;   in Loop: Header=BB601_3 Depth=1
	s_or_b64 exec, exec, s[14:15]
	s_and_saveexec_b64 s[14:15], s[0:1]
	s_cbranch_execnz .LBB601_170
	s_branch .LBB601_175
.LBB601_168:                            ;   in Loop: Header=BB601_3 Depth=1
	v_bfi_b32 v62, s20, 1.0, v63
                                        ; implicit-def: $vgpr63
	s_andn2_saveexec_b64 s[14:15], s[14:15]
	s_cbranch_execz .LBB601_167
.LBB601_169:                            ;   in Loop: Header=BB601_3 Depth=1
	v_mul_f32_e32 v62, v63, v63
	v_fmaak_f32 v64, v63, v63, 0x43bd0000
	v_fmaak_f32 v64, v62, v64, 0x46875a00
	v_fmamk_f32 v65, v62, 0x41e00000, v38
	v_fmaak_f32 v64, v62, v64, 0x4803f7c0
	v_fmaak_f32 v65, v62, v65, 0x4773a200
	;; [unrolled: 1-line block ×3, first 2 shown]
	v_mul_f32_e32 v63, v63, v64
	v_div_scale_f32 v64, s[16:17], v62, v62, v63
	v_rcp_f32_e32 v65, v64
	s_nop 0
	v_fma_f32 v66, -v64, v65, 1.0
	v_fmac_f32_e32 v65, v66, v65
	v_div_scale_f32 v66, vcc, v63, v62, v63
	v_mul_f32_e32 v67, v66, v65
	v_fma_f32 v68, -v64, v67, v66
	v_fmac_f32_e32 v67, v68, v65
	v_fma_f32 v64, -v64, v67, v66
	v_div_fmas_f32 v64, v64, v65, v67
	v_div_fixup_f32 v62, v64, v62, v63
	v_med3_f32 v62, v62, -1.0, 1.0
	s_or_b64 exec, exec, s[14:15]
	s_and_saveexec_b64 s[14:15], s[0:1]
	s_cbranch_execz .LBB601_175
.LBB601_170:                            ;   in Loop: Header=BB601_3 Depth=1
	v_lshlrev_b32_e32 v63, 16, v8
	v_mul_f32_e32 v64, v63, v63
	v_mul_f32_e32 v65, v64, v63
	v_mul_f32_e32 v64, 0x3f4c422a, v63
	v_fmac_f32_e32 v64, 0x3d122279, v65
	v_cmp_ge_f32_e64 s[16:17], |v64|, s19
                                        ; implicit-def: $vgpr65
	s_and_saveexec_b64 s[22:23], s[16:17]
	s_xor_b64 s[16:17], exec, s[22:23]
; %bb.171:                              ;   in Loop: Header=BB601_3 Depth=1
	v_bfi_b32 v65, s20, 1.0, v64
                                        ; implicit-def: $vgpr64
; %bb.172:                              ;   in Loop: Header=BB601_3 Depth=1
	s_andn2_saveexec_b64 s[16:17], s[16:17]
	s_cbranch_execz .LBB601_174
; %bb.173:                              ;   in Loop: Header=BB601_3 Depth=1
	v_mul_f32_e32 v65, v64, v64
	v_fmaak_f32 v66, v64, v64, 0x43bd0000
	v_fmaak_f32 v66, v65, v66, 0x46875a00
	v_fmamk_f32 v67, v65, 0x41e00000, v38
	v_fmaak_f32 v66, v65, v66, 0x4803f7c0
	v_fmaak_f32 v67, v65, v67, 0x4773a200
	v_fmaak_f32 v65, v65, v67, 0x4803f7c0
	v_mul_f32_e32 v64, v64, v66
	v_div_scale_f32 v66, s[22:23], v65, v65, v64
	v_rcp_f32_e32 v67, v66
	s_nop 0
	v_fma_f32 v68, -v66, v67, 1.0
	v_fmac_f32_e32 v67, v68, v67
	v_div_scale_f32 v68, vcc, v64, v65, v64
	v_mul_f32_e32 v69, v68, v67
	v_fma_f32 v70, -v66, v69, v68
	v_fmac_f32_e32 v69, v70, v67
	v_fma_f32 v66, -v66, v69, v68
	v_div_fmas_f32 v66, v66, v67, v69
	v_div_fixup_f32 v64, v66, v65, v64
	v_med3_f32 v65, v64, -1.0, 1.0
.LBB601_174:                            ;   in Loop: Header=BB601_3 Depth=1
	s_or_b64 exec, exec, s[16:17]
	v_fmac_f32_e32 v63, v63, v65
	v_mul_f32_e32 v63, 0.5, v63
	v_perm_b32 v8, v8, v63, s21
.LBB601_175:                            ;   in Loop: Header=BB601_3 Depth=1
	s_or_b64 exec, exec, s[14:15]
	v_and_b32_e32 v20, 0xffff0000, v20
	v_mul_f32_e32 v63, v20, v20
	v_mul_f32_e32 v63, v63, v20
	;; [unrolled: 1-line block ×3, first 2 shown]
	v_fmac_f32_e32 v64, 0x3d122279, v63
	v_cmp_ge_f32_e64 s[14:15], |v64|, s19
                                        ; implicit-def: $vgpr63
	s_and_saveexec_b64 s[16:17], s[14:15]
	s_xor_b64 s[14:15], exec, s[16:17]
	s_cbranch_execnz .LBB601_178
; %bb.176:                              ;   in Loop: Header=BB601_3 Depth=1
	s_andn2_saveexec_b64 s[14:15], s[14:15]
	s_cbranch_execnz .LBB601_179
.LBB601_177:                            ;   in Loop: Header=BB601_3 Depth=1
	s_or_b64 exec, exec, s[14:15]
	s_and_saveexec_b64 s[14:15], s[0:1]
	s_cbranch_execnz .LBB601_180
	s_branch .LBB601_185
.LBB601_178:                            ;   in Loop: Header=BB601_3 Depth=1
	v_bfi_b32 v63, s20, 1.0, v64
                                        ; implicit-def: $vgpr64
	s_andn2_saveexec_b64 s[14:15], s[14:15]
	s_cbranch_execz .LBB601_177
.LBB601_179:                            ;   in Loop: Header=BB601_3 Depth=1
	v_mul_f32_e32 v63, v64, v64
	v_fmaak_f32 v65, v64, v64, 0x43bd0000
	v_fmaak_f32 v65, v63, v65, 0x46875a00
	v_fmamk_f32 v66, v63, 0x41e00000, v38
	v_fmaak_f32 v65, v63, v65, 0x4803f7c0
	v_fmaak_f32 v66, v63, v66, 0x4773a200
	;; [unrolled: 1-line block ×3, first 2 shown]
	v_mul_f32_e32 v64, v64, v65
	v_div_scale_f32 v65, s[16:17], v63, v63, v64
	v_rcp_f32_e32 v66, v65
	s_nop 0
	v_fma_f32 v67, -v65, v66, 1.0
	v_fmac_f32_e32 v66, v67, v66
	v_div_scale_f32 v67, vcc, v64, v63, v64
	v_mul_f32_e32 v68, v67, v66
	v_fma_f32 v69, -v65, v68, v67
	v_fmac_f32_e32 v68, v69, v66
	v_fma_f32 v65, -v65, v68, v67
	v_div_fmas_f32 v65, v65, v66, v68
	v_div_fixup_f32 v63, v65, v63, v64
	v_med3_f32 v63, v63, -1.0, 1.0
	s_or_b64 exec, exec, s[14:15]
	s_and_saveexec_b64 s[14:15], s[0:1]
	s_cbranch_execz .LBB601_185
.LBB601_180:                            ;   in Loop: Header=BB601_3 Depth=1
	v_and_b32_e32 v64, 0xffff0000, v8
	v_mul_f32_e32 v65, v64, v64
	v_mul_f32_e32 v66, v65, v64
	v_mul_f32_e32 v65, 0x3f4c422a, v64
	v_fmac_f32_e32 v65, 0x3d122279, v66
	v_cmp_ge_f32_e64 s[16:17], |v65|, s19
                                        ; implicit-def: $vgpr66
	s_and_saveexec_b64 s[22:23], s[16:17]
	s_xor_b64 s[16:17], exec, s[22:23]
; %bb.181:                              ;   in Loop: Header=BB601_3 Depth=1
	v_bfi_b32 v66, s20, 1.0, v65
                                        ; implicit-def: $vgpr65
; %bb.182:                              ;   in Loop: Header=BB601_3 Depth=1
	s_andn2_saveexec_b64 s[16:17], s[16:17]
	s_cbranch_execz .LBB601_184
; %bb.183:                              ;   in Loop: Header=BB601_3 Depth=1
	v_mul_f32_e32 v66, v65, v65
	v_fmaak_f32 v67, v65, v65, 0x43bd0000
	v_fmaak_f32 v67, v66, v67, 0x46875a00
	v_fmamk_f32 v68, v66, 0x41e00000, v38
	v_fmaak_f32 v67, v66, v67, 0x4803f7c0
	v_fmaak_f32 v68, v66, v68, 0x4773a200
	;; [unrolled: 1-line block ×3, first 2 shown]
	v_mul_f32_e32 v65, v65, v67
	v_div_scale_f32 v67, s[22:23], v66, v66, v65
	v_rcp_f32_e32 v68, v67
	s_nop 0
	v_fma_f32 v69, -v67, v68, 1.0
	v_fmac_f32_e32 v68, v69, v68
	v_div_scale_f32 v69, vcc, v65, v66, v65
	v_mul_f32_e32 v70, v69, v68
	v_fma_f32 v71, -v67, v70, v69
	v_fmac_f32_e32 v70, v71, v68
	v_fma_f32 v67, -v67, v70, v69
	v_div_fmas_f32 v67, v67, v68, v70
	v_div_fixup_f32 v65, v67, v66, v65
	v_med3_f32 v66, v65, -1.0, 1.0
.LBB601_184:                            ;   in Loop: Header=BB601_3 Depth=1
	s_or_b64 exec, exec, s[16:17]
	v_fmac_f32_e32 v64, v64, v66
	v_mul_f32_e32 v64, 0.5, v64
	v_bfi_b32 v8, s18, v8, v64
.LBB601_185:                            ;   in Loop: Header=BB601_3 Depth=1
	s_or_b64 exec, exec, s[14:15]
	v_lshlrev_b32_e32 v64, 16, v21
	v_mul_f32_e32 v65, v64, v64
	v_mul_f32_e32 v65, v65, v64
	;; [unrolled: 1-line block ×3, first 2 shown]
	v_fmac_f32_e32 v66, 0x3d122279, v65
	v_cmp_ge_f32_e64 s[14:15], |v66|, s19
                                        ; implicit-def: $vgpr65
	s_and_saveexec_b64 s[16:17], s[14:15]
	s_xor_b64 s[14:15], exec, s[16:17]
	s_cbranch_execnz .LBB601_188
; %bb.186:                              ;   in Loop: Header=BB601_3 Depth=1
	s_andn2_saveexec_b64 s[14:15], s[14:15]
	s_cbranch_execnz .LBB601_189
.LBB601_187:                            ;   in Loop: Header=BB601_3 Depth=1
	s_or_b64 exec, exec, s[14:15]
	s_and_saveexec_b64 s[14:15], s[0:1]
	s_cbranch_execnz .LBB601_190
	s_branch .LBB601_195
.LBB601_188:                            ;   in Loop: Header=BB601_3 Depth=1
	v_bfi_b32 v65, s20, 1.0, v66
                                        ; implicit-def: $vgpr66
	s_andn2_saveexec_b64 s[14:15], s[14:15]
	s_cbranch_execz .LBB601_187
.LBB601_189:                            ;   in Loop: Header=BB601_3 Depth=1
	v_mul_f32_e32 v65, v66, v66
	v_fmaak_f32 v67, v66, v66, 0x43bd0000
	v_fmaak_f32 v67, v65, v67, 0x46875a00
	v_fmamk_f32 v68, v65, 0x41e00000, v38
	v_fmaak_f32 v67, v65, v67, 0x4803f7c0
	v_fmaak_f32 v68, v65, v68, 0x4773a200
	;; [unrolled: 1-line block ×3, first 2 shown]
	v_mul_f32_e32 v66, v66, v67
	v_div_scale_f32 v67, s[16:17], v65, v65, v66
	v_rcp_f32_e32 v68, v67
	s_nop 0
	v_fma_f32 v69, -v67, v68, 1.0
	v_fmac_f32_e32 v68, v69, v68
	v_div_scale_f32 v69, vcc, v66, v65, v66
	v_mul_f32_e32 v70, v69, v68
	v_fma_f32 v71, -v67, v70, v69
	v_fmac_f32_e32 v70, v71, v68
	v_fma_f32 v67, -v67, v70, v69
	v_div_fmas_f32 v67, v67, v68, v70
	v_div_fixup_f32 v65, v67, v65, v66
	v_med3_f32 v65, v65, -1.0, 1.0
	s_or_b64 exec, exec, s[14:15]
	s_and_saveexec_b64 s[14:15], s[0:1]
	s_cbranch_execz .LBB601_195
.LBB601_190:                            ;   in Loop: Header=BB601_3 Depth=1
	v_lshlrev_b32_e32 v66, 16, v9
	v_mul_f32_e32 v67, v66, v66
	v_mul_f32_e32 v68, v67, v66
	;; [unrolled: 1-line block ×3, first 2 shown]
	v_fmac_f32_e32 v67, 0x3d122279, v68
	v_cmp_ge_f32_e64 s[16:17], |v67|, s19
                                        ; implicit-def: $vgpr68
	s_and_saveexec_b64 s[22:23], s[16:17]
	s_xor_b64 s[16:17], exec, s[22:23]
; %bb.191:                              ;   in Loop: Header=BB601_3 Depth=1
	v_bfi_b32 v68, s20, 1.0, v67
                                        ; implicit-def: $vgpr67
; %bb.192:                              ;   in Loop: Header=BB601_3 Depth=1
	s_andn2_saveexec_b64 s[16:17], s[16:17]
	s_cbranch_execz .LBB601_194
; %bb.193:                              ;   in Loop: Header=BB601_3 Depth=1
	v_mul_f32_e32 v68, v67, v67
	v_fmaak_f32 v69, v67, v67, 0x43bd0000
	v_fmaak_f32 v69, v68, v69, 0x46875a00
	v_fmamk_f32 v70, v68, 0x41e00000, v38
	v_fmaak_f32 v69, v68, v69, 0x4803f7c0
	v_fmaak_f32 v70, v68, v70, 0x4773a200
	;; [unrolled: 1-line block ×3, first 2 shown]
	v_mul_f32_e32 v67, v67, v69
	v_div_scale_f32 v69, s[22:23], v68, v68, v67
	v_rcp_f32_e32 v70, v69
	s_nop 0
	v_fma_f32 v71, -v69, v70, 1.0
	v_fmac_f32_e32 v70, v71, v70
	v_div_scale_f32 v71, vcc, v67, v68, v67
	v_mul_f32_e32 v72, v71, v70
	v_fma_f32 v73, -v69, v72, v71
	v_fmac_f32_e32 v72, v73, v70
	v_fma_f32 v69, -v69, v72, v71
	v_div_fmas_f32 v69, v69, v70, v72
	v_div_fixup_f32 v67, v69, v68, v67
	v_med3_f32 v68, v67, -1.0, 1.0
.LBB601_194:                            ;   in Loop: Header=BB601_3 Depth=1
	s_or_b64 exec, exec, s[16:17]
	v_fmac_f32_e32 v66, v66, v68
	v_mul_f32_e32 v66, 0.5, v66
	v_perm_b32 v9, v9, v66, s21
.LBB601_195:                            ;   in Loop: Header=BB601_3 Depth=1
	s_or_b64 exec, exec, s[14:15]
	v_and_b32_e32 v21, 0xffff0000, v21
	v_mul_f32_e32 v66, v21, v21
	v_mul_f32_e32 v66, v66, v21
	;; [unrolled: 1-line block ×3, first 2 shown]
	v_fmac_f32_e32 v67, 0x3d122279, v66
	v_cmp_ge_f32_e64 s[14:15], |v67|, s19
                                        ; implicit-def: $vgpr66
	s_and_saveexec_b64 s[16:17], s[14:15]
	s_xor_b64 s[14:15], exec, s[16:17]
	s_cbranch_execnz .LBB601_198
; %bb.196:                              ;   in Loop: Header=BB601_3 Depth=1
	s_andn2_saveexec_b64 s[14:15], s[14:15]
	s_cbranch_execnz .LBB601_199
.LBB601_197:                            ;   in Loop: Header=BB601_3 Depth=1
	s_or_b64 exec, exec, s[14:15]
	s_and_saveexec_b64 s[14:15], s[0:1]
	s_cbranch_execnz .LBB601_200
	s_branch .LBB601_205
.LBB601_198:                            ;   in Loop: Header=BB601_3 Depth=1
	v_bfi_b32 v66, s20, 1.0, v67
                                        ; implicit-def: $vgpr67
	s_andn2_saveexec_b64 s[14:15], s[14:15]
	s_cbranch_execz .LBB601_197
.LBB601_199:                            ;   in Loop: Header=BB601_3 Depth=1
	v_mul_f32_e32 v66, v67, v67
	v_fmaak_f32 v68, v67, v67, 0x43bd0000
	v_fmaak_f32 v68, v66, v68, 0x46875a00
	v_fmamk_f32 v69, v66, 0x41e00000, v38
	v_fmaak_f32 v68, v66, v68, 0x4803f7c0
	v_fmaak_f32 v69, v66, v69, 0x4773a200
	;; [unrolled: 1-line block ×3, first 2 shown]
	v_mul_f32_e32 v67, v67, v68
	v_div_scale_f32 v68, s[16:17], v66, v66, v67
	v_rcp_f32_e32 v69, v68
	s_nop 0
	v_fma_f32 v70, -v68, v69, 1.0
	v_fmac_f32_e32 v69, v70, v69
	v_div_scale_f32 v70, vcc, v67, v66, v67
	v_mul_f32_e32 v71, v70, v69
	v_fma_f32 v72, -v68, v71, v70
	v_fmac_f32_e32 v71, v72, v69
	v_fma_f32 v68, -v68, v71, v70
	v_div_fmas_f32 v68, v68, v69, v71
	v_div_fixup_f32 v66, v68, v66, v67
	v_med3_f32 v66, v66, -1.0, 1.0
	s_or_b64 exec, exec, s[14:15]
	s_and_saveexec_b64 s[14:15], s[0:1]
	s_cbranch_execz .LBB601_205
.LBB601_200:                            ;   in Loop: Header=BB601_3 Depth=1
	v_and_b32_e32 v67, 0xffff0000, v9
	v_mul_f32_e32 v68, v67, v67
	v_mul_f32_e32 v69, v68, v67
	;; [unrolled: 1-line block ×3, first 2 shown]
	v_fmac_f32_e32 v68, 0x3d122279, v69
	v_cmp_ge_f32_e64 s[16:17], |v68|, s19
                                        ; implicit-def: $vgpr69
	s_and_saveexec_b64 s[22:23], s[16:17]
	s_xor_b64 s[16:17], exec, s[22:23]
; %bb.201:                              ;   in Loop: Header=BB601_3 Depth=1
	v_bfi_b32 v69, s20, 1.0, v68
                                        ; implicit-def: $vgpr68
; %bb.202:                              ;   in Loop: Header=BB601_3 Depth=1
	s_andn2_saveexec_b64 s[16:17], s[16:17]
	s_cbranch_execz .LBB601_204
; %bb.203:                              ;   in Loop: Header=BB601_3 Depth=1
	v_mul_f32_e32 v69, v68, v68
	v_fmaak_f32 v70, v68, v68, 0x43bd0000
	v_fmaak_f32 v70, v69, v70, 0x46875a00
	v_fmamk_f32 v71, v69, 0x41e00000, v38
	v_fmaak_f32 v70, v69, v70, 0x4803f7c0
	v_fmaak_f32 v71, v69, v71, 0x4773a200
	;; [unrolled: 1-line block ×3, first 2 shown]
	v_mul_f32_e32 v68, v68, v70
	v_div_scale_f32 v70, s[22:23], v69, v69, v68
	v_rcp_f32_e32 v71, v70
	s_nop 0
	v_fma_f32 v72, -v70, v71, 1.0
	v_fmac_f32_e32 v71, v72, v71
	v_div_scale_f32 v72, vcc, v68, v69, v68
	v_mul_f32_e32 v73, v72, v71
	v_fma_f32 v74, -v70, v73, v72
	v_fmac_f32_e32 v73, v74, v71
	v_fma_f32 v70, -v70, v73, v72
	v_div_fmas_f32 v70, v70, v71, v73
	v_div_fixup_f32 v68, v70, v69, v68
	v_med3_f32 v69, v68, -1.0, 1.0
.LBB601_204:                            ;   in Loop: Header=BB601_3 Depth=1
	s_or_b64 exec, exec, s[16:17]
	v_fmac_f32_e32 v67, v67, v69
	v_mul_f32_e32 v67, 0.5, v67
	v_bfi_b32 v9, s18, v9, v67
.LBB601_205:                            ;   in Loop: Header=BB601_3 Depth=1
	s_or_b64 exec, exec, s[14:15]
	v_lshlrev_b32_e32 v67, 16, v22
	v_mul_f32_e32 v68, v67, v67
	v_mul_f32_e32 v68, v68, v67
	;; [unrolled: 1-line block ×3, first 2 shown]
	v_fmac_f32_e32 v69, 0x3d122279, v68
	v_cmp_ge_f32_e64 s[14:15], |v69|, s19
                                        ; implicit-def: $vgpr68
	s_and_saveexec_b64 s[16:17], s[14:15]
	s_xor_b64 s[14:15], exec, s[16:17]
	s_cbranch_execnz .LBB601_208
; %bb.206:                              ;   in Loop: Header=BB601_3 Depth=1
	s_andn2_saveexec_b64 s[14:15], s[14:15]
	s_cbranch_execnz .LBB601_209
.LBB601_207:                            ;   in Loop: Header=BB601_3 Depth=1
	s_or_b64 exec, exec, s[14:15]
	s_and_saveexec_b64 s[14:15], s[0:1]
	s_cbranch_execnz .LBB601_210
	s_branch .LBB601_215
.LBB601_208:                            ;   in Loop: Header=BB601_3 Depth=1
	v_bfi_b32 v68, s20, 1.0, v69
                                        ; implicit-def: $vgpr69
	s_andn2_saveexec_b64 s[14:15], s[14:15]
	s_cbranch_execz .LBB601_207
.LBB601_209:                            ;   in Loop: Header=BB601_3 Depth=1
	v_mul_f32_e32 v68, v69, v69
	v_fmaak_f32 v70, v69, v69, 0x43bd0000
	v_fmaak_f32 v70, v68, v70, 0x46875a00
	v_fmamk_f32 v71, v68, 0x41e00000, v38
	v_fmaak_f32 v70, v68, v70, 0x4803f7c0
	v_fmaak_f32 v71, v68, v71, 0x4773a200
	;; [unrolled: 1-line block ×3, first 2 shown]
	v_mul_f32_e32 v69, v69, v70
	v_div_scale_f32 v70, s[16:17], v68, v68, v69
	v_rcp_f32_e32 v71, v70
	s_nop 0
	v_fma_f32 v72, -v70, v71, 1.0
	v_fmac_f32_e32 v71, v72, v71
	v_div_scale_f32 v72, vcc, v69, v68, v69
	v_mul_f32_e32 v73, v72, v71
	v_fma_f32 v74, -v70, v73, v72
	v_fmac_f32_e32 v73, v74, v71
	v_fma_f32 v70, -v70, v73, v72
	v_div_fmas_f32 v70, v70, v71, v73
	v_div_fixup_f32 v68, v70, v68, v69
	v_med3_f32 v68, v68, -1.0, 1.0
	s_or_b64 exec, exec, s[14:15]
	s_and_saveexec_b64 s[14:15], s[0:1]
	s_cbranch_execz .LBB601_215
.LBB601_210:                            ;   in Loop: Header=BB601_3 Depth=1
	v_lshlrev_b32_e32 v69, 16, v10
	v_mul_f32_e32 v70, v69, v69
	v_mul_f32_e32 v71, v70, v69
	;; [unrolled: 1-line block ×3, first 2 shown]
	v_fmac_f32_e32 v70, 0x3d122279, v71
	v_cmp_ge_f32_e64 s[16:17], |v70|, s19
                                        ; implicit-def: $vgpr71
	s_and_saveexec_b64 s[22:23], s[16:17]
	s_xor_b64 s[16:17], exec, s[22:23]
; %bb.211:                              ;   in Loop: Header=BB601_3 Depth=1
	v_bfi_b32 v71, s20, 1.0, v70
                                        ; implicit-def: $vgpr70
; %bb.212:                              ;   in Loop: Header=BB601_3 Depth=1
	s_andn2_saveexec_b64 s[16:17], s[16:17]
	s_cbranch_execz .LBB601_214
; %bb.213:                              ;   in Loop: Header=BB601_3 Depth=1
	v_mul_f32_e32 v71, v70, v70
	v_fmaak_f32 v72, v70, v70, 0x43bd0000
	v_fmaak_f32 v72, v71, v72, 0x46875a00
	v_fmamk_f32 v73, v71, 0x41e00000, v38
	v_fmaak_f32 v72, v71, v72, 0x4803f7c0
	v_fmaak_f32 v73, v71, v73, 0x4773a200
	;; [unrolled: 1-line block ×3, first 2 shown]
	v_mul_f32_e32 v70, v70, v72
	v_div_scale_f32 v72, s[22:23], v71, v71, v70
	v_rcp_f32_e32 v73, v72
	s_nop 0
	v_fma_f32 v74, -v72, v73, 1.0
	v_fmac_f32_e32 v73, v74, v73
	v_div_scale_f32 v74, vcc, v70, v71, v70
	v_mul_f32_e32 v75, v74, v73
	v_fma_f32 v76, -v72, v75, v74
	v_fmac_f32_e32 v75, v76, v73
	v_fma_f32 v72, -v72, v75, v74
	v_div_fmas_f32 v72, v72, v73, v75
	v_div_fixup_f32 v70, v72, v71, v70
	v_med3_f32 v71, v70, -1.0, 1.0
.LBB601_214:                            ;   in Loop: Header=BB601_3 Depth=1
	s_or_b64 exec, exec, s[16:17]
	v_fmac_f32_e32 v69, v69, v71
	v_mul_f32_e32 v69, 0.5, v69
	v_perm_b32 v10, v10, v69, s21
.LBB601_215:                            ;   in Loop: Header=BB601_3 Depth=1
	s_or_b64 exec, exec, s[14:15]
	v_and_b32_e32 v22, 0xffff0000, v22
	v_mul_f32_e32 v69, v22, v22
	v_mul_f32_e32 v69, v69, v22
	;; [unrolled: 1-line block ×3, first 2 shown]
	v_fmac_f32_e32 v70, 0x3d122279, v69
	v_cmp_ge_f32_e64 s[14:15], |v70|, s19
                                        ; implicit-def: $vgpr69
	s_and_saveexec_b64 s[16:17], s[14:15]
	s_xor_b64 s[14:15], exec, s[16:17]
	s_cbranch_execnz .LBB601_218
; %bb.216:                              ;   in Loop: Header=BB601_3 Depth=1
	s_andn2_saveexec_b64 s[14:15], s[14:15]
	s_cbranch_execnz .LBB601_219
.LBB601_217:                            ;   in Loop: Header=BB601_3 Depth=1
	s_or_b64 exec, exec, s[14:15]
	s_and_saveexec_b64 s[14:15], s[0:1]
	s_cbranch_execnz .LBB601_220
	s_branch .LBB601_225
.LBB601_218:                            ;   in Loop: Header=BB601_3 Depth=1
	v_bfi_b32 v69, s20, 1.0, v70
                                        ; implicit-def: $vgpr70
	s_andn2_saveexec_b64 s[14:15], s[14:15]
	s_cbranch_execz .LBB601_217
.LBB601_219:                            ;   in Loop: Header=BB601_3 Depth=1
	v_mul_f32_e32 v69, v70, v70
	v_fmaak_f32 v71, v70, v70, 0x43bd0000
	v_fmaak_f32 v71, v69, v71, 0x46875a00
	v_fmamk_f32 v72, v69, 0x41e00000, v38
	v_fmaak_f32 v71, v69, v71, 0x4803f7c0
	v_fmaak_f32 v72, v69, v72, 0x4773a200
	;; [unrolled: 1-line block ×3, first 2 shown]
	v_mul_f32_e32 v70, v70, v71
	v_div_scale_f32 v71, s[16:17], v69, v69, v70
	v_rcp_f32_e32 v72, v71
	s_nop 0
	v_fma_f32 v73, -v71, v72, 1.0
	v_fmac_f32_e32 v72, v73, v72
	v_div_scale_f32 v73, vcc, v70, v69, v70
	v_mul_f32_e32 v74, v73, v72
	v_fma_f32 v75, -v71, v74, v73
	v_fmac_f32_e32 v74, v75, v72
	v_fma_f32 v71, -v71, v74, v73
	v_div_fmas_f32 v71, v71, v72, v74
	v_div_fixup_f32 v69, v71, v69, v70
	v_med3_f32 v69, v69, -1.0, 1.0
	s_or_b64 exec, exec, s[14:15]
	s_and_saveexec_b64 s[14:15], s[0:1]
	s_cbranch_execz .LBB601_225
.LBB601_220:                            ;   in Loop: Header=BB601_3 Depth=1
	v_and_b32_e32 v70, 0xffff0000, v10
	v_mul_f32_e32 v71, v70, v70
	v_mul_f32_e32 v72, v71, v70
	;; [unrolled: 1-line block ×3, first 2 shown]
	v_fmac_f32_e32 v71, 0x3d122279, v72
	v_cmp_ge_f32_e64 s[16:17], |v71|, s19
                                        ; implicit-def: $vgpr72
	s_and_saveexec_b64 s[22:23], s[16:17]
	s_xor_b64 s[16:17], exec, s[22:23]
; %bb.221:                              ;   in Loop: Header=BB601_3 Depth=1
	v_bfi_b32 v72, s20, 1.0, v71
                                        ; implicit-def: $vgpr71
; %bb.222:                              ;   in Loop: Header=BB601_3 Depth=1
	s_andn2_saveexec_b64 s[16:17], s[16:17]
	s_cbranch_execz .LBB601_224
; %bb.223:                              ;   in Loop: Header=BB601_3 Depth=1
	v_mul_f32_e32 v72, v71, v71
	v_fmaak_f32 v73, v71, v71, 0x43bd0000
	v_fmaak_f32 v73, v72, v73, 0x46875a00
	v_fmamk_f32 v74, v72, 0x41e00000, v38
	v_fmaak_f32 v73, v72, v73, 0x4803f7c0
	v_fmaak_f32 v74, v72, v74, 0x4773a200
	;; [unrolled: 1-line block ×3, first 2 shown]
	v_mul_f32_e32 v71, v71, v73
	v_div_scale_f32 v73, s[22:23], v72, v72, v71
	v_rcp_f32_e32 v74, v73
	s_nop 0
	v_fma_f32 v75, -v73, v74, 1.0
	v_fmac_f32_e32 v74, v75, v74
	v_div_scale_f32 v75, vcc, v71, v72, v71
	v_mul_f32_e32 v76, v75, v74
	v_fma_f32 v77, -v73, v76, v75
	v_fmac_f32_e32 v76, v77, v74
	v_fma_f32 v73, -v73, v76, v75
	v_div_fmas_f32 v73, v73, v74, v76
	v_div_fixup_f32 v71, v73, v72, v71
	v_med3_f32 v72, v71, -1.0, 1.0
.LBB601_224:                            ;   in Loop: Header=BB601_3 Depth=1
	s_or_b64 exec, exec, s[16:17]
	v_fmac_f32_e32 v70, v70, v72
	v_mul_f32_e32 v70, 0.5, v70
	v_bfi_b32 v10, s18, v10, v70
.LBB601_225:                            ;   in Loop: Header=BB601_3 Depth=1
	s_or_b64 exec, exec, s[14:15]
	v_lshlrev_b32_e32 v70, 16, v23
	v_mul_f32_e32 v71, v70, v70
	v_mul_f32_e32 v71, v71, v70
	;; [unrolled: 1-line block ×3, first 2 shown]
	v_fmac_f32_e32 v72, 0x3d122279, v71
	v_cmp_ge_f32_e64 s[14:15], |v72|, s19
                                        ; implicit-def: $vgpr71
	s_and_saveexec_b64 s[16:17], s[14:15]
	s_xor_b64 s[14:15], exec, s[16:17]
	s_cbranch_execnz .LBB601_228
; %bb.226:                              ;   in Loop: Header=BB601_3 Depth=1
	s_andn2_saveexec_b64 s[14:15], s[14:15]
	s_cbranch_execnz .LBB601_229
.LBB601_227:                            ;   in Loop: Header=BB601_3 Depth=1
	s_or_b64 exec, exec, s[14:15]
	s_and_saveexec_b64 s[14:15], s[0:1]
	s_cbranch_execnz .LBB601_230
	s_branch .LBB601_235
.LBB601_228:                            ;   in Loop: Header=BB601_3 Depth=1
	v_bfi_b32 v71, s20, 1.0, v72
                                        ; implicit-def: $vgpr72
	s_andn2_saveexec_b64 s[14:15], s[14:15]
	s_cbranch_execz .LBB601_227
.LBB601_229:                            ;   in Loop: Header=BB601_3 Depth=1
	v_mul_f32_e32 v71, v72, v72
	v_fmaak_f32 v73, v72, v72, 0x43bd0000
	v_fmaak_f32 v73, v71, v73, 0x46875a00
	v_fmamk_f32 v74, v71, 0x41e00000, v38
	v_fmaak_f32 v73, v71, v73, 0x4803f7c0
	v_fmaak_f32 v74, v71, v74, 0x4773a200
	;; [unrolled: 1-line block ×3, first 2 shown]
	v_mul_f32_e32 v72, v72, v73
	v_div_scale_f32 v73, s[16:17], v71, v71, v72
	v_rcp_f32_e32 v74, v73
	s_nop 0
	v_fma_f32 v75, -v73, v74, 1.0
	v_fmac_f32_e32 v74, v75, v74
	v_div_scale_f32 v75, vcc, v72, v71, v72
	v_mul_f32_e32 v76, v75, v74
	v_fma_f32 v77, -v73, v76, v75
	v_fmac_f32_e32 v76, v77, v74
	v_fma_f32 v73, -v73, v76, v75
	v_div_fmas_f32 v73, v73, v74, v76
	v_div_fixup_f32 v71, v73, v71, v72
	v_med3_f32 v71, v71, -1.0, 1.0
	s_or_b64 exec, exec, s[14:15]
	s_and_saveexec_b64 s[14:15], s[0:1]
	s_cbranch_execz .LBB601_235
.LBB601_230:                            ;   in Loop: Header=BB601_3 Depth=1
	v_lshlrev_b32_e32 v72, 16, v11
	v_mul_f32_e32 v73, v72, v72
	v_mul_f32_e32 v74, v73, v72
	;; [unrolled: 1-line block ×3, first 2 shown]
	v_fmac_f32_e32 v73, 0x3d122279, v74
	v_cmp_ge_f32_e64 s[16:17], |v73|, s19
                                        ; implicit-def: $vgpr74
	s_and_saveexec_b64 s[22:23], s[16:17]
	s_xor_b64 s[16:17], exec, s[22:23]
; %bb.231:                              ;   in Loop: Header=BB601_3 Depth=1
	v_bfi_b32 v74, s20, 1.0, v73
                                        ; implicit-def: $vgpr73
; %bb.232:                              ;   in Loop: Header=BB601_3 Depth=1
	s_andn2_saveexec_b64 s[16:17], s[16:17]
	s_cbranch_execz .LBB601_234
; %bb.233:                              ;   in Loop: Header=BB601_3 Depth=1
	v_mul_f32_e32 v74, v73, v73
	v_fmaak_f32 v75, v73, v73, 0x43bd0000
	v_fmaak_f32 v75, v74, v75, 0x46875a00
	v_fmamk_f32 v76, v74, 0x41e00000, v38
	v_fmaak_f32 v75, v74, v75, 0x4803f7c0
	v_fmaak_f32 v76, v74, v76, 0x4773a200
	v_fmaak_f32 v74, v74, v76, 0x4803f7c0
	v_mul_f32_e32 v73, v73, v75
	v_div_scale_f32 v75, s[22:23], v74, v74, v73
	v_rcp_f32_e32 v76, v75
	s_nop 0
	v_fma_f32 v77, -v75, v76, 1.0
	v_fmac_f32_e32 v76, v77, v76
	v_div_scale_f32 v77, vcc, v73, v74, v73
	v_mul_f32_e32 v78, v77, v76
	v_fma_f32 v79, -v75, v78, v77
	v_fmac_f32_e32 v78, v79, v76
	v_fma_f32 v75, -v75, v78, v77
	v_div_fmas_f32 v75, v75, v76, v78
	v_div_fixup_f32 v73, v75, v74, v73
	v_med3_f32 v74, v73, -1.0, 1.0
.LBB601_234:                            ;   in Loop: Header=BB601_3 Depth=1
	s_or_b64 exec, exec, s[16:17]
	v_fmac_f32_e32 v72, v72, v74
	v_mul_f32_e32 v72, 0.5, v72
	v_perm_b32 v11, v11, v72, s21
.LBB601_235:                            ;   in Loop: Header=BB601_3 Depth=1
	s_or_b64 exec, exec, s[14:15]
	v_and_b32_e32 v23, 0xffff0000, v23
	v_mul_f32_e32 v72, v23, v23
	v_mul_f32_e32 v72, v72, v23
	;; [unrolled: 1-line block ×3, first 2 shown]
	v_fmac_f32_e32 v73, 0x3d122279, v72
	v_cmp_ge_f32_e64 s[14:15], |v73|, s19
                                        ; implicit-def: $vgpr72
	s_and_saveexec_b64 s[16:17], s[14:15]
	s_xor_b64 s[14:15], exec, s[16:17]
	s_cbranch_execnz .LBB601_238
; %bb.236:                              ;   in Loop: Header=BB601_3 Depth=1
	s_andn2_saveexec_b64 s[14:15], s[14:15]
	s_cbranch_execnz .LBB601_239
.LBB601_237:                            ;   in Loop: Header=BB601_3 Depth=1
	s_or_b64 exec, exec, s[14:15]
	s_and_saveexec_b64 s[14:15], s[0:1]
	s_cbranch_execnz .LBB601_240
	s_branch .LBB601_245
.LBB601_238:                            ;   in Loop: Header=BB601_3 Depth=1
	v_bfi_b32 v72, s20, 1.0, v73
                                        ; implicit-def: $vgpr73
	s_andn2_saveexec_b64 s[14:15], s[14:15]
	s_cbranch_execz .LBB601_237
.LBB601_239:                            ;   in Loop: Header=BB601_3 Depth=1
	v_mul_f32_e32 v72, v73, v73
	v_fmaak_f32 v74, v73, v73, 0x43bd0000
	v_fmaak_f32 v74, v72, v74, 0x46875a00
	v_fmamk_f32 v75, v72, 0x41e00000, v38
	v_fmaak_f32 v74, v72, v74, 0x4803f7c0
	v_fmaak_f32 v75, v72, v75, 0x4773a200
	;; [unrolled: 1-line block ×3, first 2 shown]
	v_mul_f32_e32 v73, v73, v74
	v_div_scale_f32 v74, s[16:17], v72, v72, v73
	v_rcp_f32_e32 v75, v74
	s_nop 0
	v_fma_f32 v76, -v74, v75, 1.0
	v_fmac_f32_e32 v75, v76, v75
	v_div_scale_f32 v76, vcc, v73, v72, v73
	v_mul_f32_e32 v77, v76, v75
	v_fma_f32 v78, -v74, v77, v76
	v_fmac_f32_e32 v77, v78, v75
	v_fma_f32 v74, -v74, v77, v76
	v_div_fmas_f32 v74, v74, v75, v77
	v_div_fixup_f32 v72, v74, v72, v73
	v_med3_f32 v72, v72, -1.0, 1.0
	s_or_b64 exec, exec, s[14:15]
	s_and_saveexec_b64 s[14:15], s[0:1]
	s_cbranch_execz .LBB601_245
.LBB601_240:                            ;   in Loop: Header=BB601_3 Depth=1
	v_and_b32_e32 v73, 0xffff0000, v11
	v_mul_f32_e32 v74, v73, v73
	v_mul_f32_e32 v75, v74, v73
	;; [unrolled: 1-line block ×3, first 2 shown]
	v_fmac_f32_e32 v74, 0x3d122279, v75
	v_cmp_ge_f32_e64 s[16:17], |v74|, s19
                                        ; implicit-def: $vgpr75
	s_and_saveexec_b64 s[22:23], s[16:17]
	s_xor_b64 s[16:17], exec, s[22:23]
; %bb.241:                              ;   in Loop: Header=BB601_3 Depth=1
	v_bfi_b32 v75, s20, 1.0, v74
                                        ; implicit-def: $vgpr74
; %bb.242:                              ;   in Loop: Header=BB601_3 Depth=1
	s_andn2_saveexec_b64 s[16:17], s[16:17]
	s_cbranch_execz .LBB601_244
; %bb.243:                              ;   in Loop: Header=BB601_3 Depth=1
	v_mul_f32_e32 v75, v74, v74
	v_fmaak_f32 v76, v74, v74, 0x43bd0000
	v_fmaak_f32 v76, v75, v76, 0x46875a00
	v_fmamk_f32 v77, v75, 0x41e00000, v38
	v_fmaak_f32 v76, v75, v76, 0x4803f7c0
	v_fmaak_f32 v77, v75, v77, 0x4773a200
	;; [unrolled: 1-line block ×3, first 2 shown]
	v_mul_f32_e32 v74, v74, v76
	v_div_scale_f32 v76, s[22:23], v75, v75, v74
	v_rcp_f32_e32 v77, v76
	s_nop 0
	v_fma_f32 v78, -v76, v77, 1.0
	v_fmac_f32_e32 v77, v78, v77
	v_div_scale_f32 v78, vcc, v74, v75, v74
	v_mul_f32_e32 v79, v78, v77
	v_fma_f32 v80, -v76, v79, v78
	v_fmac_f32_e32 v79, v80, v77
	v_fma_f32 v76, -v76, v79, v78
	v_div_fmas_f32 v76, v76, v77, v79
	v_div_fixup_f32 v74, v76, v75, v74
	v_med3_f32 v75, v74, -1.0, 1.0
.LBB601_244:                            ;   in Loop: Header=BB601_3 Depth=1
	s_or_b64 exec, exec, s[16:17]
	v_fmac_f32_e32 v73, v73, v75
	v_mul_f32_e32 v73, 0.5, v73
	v_bfi_b32 v11, s18, v11, v73
.LBB601_245:                            ;   in Loop: Header=BB601_3 Depth=1
	s_or_b64 exec, exec, s[14:15]
	v_lshlrev_b32_e32 v73, 16, v16
	v_mul_f32_e32 v74, v73, v73
	v_mul_f32_e32 v74, v74, v73
	;; [unrolled: 1-line block ×3, first 2 shown]
	v_fmac_f32_e32 v75, 0x3d122279, v74
	v_cmp_ge_f32_e64 s[14:15], |v75|, s19
                                        ; implicit-def: $vgpr74
	s_and_saveexec_b64 s[16:17], s[14:15]
	s_xor_b64 s[14:15], exec, s[16:17]
	s_cbranch_execnz .LBB601_248
; %bb.246:                              ;   in Loop: Header=BB601_3 Depth=1
	s_andn2_saveexec_b64 s[14:15], s[14:15]
	s_cbranch_execnz .LBB601_249
.LBB601_247:                            ;   in Loop: Header=BB601_3 Depth=1
	s_or_b64 exec, exec, s[14:15]
	s_and_saveexec_b64 s[14:15], s[0:1]
	s_cbranch_execnz .LBB601_250
	s_branch .LBB601_255
.LBB601_248:                            ;   in Loop: Header=BB601_3 Depth=1
	v_bfi_b32 v74, s20, 1.0, v75
                                        ; implicit-def: $vgpr75
	s_andn2_saveexec_b64 s[14:15], s[14:15]
	s_cbranch_execz .LBB601_247
.LBB601_249:                            ;   in Loop: Header=BB601_3 Depth=1
	v_mul_f32_e32 v74, v75, v75
	v_fmaak_f32 v76, v75, v75, 0x43bd0000
	v_fmaak_f32 v76, v74, v76, 0x46875a00
	v_fmamk_f32 v77, v74, 0x41e00000, v38
	v_fmaak_f32 v76, v74, v76, 0x4803f7c0
	v_fmaak_f32 v77, v74, v77, 0x4773a200
	;; [unrolled: 1-line block ×3, first 2 shown]
	v_mul_f32_e32 v75, v75, v76
	v_div_scale_f32 v76, s[16:17], v74, v74, v75
	v_rcp_f32_e32 v77, v76
	s_nop 0
	v_fma_f32 v78, -v76, v77, 1.0
	v_fmac_f32_e32 v77, v78, v77
	v_div_scale_f32 v78, vcc, v75, v74, v75
	v_mul_f32_e32 v79, v78, v77
	v_fma_f32 v80, -v76, v79, v78
	v_fmac_f32_e32 v79, v80, v77
	v_fma_f32 v76, -v76, v79, v78
	v_div_fmas_f32 v76, v76, v77, v79
	v_div_fixup_f32 v74, v76, v74, v75
	v_med3_f32 v74, v74, -1.0, 1.0
	s_or_b64 exec, exec, s[14:15]
	s_and_saveexec_b64 s[14:15], s[0:1]
	s_cbranch_execz .LBB601_255
.LBB601_250:                            ;   in Loop: Header=BB601_3 Depth=1
	v_lshlrev_b32_e32 v75, 16, v12
	v_mul_f32_e32 v76, v75, v75
	v_mul_f32_e32 v77, v76, v75
	;; [unrolled: 1-line block ×3, first 2 shown]
	v_fmac_f32_e32 v76, 0x3d122279, v77
	v_cmp_ge_f32_e64 s[16:17], |v76|, s19
                                        ; implicit-def: $vgpr77
	s_and_saveexec_b64 s[22:23], s[16:17]
	s_xor_b64 s[16:17], exec, s[22:23]
; %bb.251:                              ;   in Loop: Header=BB601_3 Depth=1
	v_bfi_b32 v77, s20, 1.0, v76
                                        ; implicit-def: $vgpr76
; %bb.252:                              ;   in Loop: Header=BB601_3 Depth=1
	s_andn2_saveexec_b64 s[16:17], s[16:17]
	s_cbranch_execz .LBB601_254
; %bb.253:                              ;   in Loop: Header=BB601_3 Depth=1
	v_mul_f32_e32 v77, v76, v76
	v_fmaak_f32 v78, v76, v76, 0x43bd0000
	v_fmaak_f32 v78, v77, v78, 0x46875a00
	v_fmamk_f32 v79, v77, 0x41e00000, v38
	v_fmaak_f32 v78, v77, v78, 0x4803f7c0
	v_fmaak_f32 v79, v77, v79, 0x4773a200
	;; [unrolled: 1-line block ×3, first 2 shown]
	v_mul_f32_e32 v76, v76, v78
	v_div_scale_f32 v78, s[22:23], v77, v77, v76
	v_rcp_f32_e32 v79, v78
	s_nop 0
	v_fma_f32 v80, -v78, v79, 1.0
	v_fmac_f32_e32 v79, v80, v79
	v_div_scale_f32 v80, vcc, v76, v77, v76
	v_mul_f32_e32 v81, v80, v79
	v_fma_f32 v82, -v78, v81, v80
	v_fmac_f32_e32 v81, v82, v79
	v_fma_f32 v78, -v78, v81, v80
	v_div_fmas_f32 v78, v78, v79, v81
	v_div_fixup_f32 v76, v78, v77, v76
	v_med3_f32 v77, v76, -1.0, 1.0
.LBB601_254:                            ;   in Loop: Header=BB601_3 Depth=1
	s_or_b64 exec, exec, s[16:17]
	v_fmac_f32_e32 v75, v75, v77
	v_mul_f32_e32 v75, 0.5, v75
	v_perm_b32 v12, v12, v75, s21
.LBB601_255:                            ;   in Loop: Header=BB601_3 Depth=1
	s_or_b64 exec, exec, s[14:15]
	v_and_b32_e32 v16, 0xffff0000, v16
	v_mul_f32_e32 v75, v16, v16
	v_mul_f32_e32 v75, v75, v16
	;; [unrolled: 1-line block ×3, first 2 shown]
	v_fmac_f32_e32 v76, 0x3d122279, v75
	v_cmp_ge_f32_e64 s[14:15], |v76|, s19
                                        ; implicit-def: $vgpr75
	s_and_saveexec_b64 s[16:17], s[14:15]
	s_xor_b64 s[14:15], exec, s[16:17]
	s_cbranch_execnz .LBB601_258
; %bb.256:                              ;   in Loop: Header=BB601_3 Depth=1
	s_andn2_saveexec_b64 s[14:15], s[14:15]
	s_cbranch_execnz .LBB601_259
.LBB601_257:                            ;   in Loop: Header=BB601_3 Depth=1
	s_or_b64 exec, exec, s[14:15]
	s_and_saveexec_b64 s[14:15], s[0:1]
	s_cbranch_execnz .LBB601_260
	s_branch .LBB601_265
.LBB601_258:                            ;   in Loop: Header=BB601_3 Depth=1
	v_bfi_b32 v75, s20, 1.0, v76
                                        ; implicit-def: $vgpr76
	s_andn2_saveexec_b64 s[14:15], s[14:15]
	s_cbranch_execz .LBB601_257
.LBB601_259:                            ;   in Loop: Header=BB601_3 Depth=1
	v_mul_f32_e32 v75, v76, v76
	v_fmaak_f32 v77, v76, v76, 0x43bd0000
	v_fmaak_f32 v77, v75, v77, 0x46875a00
	v_fmamk_f32 v78, v75, 0x41e00000, v38
	v_fmaak_f32 v77, v75, v77, 0x4803f7c0
	v_fmaak_f32 v78, v75, v78, 0x4773a200
	;; [unrolled: 1-line block ×3, first 2 shown]
	v_mul_f32_e32 v76, v76, v77
	v_div_scale_f32 v77, s[16:17], v75, v75, v76
	v_rcp_f32_e32 v78, v77
	s_nop 0
	v_fma_f32 v79, -v77, v78, 1.0
	v_fmac_f32_e32 v78, v79, v78
	v_div_scale_f32 v79, vcc, v76, v75, v76
	v_mul_f32_e32 v80, v79, v78
	v_fma_f32 v81, -v77, v80, v79
	v_fmac_f32_e32 v80, v81, v78
	v_fma_f32 v77, -v77, v80, v79
	v_div_fmas_f32 v77, v77, v78, v80
	v_div_fixup_f32 v75, v77, v75, v76
	v_med3_f32 v75, v75, -1.0, 1.0
	s_or_b64 exec, exec, s[14:15]
	s_and_saveexec_b64 s[14:15], s[0:1]
	s_cbranch_execz .LBB601_265
.LBB601_260:                            ;   in Loop: Header=BB601_3 Depth=1
	v_and_b32_e32 v76, 0xffff0000, v12
	v_mul_f32_e32 v77, v76, v76
	v_mul_f32_e32 v78, v77, v76
	;; [unrolled: 1-line block ×3, first 2 shown]
	v_fmac_f32_e32 v77, 0x3d122279, v78
	v_cmp_ge_f32_e64 s[16:17], |v77|, s19
                                        ; implicit-def: $vgpr78
	s_and_saveexec_b64 s[22:23], s[16:17]
	s_xor_b64 s[16:17], exec, s[22:23]
; %bb.261:                              ;   in Loop: Header=BB601_3 Depth=1
	v_bfi_b32 v78, s20, 1.0, v77
                                        ; implicit-def: $vgpr77
; %bb.262:                              ;   in Loop: Header=BB601_3 Depth=1
	s_andn2_saveexec_b64 s[16:17], s[16:17]
	s_cbranch_execz .LBB601_264
; %bb.263:                              ;   in Loop: Header=BB601_3 Depth=1
	v_mul_f32_e32 v78, v77, v77
	v_fmaak_f32 v79, v77, v77, 0x43bd0000
	v_fmaak_f32 v79, v78, v79, 0x46875a00
	v_fmamk_f32 v80, v78, 0x41e00000, v38
	v_fmaak_f32 v79, v78, v79, 0x4803f7c0
	v_fmaak_f32 v80, v78, v80, 0x4773a200
	v_fmaak_f32 v78, v78, v80, 0x4803f7c0
	v_mul_f32_e32 v77, v77, v79
	v_div_scale_f32 v79, s[22:23], v78, v78, v77
	v_rcp_f32_e32 v80, v79
	s_nop 0
	v_fma_f32 v81, -v79, v80, 1.0
	v_fmac_f32_e32 v80, v81, v80
	v_div_scale_f32 v81, vcc, v77, v78, v77
	v_mul_f32_e32 v82, v81, v80
	v_fma_f32 v83, -v79, v82, v81
	v_fmac_f32_e32 v82, v83, v80
	v_fma_f32 v79, -v79, v82, v81
	v_div_fmas_f32 v79, v79, v80, v82
	v_div_fixup_f32 v77, v79, v78, v77
	v_med3_f32 v78, v77, -1.0, 1.0
.LBB601_264:                            ;   in Loop: Header=BB601_3 Depth=1
	s_or_b64 exec, exec, s[16:17]
	v_fmac_f32_e32 v76, v76, v78
	v_mul_f32_e32 v76, 0.5, v76
	v_bfi_b32 v12, s18, v12, v76
.LBB601_265:                            ;   in Loop: Header=BB601_3 Depth=1
	s_or_b64 exec, exec, s[14:15]
	v_lshlrev_b32_e32 v76, 16, v17
	v_mul_f32_e32 v77, v76, v76
	v_mul_f32_e32 v77, v77, v76
	v_mul_f32_e32 v78, 0x3f4c422a, v76
	v_fmac_f32_e32 v78, 0x3d122279, v77
	v_cmp_ge_f32_e64 s[14:15], |v78|, s19
                                        ; implicit-def: $vgpr77
	s_and_saveexec_b64 s[16:17], s[14:15]
	s_xor_b64 s[14:15], exec, s[16:17]
	s_cbranch_execnz .LBB601_268
; %bb.266:                              ;   in Loop: Header=BB601_3 Depth=1
	s_andn2_saveexec_b64 s[14:15], s[14:15]
	s_cbranch_execnz .LBB601_269
.LBB601_267:                            ;   in Loop: Header=BB601_3 Depth=1
	s_or_b64 exec, exec, s[14:15]
	s_and_saveexec_b64 s[14:15], s[0:1]
	s_cbranch_execnz .LBB601_270
	s_branch .LBB601_275
.LBB601_268:                            ;   in Loop: Header=BB601_3 Depth=1
	v_bfi_b32 v77, s20, 1.0, v78
                                        ; implicit-def: $vgpr78
	s_andn2_saveexec_b64 s[14:15], s[14:15]
	s_cbranch_execz .LBB601_267
.LBB601_269:                            ;   in Loop: Header=BB601_3 Depth=1
	v_mul_f32_e32 v77, v78, v78
	v_fmaak_f32 v79, v78, v78, 0x43bd0000
	v_fmaak_f32 v79, v77, v79, 0x46875a00
	v_fmamk_f32 v80, v77, 0x41e00000, v38
	v_fmaak_f32 v79, v77, v79, 0x4803f7c0
	v_fmaak_f32 v80, v77, v80, 0x4773a200
	;; [unrolled: 1-line block ×3, first 2 shown]
	v_mul_f32_e32 v78, v78, v79
	v_div_scale_f32 v79, s[16:17], v77, v77, v78
	v_rcp_f32_e32 v80, v79
	s_nop 0
	v_fma_f32 v81, -v79, v80, 1.0
	v_fmac_f32_e32 v80, v81, v80
	v_div_scale_f32 v81, vcc, v78, v77, v78
	v_mul_f32_e32 v82, v81, v80
	v_fma_f32 v83, -v79, v82, v81
	v_fmac_f32_e32 v82, v83, v80
	v_fma_f32 v79, -v79, v82, v81
	v_div_fmas_f32 v79, v79, v80, v82
	v_div_fixup_f32 v77, v79, v77, v78
	v_med3_f32 v77, v77, -1.0, 1.0
	s_or_b64 exec, exec, s[14:15]
	s_and_saveexec_b64 s[14:15], s[0:1]
	s_cbranch_execz .LBB601_275
.LBB601_270:                            ;   in Loop: Header=BB601_3 Depth=1
	v_lshlrev_b32_e32 v78, 16, v13
	v_mul_f32_e32 v79, v78, v78
	v_mul_f32_e32 v80, v79, v78
	;; [unrolled: 1-line block ×3, first 2 shown]
	v_fmac_f32_e32 v79, 0x3d122279, v80
	v_cmp_ge_f32_e64 s[16:17], |v79|, s19
                                        ; implicit-def: $vgpr80
	s_and_saveexec_b64 s[22:23], s[16:17]
	s_xor_b64 s[16:17], exec, s[22:23]
; %bb.271:                              ;   in Loop: Header=BB601_3 Depth=1
	v_bfi_b32 v80, s20, 1.0, v79
                                        ; implicit-def: $vgpr79
; %bb.272:                              ;   in Loop: Header=BB601_3 Depth=1
	s_andn2_saveexec_b64 s[16:17], s[16:17]
	s_cbranch_execz .LBB601_274
; %bb.273:                              ;   in Loop: Header=BB601_3 Depth=1
	v_mul_f32_e32 v80, v79, v79
	v_fmaak_f32 v81, v79, v79, 0x43bd0000
	v_fmaak_f32 v81, v80, v81, 0x46875a00
	v_fmamk_f32 v82, v80, 0x41e00000, v38
	v_fmaak_f32 v81, v80, v81, 0x4803f7c0
	v_fmaak_f32 v82, v80, v82, 0x4773a200
	;; [unrolled: 1-line block ×3, first 2 shown]
	v_mul_f32_e32 v79, v79, v81
	v_div_scale_f32 v81, s[22:23], v80, v80, v79
	v_rcp_f32_e32 v82, v81
	s_nop 0
	v_fma_f32 v83, -v81, v82, 1.0
	v_fmac_f32_e32 v82, v83, v82
	v_div_scale_f32 v83, vcc, v79, v80, v79
	v_mul_f32_e32 v84, v83, v82
	v_fma_f32 v85, -v81, v84, v83
	v_fmac_f32_e32 v84, v85, v82
	v_fma_f32 v81, -v81, v84, v83
	v_div_fmas_f32 v81, v81, v82, v84
	v_div_fixup_f32 v79, v81, v80, v79
	v_med3_f32 v80, v79, -1.0, 1.0
.LBB601_274:                            ;   in Loop: Header=BB601_3 Depth=1
	s_or_b64 exec, exec, s[16:17]
	v_fmac_f32_e32 v78, v78, v80
	v_mul_f32_e32 v78, 0.5, v78
	v_perm_b32 v13, v13, v78, s21
.LBB601_275:                            ;   in Loop: Header=BB601_3 Depth=1
	s_or_b64 exec, exec, s[14:15]
	v_and_b32_e32 v17, 0xffff0000, v17
	v_mul_f32_e32 v78, v17, v17
	v_mul_f32_e32 v78, v78, v17
	;; [unrolled: 1-line block ×3, first 2 shown]
	v_fmac_f32_e32 v79, 0x3d122279, v78
	v_cmp_ge_f32_e64 s[14:15], |v79|, s19
                                        ; implicit-def: $vgpr78
	s_and_saveexec_b64 s[16:17], s[14:15]
	s_xor_b64 s[14:15], exec, s[16:17]
	s_cbranch_execnz .LBB601_278
; %bb.276:                              ;   in Loop: Header=BB601_3 Depth=1
	s_andn2_saveexec_b64 s[14:15], s[14:15]
	s_cbranch_execnz .LBB601_279
.LBB601_277:                            ;   in Loop: Header=BB601_3 Depth=1
	s_or_b64 exec, exec, s[14:15]
	s_and_saveexec_b64 s[14:15], s[0:1]
	s_cbranch_execnz .LBB601_280
	s_branch .LBB601_285
.LBB601_278:                            ;   in Loop: Header=BB601_3 Depth=1
	v_bfi_b32 v78, s20, 1.0, v79
                                        ; implicit-def: $vgpr79
	s_andn2_saveexec_b64 s[14:15], s[14:15]
	s_cbranch_execz .LBB601_277
.LBB601_279:                            ;   in Loop: Header=BB601_3 Depth=1
	v_mul_f32_e32 v78, v79, v79
	v_fmaak_f32 v80, v79, v79, 0x43bd0000
	v_fmaak_f32 v80, v78, v80, 0x46875a00
	v_fmamk_f32 v81, v78, 0x41e00000, v38
	v_fmaak_f32 v80, v78, v80, 0x4803f7c0
	v_fmaak_f32 v81, v78, v81, 0x4773a200
	;; [unrolled: 1-line block ×3, first 2 shown]
	v_mul_f32_e32 v79, v79, v80
	v_div_scale_f32 v80, s[16:17], v78, v78, v79
	v_rcp_f32_e32 v81, v80
	s_nop 0
	v_fma_f32 v82, -v80, v81, 1.0
	v_fmac_f32_e32 v81, v82, v81
	v_div_scale_f32 v82, vcc, v79, v78, v79
	v_mul_f32_e32 v83, v82, v81
	v_fma_f32 v84, -v80, v83, v82
	v_fmac_f32_e32 v83, v84, v81
	v_fma_f32 v80, -v80, v83, v82
	v_div_fmas_f32 v80, v80, v81, v83
	v_div_fixup_f32 v78, v80, v78, v79
	v_med3_f32 v78, v78, -1.0, 1.0
	s_or_b64 exec, exec, s[14:15]
	s_and_saveexec_b64 s[14:15], s[0:1]
	s_cbranch_execz .LBB601_285
.LBB601_280:                            ;   in Loop: Header=BB601_3 Depth=1
	v_and_b32_e32 v79, 0xffff0000, v13
	v_mul_f32_e32 v80, v79, v79
	v_mul_f32_e32 v81, v80, v79
	;; [unrolled: 1-line block ×3, first 2 shown]
	v_fmac_f32_e32 v80, 0x3d122279, v81
	v_cmp_ge_f32_e64 s[16:17], |v80|, s19
                                        ; implicit-def: $vgpr81
	s_and_saveexec_b64 s[22:23], s[16:17]
	s_xor_b64 s[16:17], exec, s[22:23]
; %bb.281:                              ;   in Loop: Header=BB601_3 Depth=1
	v_bfi_b32 v81, s20, 1.0, v80
                                        ; implicit-def: $vgpr80
; %bb.282:                              ;   in Loop: Header=BB601_3 Depth=1
	s_andn2_saveexec_b64 s[16:17], s[16:17]
	s_cbranch_execz .LBB601_284
; %bb.283:                              ;   in Loop: Header=BB601_3 Depth=1
	v_mul_f32_e32 v81, v80, v80
	v_fmaak_f32 v82, v80, v80, 0x43bd0000
	v_fmaak_f32 v82, v81, v82, 0x46875a00
	v_fmamk_f32 v83, v81, 0x41e00000, v38
	v_fmaak_f32 v82, v81, v82, 0x4803f7c0
	v_fmaak_f32 v83, v81, v83, 0x4773a200
	;; [unrolled: 1-line block ×3, first 2 shown]
	v_mul_f32_e32 v80, v80, v82
	v_div_scale_f32 v82, s[22:23], v81, v81, v80
	v_rcp_f32_e32 v83, v82
	s_nop 0
	v_fma_f32 v84, -v82, v83, 1.0
	v_fmac_f32_e32 v83, v84, v83
	v_div_scale_f32 v84, vcc, v80, v81, v80
	v_mul_f32_e32 v85, v84, v83
	v_fma_f32 v86, -v82, v85, v84
	v_fmac_f32_e32 v85, v86, v83
	v_fma_f32 v82, -v82, v85, v84
	v_div_fmas_f32 v82, v82, v83, v85
	v_div_fixup_f32 v80, v82, v81, v80
	v_med3_f32 v81, v80, -1.0, 1.0
.LBB601_284:                            ;   in Loop: Header=BB601_3 Depth=1
	s_or_b64 exec, exec, s[16:17]
	v_fmac_f32_e32 v79, v79, v81
	v_mul_f32_e32 v79, 0.5, v79
	v_bfi_b32 v13, s18, v13, v79
.LBB601_285:                            ;   in Loop: Header=BB601_3 Depth=1
	s_or_b64 exec, exec, s[14:15]
	v_lshlrev_b32_e32 v79, 16, v18
	v_mul_f32_e32 v80, v79, v79
	v_mul_f32_e32 v80, v80, v79
	;; [unrolled: 1-line block ×3, first 2 shown]
	v_fmac_f32_e32 v81, 0x3d122279, v80
	v_cmp_ge_f32_e64 s[14:15], |v81|, s19
                                        ; implicit-def: $vgpr80
	s_and_saveexec_b64 s[16:17], s[14:15]
	s_xor_b64 s[14:15], exec, s[16:17]
	s_cbranch_execnz .LBB601_288
; %bb.286:                              ;   in Loop: Header=BB601_3 Depth=1
	s_andn2_saveexec_b64 s[14:15], s[14:15]
	s_cbranch_execnz .LBB601_289
.LBB601_287:                            ;   in Loop: Header=BB601_3 Depth=1
	s_or_b64 exec, exec, s[14:15]
	s_and_saveexec_b64 s[14:15], s[0:1]
	s_cbranch_execnz .LBB601_290
	s_branch .LBB601_295
.LBB601_288:                            ;   in Loop: Header=BB601_3 Depth=1
	v_bfi_b32 v80, s20, 1.0, v81
                                        ; implicit-def: $vgpr81
	s_andn2_saveexec_b64 s[14:15], s[14:15]
	s_cbranch_execz .LBB601_287
.LBB601_289:                            ;   in Loop: Header=BB601_3 Depth=1
	v_mul_f32_e32 v80, v81, v81
	v_fmaak_f32 v82, v81, v81, 0x43bd0000
	v_fmaak_f32 v82, v80, v82, 0x46875a00
	v_fmamk_f32 v83, v80, 0x41e00000, v38
	v_fmaak_f32 v82, v80, v82, 0x4803f7c0
	v_fmaak_f32 v83, v80, v83, 0x4773a200
	v_fmaak_f32 v80, v80, v83, 0x4803f7c0
	v_mul_f32_e32 v81, v81, v82
	v_div_scale_f32 v82, s[16:17], v80, v80, v81
	v_rcp_f32_e32 v83, v82
	s_nop 0
	v_fma_f32 v84, -v82, v83, 1.0
	v_fmac_f32_e32 v83, v84, v83
	v_div_scale_f32 v84, vcc, v81, v80, v81
	v_mul_f32_e32 v85, v84, v83
	v_fma_f32 v86, -v82, v85, v84
	v_fmac_f32_e32 v85, v86, v83
	v_fma_f32 v82, -v82, v85, v84
	v_div_fmas_f32 v82, v82, v83, v85
	v_div_fixup_f32 v80, v82, v80, v81
	v_med3_f32 v80, v80, -1.0, 1.0
	s_or_b64 exec, exec, s[14:15]
	s_and_saveexec_b64 s[14:15], s[0:1]
	s_cbranch_execz .LBB601_295
.LBB601_290:                            ;   in Loop: Header=BB601_3 Depth=1
	v_lshlrev_b32_e32 v81, 16, v14
	v_mul_f32_e32 v82, v81, v81
	v_mul_f32_e32 v83, v82, v81
	;; [unrolled: 1-line block ×3, first 2 shown]
	v_fmac_f32_e32 v82, 0x3d122279, v83
	v_cmp_ge_f32_e64 s[16:17], |v82|, s19
                                        ; implicit-def: $vgpr83
	s_and_saveexec_b64 s[22:23], s[16:17]
	s_xor_b64 s[16:17], exec, s[22:23]
; %bb.291:                              ;   in Loop: Header=BB601_3 Depth=1
	v_bfi_b32 v83, s20, 1.0, v82
                                        ; implicit-def: $vgpr82
; %bb.292:                              ;   in Loop: Header=BB601_3 Depth=1
	s_andn2_saveexec_b64 s[16:17], s[16:17]
	s_cbranch_execz .LBB601_294
; %bb.293:                              ;   in Loop: Header=BB601_3 Depth=1
	v_mul_f32_e32 v83, v82, v82
	v_fmaak_f32 v84, v82, v82, 0x43bd0000
	v_fmaak_f32 v84, v83, v84, 0x46875a00
	v_fmamk_f32 v85, v83, 0x41e00000, v38
	v_fmaak_f32 v84, v83, v84, 0x4803f7c0
	v_fmaak_f32 v85, v83, v85, 0x4773a200
	;; [unrolled: 1-line block ×3, first 2 shown]
	v_mul_f32_e32 v82, v82, v84
	v_div_scale_f32 v84, s[22:23], v83, v83, v82
	v_rcp_f32_e32 v85, v84
	s_nop 0
	v_fma_f32 v86, -v84, v85, 1.0
	v_fmac_f32_e32 v85, v86, v85
	v_div_scale_f32 v86, vcc, v82, v83, v82
	v_mul_f32_e32 v87, v86, v85
	v_fma_f32 v88, -v84, v87, v86
	v_fmac_f32_e32 v87, v88, v85
	v_fma_f32 v84, -v84, v87, v86
	v_div_fmas_f32 v84, v84, v85, v87
	v_div_fixup_f32 v82, v84, v83, v82
	v_med3_f32 v83, v82, -1.0, 1.0
.LBB601_294:                            ;   in Loop: Header=BB601_3 Depth=1
	s_or_b64 exec, exec, s[16:17]
	v_fmac_f32_e32 v81, v81, v83
	v_mul_f32_e32 v81, 0.5, v81
	v_perm_b32 v14, v14, v81, s21
.LBB601_295:                            ;   in Loop: Header=BB601_3 Depth=1
	s_or_b64 exec, exec, s[14:15]
	v_and_b32_e32 v18, 0xffff0000, v18
	v_mul_f32_e32 v81, v18, v18
	v_mul_f32_e32 v81, v81, v18
	;; [unrolled: 1-line block ×3, first 2 shown]
	v_fmac_f32_e32 v82, 0x3d122279, v81
	v_cmp_ge_f32_e64 s[14:15], |v82|, s19
                                        ; implicit-def: $vgpr81
	s_and_saveexec_b64 s[16:17], s[14:15]
	s_xor_b64 s[14:15], exec, s[16:17]
	s_cbranch_execnz .LBB601_298
; %bb.296:                              ;   in Loop: Header=BB601_3 Depth=1
	s_andn2_saveexec_b64 s[14:15], s[14:15]
	s_cbranch_execnz .LBB601_299
.LBB601_297:                            ;   in Loop: Header=BB601_3 Depth=1
	s_or_b64 exec, exec, s[14:15]
	s_and_saveexec_b64 s[14:15], s[0:1]
	s_cbranch_execnz .LBB601_300
	s_branch .LBB601_305
.LBB601_298:                            ;   in Loop: Header=BB601_3 Depth=1
	v_bfi_b32 v81, s20, 1.0, v82
                                        ; implicit-def: $vgpr82
	s_andn2_saveexec_b64 s[14:15], s[14:15]
	s_cbranch_execz .LBB601_297
.LBB601_299:                            ;   in Loop: Header=BB601_3 Depth=1
	v_mul_f32_e32 v81, v82, v82
	v_fmaak_f32 v83, v82, v82, 0x43bd0000
	v_fmaak_f32 v83, v81, v83, 0x46875a00
	v_fmamk_f32 v84, v81, 0x41e00000, v38
	v_fmaak_f32 v83, v81, v83, 0x4803f7c0
	v_fmaak_f32 v84, v81, v84, 0x4773a200
	v_fmaak_f32 v81, v81, v84, 0x4803f7c0
	v_mul_f32_e32 v82, v82, v83
	v_div_scale_f32 v83, s[16:17], v81, v81, v82
	v_rcp_f32_e32 v84, v83
	s_nop 0
	v_fma_f32 v85, -v83, v84, 1.0
	v_fmac_f32_e32 v84, v85, v84
	v_div_scale_f32 v85, vcc, v82, v81, v82
	v_mul_f32_e32 v86, v85, v84
	v_fma_f32 v87, -v83, v86, v85
	v_fmac_f32_e32 v86, v87, v84
	v_fma_f32 v83, -v83, v86, v85
	v_div_fmas_f32 v83, v83, v84, v86
	v_div_fixup_f32 v81, v83, v81, v82
	v_med3_f32 v81, v81, -1.0, 1.0
	s_or_b64 exec, exec, s[14:15]
	s_and_saveexec_b64 s[14:15], s[0:1]
	s_cbranch_execz .LBB601_305
.LBB601_300:                            ;   in Loop: Header=BB601_3 Depth=1
	v_and_b32_e32 v82, 0xffff0000, v14
	v_mul_f32_e32 v83, v82, v82
	v_mul_f32_e32 v84, v83, v82
	;; [unrolled: 1-line block ×3, first 2 shown]
	v_fmac_f32_e32 v83, 0x3d122279, v84
	v_cmp_ge_f32_e64 s[16:17], |v83|, s19
                                        ; implicit-def: $vgpr84
	s_and_saveexec_b64 s[22:23], s[16:17]
	s_xor_b64 s[16:17], exec, s[22:23]
; %bb.301:                              ;   in Loop: Header=BB601_3 Depth=1
	v_bfi_b32 v84, s20, 1.0, v83
                                        ; implicit-def: $vgpr83
; %bb.302:                              ;   in Loop: Header=BB601_3 Depth=1
	s_andn2_saveexec_b64 s[16:17], s[16:17]
	s_cbranch_execz .LBB601_304
; %bb.303:                              ;   in Loop: Header=BB601_3 Depth=1
	v_mul_f32_e32 v84, v83, v83
	v_fmaak_f32 v85, v83, v83, 0x43bd0000
	v_fmaak_f32 v85, v84, v85, 0x46875a00
	v_fmamk_f32 v86, v84, 0x41e00000, v38
	v_fmaak_f32 v85, v84, v85, 0x4803f7c0
	v_fmaak_f32 v86, v84, v86, 0x4773a200
	;; [unrolled: 1-line block ×3, first 2 shown]
	v_mul_f32_e32 v83, v83, v85
	v_div_scale_f32 v85, s[22:23], v84, v84, v83
	v_rcp_f32_e32 v86, v85
	s_nop 0
	v_fma_f32 v87, -v85, v86, 1.0
	v_fmac_f32_e32 v86, v87, v86
	v_div_scale_f32 v87, vcc, v83, v84, v83
	v_mul_f32_e32 v88, v87, v86
	v_fma_f32 v89, -v85, v88, v87
	v_fmac_f32_e32 v88, v89, v86
	v_fma_f32 v85, -v85, v88, v87
	v_div_fmas_f32 v85, v85, v86, v88
	v_div_fixup_f32 v83, v85, v84, v83
	v_med3_f32 v84, v83, -1.0, 1.0
.LBB601_304:                            ;   in Loop: Header=BB601_3 Depth=1
	s_or_b64 exec, exec, s[16:17]
	v_fmac_f32_e32 v82, v82, v84
	v_mul_f32_e32 v82, 0.5, v82
	v_bfi_b32 v14, s18, v14, v82
.LBB601_305:                            ;   in Loop: Header=BB601_3 Depth=1
	s_or_b64 exec, exec, s[14:15]
	v_lshlrev_b32_e32 v82, 16, v19
	v_mul_f32_e32 v83, v82, v82
	v_mul_f32_e32 v83, v83, v82
	;; [unrolled: 1-line block ×3, first 2 shown]
	v_fmac_f32_e32 v84, 0x3d122279, v83
	v_cmp_ge_f32_e64 s[14:15], |v84|, s19
                                        ; implicit-def: $vgpr83
	s_and_saveexec_b64 s[16:17], s[14:15]
	s_xor_b64 s[14:15], exec, s[16:17]
	s_cbranch_execnz .LBB601_308
; %bb.306:                              ;   in Loop: Header=BB601_3 Depth=1
	s_andn2_saveexec_b64 s[14:15], s[14:15]
	s_cbranch_execnz .LBB601_309
.LBB601_307:                            ;   in Loop: Header=BB601_3 Depth=1
	s_or_b64 exec, exec, s[14:15]
	s_and_saveexec_b64 s[14:15], s[0:1]
	s_cbranch_execnz .LBB601_310
	s_branch .LBB601_315
.LBB601_308:                            ;   in Loop: Header=BB601_3 Depth=1
	v_bfi_b32 v83, s20, 1.0, v84
                                        ; implicit-def: $vgpr84
	s_andn2_saveexec_b64 s[14:15], s[14:15]
	s_cbranch_execz .LBB601_307
.LBB601_309:                            ;   in Loop: Header=BB601_3 Depth=1
	v_mul_f32_e32 v83, v84, v84
	v_fmaak_f32 v85, v84, v84, 0x43bd0000
	v_fmaak_f32 v85, v83, v85, 0x46875a00
	v_fmamk_f32 v86, v83, 0x41e00000, v38
	v_fmaak_f32 v85, v83, v85, 0x4803f7c0
	v_fmaak_f32 v86, v83, v86, 0x4773a200
	v_fmaak_f32 v83, v83, v86, 0x4803f7c0
	v_mul_f32_e32 v84, v84, v85
	v_div_scale_f32 v85, s[16:17], v83, v83, v84
	v_rcp_f32_e32 v86, v85
	s_nop 0
	v_fma_f32 v87, -v85, v86, 1.0
	v_fmac_f32_e32 v86, v87, v86
	v_div_scale_f32 v87, vcc, v84, v83, v84
	v_mul_f32_e32 v88, v87, v86
	v_fma_f32 v89, -v85, v88, v87
	v_fmac_f32_e32 v88, v89, v86
	v_fma_f32 v85, -v85, v88, v87
	v_div_fmas_f32 v85, v85, v86, v88
	v_div_fixup_f32 v83, v85, v83, v84
	v_med3_f32 v83, v83, -1.0, 1.0
	s_or_b64 exec, exec, s[14:15]
	s_and_saveexec_b64 s[14:15], s[0:1]
	s_cbranch_execz .LBB601_315
.LBB601_310:                            ;   in Loop: Header=BB601_3 Depth=1
	v_lshlrev_b32_e32 v84, 16, v15
	v_mul_f32_e32 v85, v84, v84
	v_mul_f32_e32 v86, v85, v84
	;; [unrolled: 1-line block ×3, first 2 shown]
	v_fmac_f32_e32 v85, 0x3d122279, v86
	v_cmp_ge_f32_e64 s[16:17], |v85|, s19
                                        ; implicit-def: $vgpr86
	s_and_saveexec_b64 s[22:23], s[16:17]
	s_xor_b64 s[16:17], exec, s[22:23]
; %bb.311:                              ;   in Loop: Header=BB601_3 Depth=1
	v_bfi_b32 v86, s20, 1.0, v85
                                        ; implicit-def: $vgpr85
; %bb.312:                              ;   in Loop: Header=BB601_3 Depth=1
	s_andn2_saveexec_b64 s[16:17], s[16:17]
	s_cbranch_execz .LBB601_314
; %bb.313:                              ;   in Loop: Header=BB601_3 Depth=1
	v_mul_f32_e32 v86, v85, v85
	v_fmaak_f32 v87, v85, v85, 0x43bd0000
	v_fmaak_f32 v87, v86, v87, 0x46875a00
	v_fmamk_f32 v88, v86, 0x41e00000, v38
	v_fmaak_f32 v87, v86, v87, 0x4803f7c0
	v_fmaak_f32 v88, v86, v88, 0x4773a200
	;; [unrolled: 1-line block ×3, first 2 shown]
	v_mul_f32_e32 v85, v85, v87
	v_div_scale_f32 v87, s[22:23], v86, v86, v85
	v_rcp_f32_e32 v88, v87
	s_nop 0
	v_fma_f32 v89, -v87, v88, 1.0
	v_fmac_f32_e32 v88, v89, v88
	v_div_scale_f32 v89, vcc, v85, v86, v85
	v_mul_f32_e32 v90, v89, v88
	v_fma_f32 v91, -v87, v90, v89
	v_fmac_f32_e32 v90, v91, v88
	v_fma_f32 v87, -v87, v90, v89
	v_div_fmas_f32 v87, v87, v88, v90
	v_div_fixup_f32 v85, v87, v86, v85
	v_med3_f32 v86, v85, -1.0, 1.0
.LBB601_314:                            ;   in Loop: Header=BB601_3 Depth=1
	s_or_b64 exec, exec, s[16:17]
	v_fmac_f32_e32 v84, v84, v86
	v_mul_f32_e32 v84, 0.5, v84
	v_perm_b32 v15, v15, v84, s21
.LBB601_315:                            ;   in Loop: Header=BB601_3 Depth=1
	s_or_b64 exec, exec, s[14:15]
	v_and_b32_e32 v19, 0xffff0000, v19
	v_mul_f32_e32 v84, v19, v19
	v_mul_f32_e32 v84, v84, v19
	v_mul_f32_e32 v85, 0x3f4c422a, v19
	v_fmac_f32_e32 v85, 0x3d122279, v84
	v_cmp_ge_f32_e64 s[14:15], |v85|, s19
                                        ; implicit-def: $vgpr84
	s_and_saveexec_b64 s[16:17], s[14:15]
	s_xor_b64 s[14:15], exec, s[16:17]
	s_cbranch_execnz .LBB601_318
; %bb.316:                              ;   in Loop: Header=BB601_3 Depth=1
	s_andn2_saveexec_b64 s[14:15], s[14:15]
	s_cbranch_execnz .LBB601_319
.LBB601_317:                            ;   in Loop: Header=BB601_3 Depth=1
	s_or_b64 exec, exec, s[14:15]
	s_and_saveexec_b64 s[14:15], s[0:1]
	s_cbranch_execnz .LBB601_320
	s_branch .LBB601_325
.LBB601_318:                            ;   in Loop: Header=BB601_3 Depth=1
	v_bfi_b32 v84, s20, 1.0, v85
                                        ; implicit-def: $vgpr85
	s_andn2_saveexec_b64 s[14:15], s[14:15]
	s_cbranch_execz .LBB601_317
.LBB601_319:                            ;   in Loop: Header=BB601_3 Depth=1
	v_mul_f32_e32 v84, v85, v85
	v_fmaak_f32 v86, v85, v85, 0x43bd0000
	v_fmaak_f32 v86, v84, v86, 0x46875a00
	v_fmamk_f32 v87, v84, 0x41e00000, v38
	v_fmaak_f32 v86, v84, v86, 0x4803f7c0
	v_fmaak_f32 v87, v84, v87, 0x4773a200
	;; [unrolled: 1-line block ×3, first 2 shown]
	v_mul_f32_e32 v85, v85, v86
	v_div_scale_f32 v86, s[16:17], v84, v84, v85
	v_rcp_f32_e32 v87, v86
	s_nop 0
	v_fma_f32 v88, -v86, v87, 1.0
	v_fmac_f32_e32 v87, v88, v87
	v_div_scale_f32 v88, vcc, v85, v84, v85
	v_mul_f32_e32 v89, v88, v87
	v_fma_f32 v90, -v86, v89, v88
	v_fmac_f32_e32 v89, v90, v87
	v_fma_f32 v86, -v86, v89, v88
	v_div_fmas_f32 v86, v86, v87, v89
	v_div_fixup_f32 v84, v86, v84, v85
	v_med3_f32 v84, v84, -1.0, 1.0
	s_or_b64 exec, exec, s[14:15]
	s_and_saveexec_b64 s[14:15], s[0:1]
	s_cbranch_execz .LBB601_325
.LBB601_320:                            ;   in Loop: Header=BB601_3 Depth=1
	v_and_b32_e32 v85, 0xffff0000, v15
	v_mul_f32_e32 v86, v85, v85
	v_mul_f32_e32 v87, v86, v85
	;; [unrolled: 1-line block ×3, first 2 shown]
	v_fmac_f32_e32 v86, 0x3d122279, v87
	v_cmp_ge_f32_e64 s[16:17], |v86|, s19
                                        ; implicit-def: $vgpr87
	s_and_saveexec_b64 s[22:23], s[16:17]
	s_xor_b64 s[16:17], exec, s[22:23]
; %bb.321:                              ;   in Loop: Header=BB601_3 Depth=1
	v_bfi_b32 v87, s20, 1.0, v86
                                        ; implicit-def: $vgpr86
; %bb.322:                              ;   in Loop: Header=BB601_3 Depth=1
	s_andn2_saveexec_b64 s[16:17], s[16:17]
	s_cbranch_execz .LBB601_324
; %bb.323:                              ;   in Loop: Header=BB601_3 Depth=1
	v_mul_f32_e32 v87, v86, v86
	v_fmaak_f32 v88, v86, v86, 0x43bd0000
	v_fmaak_f32 v88, v87, v88, 0x46875a00
	v_fmamk_f32 v89, v87, 0x41e00000, v38
	v_fmaak_f32 v88, v87, v88, 0x4803f7c0
	v_fmaak_f32 v89, v87, v89, 0x4773a200
	;; [unrolled: 1-line block ×3, first 2 shown]
	v_mul_f32_e32 v86, v86, v88
	v_div_scale_f32 v88, s[22:23], v87, v87, v86
	v_rcp_f32_e32 v89, v88
	s_nop 0
	v_fma_f32 v90, -v88, v89, 1.0
	v_fmac_f32_e32 v89, v90, v89
	v_div_scale_f32 v90, vcc, v86, v87, v86
	v_mul_f32_e32 v91, v90, v89
	v_fma_f32 v92, -v88, v91, v90
	v_fmac_f32_e32 v91, v92, v89
	v_fma_f32 v88, -v88, v91, v90
	v_div_fmas_f32 v88, v88, v89, v91
	v_div_fixup_f32 v86, v88, v87, v86
	v_med3_f32 v87, v86, -1.0, 1.0
.LBB601_324:                            ;   in Loop: Header=BB601_3 Depth=1
	s_or_b64 exec, exec, s[16:17]
	v_fmac_f32_e32 v85, v85, v87
	v_mul_f32_e32 v85, 0.5, v85
	v_bfi_b32 v15, s18, v15, v85
.LBB601_325:                            ;   in Loop: Header=BB601_3 Depth=1
	s_or_b64 exec, exec, s[14:15]
	v_fmac_f32_e32 v40, v40, v41
	v_fmac_f32_e32 v43, v43, v44
	;; [unrolled: 1-line block ×20, first 2 shown]
	v_mul_f32_e32 v37, 0.5, v40
	v_fmac_f32_e32 v29, v29, v42
	v_mul_f32_e32 v39, 0.5, v43
	v_fmac_f32_e32 v30, v30, v45
	v_mul_f32_e32 v40, 0.5, v46
	v_mul_f32_e32 v31, 0.5, v31
	;; [unrolled: 1-line block ×7, first 2 shown]
	v_fmac_f32_e32 v26, v26, v57
	v_mul_f32_e32 v25, 0.5, v58
	v_fmac_f32_e32 v27, v27, v60
	v_fmac_f32_e32 v61, v61, v62
	;; [unrolled: 1-line block ×9, first 2 shown]
	v_mul_f32_e32 v53, 0.5, v73
	v_mul_f32_e32 v16, 0.5, v16
	;; [unrolled: 1-line block ×22, first 2 shown]
	v_perm_b32 v21, v31, v40, s21
	v_perm_b32 v23, v44, v43, s21
	;; [unrolled: 1-line block ×7, first 2 shown]
	v_lshl_add_u64 v[16:17], s[4:5], 0, v[34:35]
	v_perm_b32 v20, v30, v39, s21
	v_perm_b32 v19, v29, v37, s21
	;; [unrolled: 1-line block ×9, first 2 shown]
	global_store_dwordx4 v[16:17], v[40:43], off offset:-16
	global_store_dwordx4 v[16:17], v[26:29], off offset:-32
	;; [unrolled: 1-line block ×4, first 2 shown]
	s_and_saveexec_b64 s[14:15], s[0:1]
	s_cbranch_execz .LBB601_2
; %bb.326:                              ;   in Loop: Header=BB601_3 Depth=1
	global_store_dwordx4 v[16:17], v[12:15], off offset:48
	global_store_dwordx4 v[16:17], v[8:11], off offset:32
	;; [unrolled: 1-line block ×3, first 2 shown]
	global_store_dwordx4 v[16:17], v[0:3], off
	s_branch .LBB601_2
.LBB601_327:
	s_endpgm
	.section	.rodata,"a",@progbits
	.p2align	6, 0x0
	.amdhsa_kernel _ZN5aiter21activation_kernel_vecItTnPFfRKT_EXadL_ZNS_16gelu_fast_kernelItEEfS3_EELi32EEEvPS1_PS2_l
		.amdhsa_group_segment_fixed_size 0
		.amdhsa_private_segment_fixed_size 0
		.amdhsa_kernarg_size 280
		.amdhsa_user_sgpr_count 2
		.amdhsa_user_sgpr_dispatch_ptr 0
		.amdhsa_user_sgpr_queue_ptr 0
		.amdhsa_user_sgpr_kernarg_segment_ptr 1
		.amdhsa_user_sgpr_dispatch_id 0
		.amdhsa_user_sgpr_kernarg_preload_length 0
		.amdhsa_user_sgpr_kernarg_preload_offset 0
		.amdhsa_user_sgpr_private_segment_size 0
		.amdhsa_uses_dynamic_stack 0
		.amdhsa_enable_private_segment 0
		.amdhsa_system_sgpr_workgroup_id_x 1
		.amdhsa_system_sgpr_workgroup_id_y 0
		.amdhsa_system_sgpr_workgroup_id_z 0
		.amdhsa_system_sgpr_workgroup_info 0
		.amdhsa_system_vgpr_workitem_id 0
		.amdhsa_next_free_vgpr 93
		.amdhsa_next_free_sgpr 24
		.amdhsa_accum_offset 96
		.amdhsa_reserve_vcc 1
		.amdhsa_float_round_mode_32 0
		.amdhsa_float_round_mode_16_64 0
		.amdhsa_float_denorm_mode_32 3
		.amdhsa_float_denorm_mode_16_64 3
		.amdhsa_dx10_clamp 1
		.amdhsa_ieee_mode 1
		.amdhsa_fp16_overflow 0
		.amdhsa_tg_split 0
		.amdhsa_exception_fp_ieee_invalid_op 0
		.amdhsa_exception_fp_denorm_src 0
		.amdhsa_exception_fp_ieee_div_zero 0
		.amdhsa_exception_fp_ieee_overflow 0
		.amdhsa_exception_fp_ieee_underflow 0
		.amdhsa_exception_fp_ieee_inexact 0
		.amdhsa_exception_int_div_zero 0
	.end_amdhsa_kernel
	.section	.text._ZN5aiter21activation_kernel_vecItTnPFfRKT_EXadL_ZNS_16gelu_fast_kernelItEEfS3_EELi32EEEvPS1_PS2_l,"axG",@progbits,_ZN5aiter21activation_kernel_vecItTnPFfRKT_EXadL_ZNS_16gelu_fast_kernelItEEfS3_EELi32EEEvPS1_PS2_l,comdat
.Lfunc_end601:
	.size	_ZN5aiter21activation_kernel_vecItTnPFfRKT_EXadL_ZNS_16gelu_fast_kernelItEEfS3_EELi32EEEvPS1_PS2_l, .Lfunc_end601-_ZN5aiter21activation_kernel_vecItTnPFfRKT_EXadL_ZNS_16gelu_fast_kernelItEEfS3_EELi32EEEvPS1_PS2_l
                                        ; -- End function
	.section	.AMDGPU.csdata,"",@progbits
; Kernel info:
; codeLenInByte = 15740
; NumSgprs: 30
; NumVgprs: 93
; NumAgprs: 0
; TotalNumVgprs: 93
; ScratchSize: 0
; MemoryBound: 0
; FloatMode: 240
; IeeeMode: 1
; LDSByteSize: 0 bytes/workgroup (compile time only)
; SGPRBlocks: 3
; VGPRBlocks: 11
; NumSGPRsForWavesPerEU: 30
; NumVGPRsForWavesPerEU: 93
; AccumOffset: 96
; Occupancy: 5
; WaveLimiterHint : 0
; COMPUTE_PGM_RSRC2:SCRATCH_EN: 0
; COMPUTE_PGM_RSRC2:USER_SGPR: 2
; COMPUTE_PGM_RSRC2:TRAP_HANDLER: 0
; COMPUTE_PGM_RSRC2:TGID_X_EN: 1
; COMPUTE_PGM_RSRC2:TGID_Y_EN: 0
; COMPUTE_PGM_RSRC2:TGID_Z_EN: 0
; COMPUTE_PGM_RSRC2:TIDIG_COMP_CNT: 0
; COMPUTE_PGM_RSRC3_GFX90A:ACCUM_OFFSET: 23
; COMPUTE_PGM_RSRC3_GFX90A:TG_SPLIT: 0
	.section	.text._ZN5aiter21activation_kernel_vecItTnPFfRKT_EXadL_ZNS_16gelu_fast_kernelItEEfS3_EELi16EEEvPS1_PS2_l,"axG",@progbits,_ZN5aiter21activation_kernel_vecItTnPFfRKT_EXadL_ZNS_16gelu_fast_kernelItEEfS3_EELi16EEEvPS1_PS2_l,comdat
	.protected	_ZN5aiter21activation_kernel_vecItTnPFfRKT_EXadL_ZNS_16gelu_fast_kernelItEEfS3_EELi16EEEvPS1_PS2_l ; -- Begin function _ZN5aiter21activation_kernel_vecItTnPFfRKT_EXadL_ZNS_16gelu_fast_kernelItEEfS3_EELi16EEEvPS1_PS2_l
	.globl	_ZN5aiter21activation_kernel_vecItTnPFfRKT_EXadL_ZNS_16gelu_fast_kernelItEEfS3_EELi16EEEvPS1_PS2_l
	.p2align	8
	.type	_ZN5aiter21activation_kernel_vecItTnPFfRKT_EXadL_ZNS_16gelu_fast_kernelItEEfS3_EELi16EEEvPS1_PS2_l,@function
_ZN5aiter21activation_kernel_vecItTnPFfRKT_EXadL_ZNS_16gelu_fast_kernelItEEfS3_EELi16EEEvPS1_PS2_l: ; @_ZN5aiter21activation_kernel_vecItTnPFfRKT_EXadL_ZNS_16gelu_fast_kernelItEEfS3_EELi16EEEvPS1_PS2_l
; %bb.0:
	s_load_dword s3, s[0:1], 0x24
	s_load_dwordx2 s[8:9], s[0:1], 0x10
	s_add_u32 s10, s0, 24
	s_addc_u32 s11, s1, 0
	v_mov_b32_e32 v17, 0
	s_waitcnt lgkmcnt(0)
	s_and_b32 s12, s3, 0xffff
	s_mul_i32 s2, s2, s12
	v_add_lshl_u32 v16, s2, v0, 5
	s_mov_b32 s18, 0xffff
	v_cmp_gt_i64_e32 vcc, s[8:9], v[16:17]
	s_and_saveexec_b64 s[2:3], vcc
	s_cbranch_execz .LBB602_167
; %bb.1:
	s_load_dword s2, s[10:11], 0x0
	s_load_dwordx4 s[4:7], s[0:1], 0x0
	s_mov_b32 s3, 0
	v_lshl_add_u64 v[18:19], v[16:17], 1, 32
	s_mov_b64 s[10:11], 0
	s_waitcnt lgkmcnt(0)
	s_mul_i32 s2, s2, s12
	s_lshl_b32 s2, s2, 5
	s_lshl_b64 s[12:13], s[2:3], 1
	s_mov_b32 s19, 0x40733333
	s_brev_b32 s20, -2
                                        ; implicit-def: $vgpr0
                                        ; implicit-def: $vgpr0
	;; [unrolled: 1-line block ×3, first 2 shown]
	v_mov_b32_e32 v22, 0x4544e000
                                        ; implicit-def: $vgpr0
	s_mov_b32 s21, 0x7060302
                                        ; implicit-def: $vgpr0_vgpr1_vgpr2_vgpr3_vgpr4_vgpr5_vgpr6_vgpr7
	s_branch .LBB602_3
.LBB602_2:                              ;   in Loop: Header=BB602_3 Depth=1
	s_or_b64 exec, exec, s[14:15]
	v_lshl_add_u64 v[16:17], v[16:17], 0, s[2:3]
	v_cmp_le_i64_e32 vcc, s[8:9], v[16:17]
	s_or_b64 s[10:11], vcc, s[10:11]
	v_lshl_add_u64 v[18:19], v[18:19], 0, s[12:13]
	s_andn2_b64 exec, exec, s[10:11]
	s_cbranch_execz .LBB602_167
.LBB602_3:                              ; =>This Inner Loop Header: Depth=1
	v_lshl_add_u64 v[20:21], s[6:7], 0, v[18:19]
	global_load_dwordx4 v[8:11], v[20:21], off offset:-16
	global_load_dwordx4 v[12:15], v[20:21], off offset:-32
	v_lshl_add_u64 v[24:25], v[16:17], 0, 16
	v_cmp_gt_i64_e64 s[0:1], s[8:9], v[24:25]
	s_and_saveexec_b64 s[14:15], s[0:1]
	s_cbranch_execz .LBB602_5
; %bb.4:                                ;   in Loop: Header=BB602_3 Depth=1
	global_load_dwordx4 v[4:7], v[20:21], off offset:16
	global_load_dwordx4 v[0:3], v[20:21], off
.LBB602_5:                              ;   in Loop: Header=BB602_3 Depth=1
	s_or_b64 exec, exec, s[14:15]
	s_waitcnt vmcnt(0)
	v_lshlrev_b32_e32 v20, 16, v12
	v_mul_f32_e32 v21, v20, v20
	v_mul_f32_e32 v21, v21, v20
	;; [unrolled: 1-line block ×3, first 2 shown]
	v_fmac_f32_e32 v23, 0x3d122279, v21
	v_cmp_ge_f32_e64 s[14:15], |v23|, s19
                                        ; implicit-def: $vgpr21
	s_and_saveexec_b64 s[16:17], s[14:15]
	s_xor_b64 s[14:15], exec, s[16:17]
	s_cbranch_execnz .LBB602_8
; %bb.6:                                ;   in Loop: Header=BB602_3 Depth=1
	s_andn2_saveexec_b64 s[14:15], s[14:15]
	s_cbranch_execnz .LBB602_9
.LBB602_7:                              ;   in Loop: Header=BB602_3 Depth=1
	s_or_b64 exec, exec, s[14:15]
	s_and_saveexec_b64 s[14:15], s[0:1]
	s_cbranch_execnz .LBB602_10
	s_branch .LBB602_15
.LBB602_8:                              ;   in Loop: Header=BB602_3 Depth=1
	v_bfi_b32 v21, s20, 1.0, v23
                                        ; implicit-def: $vgpr23
	s_andn2_saveexec_b64 s[14:15], s[14:15]
	s_cbranch_execz .LBB602_7
.LBB602_9:                              ;   in Loop: Header=BB602_3 Depth=1
	v_mul_f32_e32 v21, v23, v23
	v_fmaak_f32 v24, v23, v23, 0x43bd0000
	v_fmaak_f32 v24, v21, v24, 0x46875a00
	v_fmamk_f32 v25, v21, 0x41e00000, v22
	v_fmaak_f32 v24, v21, v24, 0x4803f7c0
	v_fmaak_f32 v25, v21, v25, 0x4773a200
	;; [unrolled: 1-line block ×3, first 2 shown]
	v_mul_f32_e32 v23, v23, v24
	v_div_scale_f32 v24, s[16:17], v21, v21, v23
	v_rcp_f32_e32 v25, v24
	s_nop 0
	v_fma_f32 v26, -v24, v25, 1.0
	v_fmac_f32_e32 v25, v26, v25
	v_div_scale_f32 v26, vcc, v23, v21, v23
	v_mul_f32_e32 v27, v26, v25
	v_fma_f32 v28, -v24, v27, v26
	v_fmac_f32_e32 v27, v28, v25
	v_fma_f32 v24, -v24, v27, v26
	v_div_fmas_f32 v24, v24, v25, v27
	v_div_fixup_f32 v21, v24, v21, v23
	v_med3_f32 v21, v21, -1.0, 1.0
	s_or_b64 exec, exec, s[14:15]
	s_and_saveexec_b64 s[14:15], s[0:1]
	s_cbranch_execz .LBB602_15
.LBB602_10:                             ;   in Loop: Header=BB602_3 Depth=1
	v_lshlrev_b32_e32 v23, 16, v0
	v_mul_f32_e32 v24, v23, v23
	v_mul_f32_e32 v25, v24, v23
	;; [unrolled: 1-line block ×3, first 2 shown]
	v_fmac_f32_e32 v24, 0x3d122279, v25
	v_cmp_ge_f32_e64 s[16:17], |v24|, s19
                                        ; implicit-def: $vgpr25
	s_and_saveexec_b64 s[22:23], s[16:17]
	s_xor_b64 s[16:17], exec, s[22:23]
; %bb.11:                               ;   in Loop: Header=BB602_3 Depth=1
	v_bfi_b32 v25, s20, 1.0, v24
                                        ; implicit-def: $vgpr24
; %bb.12:                               ;   in Loop: Header=BB602_3 Depth=1
	s_andn2_saveexec_b64 s[16:17], s[16:17]
	s_cbranch_execz .LBB602_14
; %bb.13:                               ;   in Loop: Header=BB602_3 Depth=1
	v_mul_f32_e32 v25, v24, v24
	v_fmaak_f32 v26, v24, v24, 0x43bd0000
	v_fmaak_f32 v26, v25, v26, 0x46875a00
	v_fmamk_f32 v27, v25, 0x41e00000, v22
	v_fmaak_f32 v26, v25, v26, 0x4803f7c0
	v_fmaak_f32 v27, v25, v27, 0x4773a200
	;; [unrolled: 1-line block ×3, first 2 shown]
	v_mul_f32_e32 v24, v24, v26
	v_div_scale_f32 v26, s[22:23], v25, v25, v24
	v_rcp_f32_e32 v27, v26
	s_nop 0
	v_fma_f32 v28, -v26, v27, 1.0
	v_fmac_f32_e32 v27, v28, v27
	v_div_scale_f32 v28, vcc, v24, v25, v24
	v_mul_f32_e32 v29, v28, v27
	v_fma_f32 v30, -v26, v29, v28
	v_fmac_f32_e32 v29, v30, v27
	v_fma_f32 v26, -v26, v29, v28
	v_div_fmas_f32 v26, v26, v27, v29
	v_div_fixup_f32 v24, v26, v25, v24
	v_med3_f32 v25, v24, -1.0, 1.0
.LBB602_14:                             ;   in Loop: Header=BB602_3 Depth=1
	s_or_b64 exec, exec, s[16:17]
	v_fmac_f32_e32 v23, v23, v25
	v_mul_f32_e32 v23, 0.5, v23
	v_perm_b32 v0, v0, v23, s21
.LBB602_15:                             ;   in Loop: Header=BB602_3 Depth=1
	s_or_b64 exec, exec, s[14:15]
	v_and_b32_e32 v12, 0xffff0000, v12
	v_mul_f32_e32 v23, v12, v12
	v_mul_f32_e32 v23, v23, v12
	;; [unrolled: 1-line block ×3, first 2 shown]
	v_fmac_f32_e32 v24, 0x3d122279, v23
	v_cmp_ge_f32_e64 s[14:15], |v24|, s19
                                        ; implicit-def: $vgpr23
	s_and_saveexec_b64 s[16:17], s[14:15]
	s_xor_b64 s[14:15], exec, s[16:17]
	s_cbranch_execnz .LBB602_18
; %bb.16:                               ;   in Loop: Header=BB602_3 Depth=1
	s_andn2_saveexec_b64 s[14:15], s[14:15]
	s_cbranch_execnz .LBB602_19
.LBB602_17:                             ;   in Loop: Header=BB602_3 Depth=1
	s_or_b64 exec, exec, s[14:15]
	s_and_saveexec_b64 s[14:15], s[0:1]
	s_cbranch_execnz .LBB602_20
	s_branch .LBB602_25
.LBB602_18:                             ;   in Loop: Header=BB602_3 Depth=1
	v_bfi_b32 v23, s20, 1.0, v24
                                        ; implicit-def: $vgpr24
	s_andn2_saveexec_b64 s[14:15], s[14:15]
	s_cbranch_execz .LBB602_17
.LBB602_19:                             ;   in Loop: Header=BB602_3 Depth=1
	v_mul_f32_e32 v23, v24, v24
	v_fmaak_f32 v25, v24, v24, 0x43bd0000
	v_fmaak_f32 v25, v23, v25, 0x46875a00
	v_fmamk_f32 v26, v23, 0x41e00000, v22
	v_fmaak_f32 v25, v23, v25, 0x4803f7c0
	v_fmaak_f32 v26, v23, v26, 0x4773a200
	;; [unrolled: 1-line block ×3, first 2 shown]
	v_mul_f32_e32 v24, v24, v25
	v_div_scale_f32 v25, s[16:17], v23, v23, v24
	v_rcp_f32_e32 v26, v25
	s_nop 0
	v_fma_f32 v27, -v25, v26, 1.0
	v_fmac_f32_e32 v26, v27, v26
	v_div_scale_f32 v27, vcc, v24, v23, v24
	v_mul_f32_e32 v28, v27, v26
	v_fma_f32 v29, -v25, v28, v27
	v_fmac_f32_e32 v28, v29, v26
	v_fma_f32 v25, -v25, v28, v27
	v_div_fmas_f32 v25, v25, v26, v28
	v_div_fixup_f32 v23, v25, v23, v24
	v_med3_f32 v23, v23, -1.0, 1.0
	s_or_b64 exec, exec, s[14:15]
	s_and_saveexec_b64 s[14:15], s[0:1]
	s_cbranch_execz .LBB602_25
.LBB602_20:                             ;   in Loop: Header=BB602_3 Depth=1
	v_and_b32_e32 v24, 0xffff0000, v0
	v_mul_f32_e32 v25, v24, v24
	v_mul_f32_e32 v26, v25, v24
	;; [unrolled: 1-line block ×3, first 2 shown]
	v_fmac_f32_e32 v25, 0x3d122279, v26
	v_cmp_ge_f32_e64 s[16:17], |v25|, s19
                                        ; implicit-def: $vgpr26
	s_and_saveexec_b64 s[22:23], s[16:17]
	s_xor_b64 s[16:17], exec, s[22:23]
; %bb.21:                               ;   in Loop: Header=BB602_3 Depth=1
	v_bfi_b32 v26, s20, 1.0, v25
                                        ; implicit-def: $vgpr25
; %bb.22:                               ;   in Loop: Header=BB602_3 Depth=1
	s_andn2_saveexec_b64 s[16:17], s[16:17]
	s_cbranch_execz .LBB602_24
; %bb.23:                               ;   in Loop: Header=BB602_3 Depth=1
	v_mul_f32_e32 v26, v25, v25
	v_fmaak_f32 v27, v25, v25, 0x43bd0000
	v_fmaak_f32 v27, v26, v27, 0x46875a00
	v_fmamk_f32 v28, v26, 0x41e00000, v22
	v_fmaak_f32 v27, v26, v27, 0x4803f7c0
	v_fmaak_f32 v28, v26, v28, 0x4773a200
	;; [unrolled: 1-line block ×3, first 2 shown]
	v_mul_f32_e32 v25, v25, v27
	v_div_scale_f32 v27, s[22:23], v26, v26, v25
	v_rcp_f32_e32 v28, v27
	s_nop 0
	v_fma_f32 v29, -v27, v28, 1.0
	v_fmac_f32_e32 v28, v29, v28
	v_div_scale_f32 v29, vcc, v25, v26, v25
	v_mul_f32_e32 v30, v29, v28
	v_fma_f32 v31, -v27, v30, v29
	v_fmac_f32_e32 v30, v31, v28
	v_fma_f32 v27, -v27, v30, v29
	v_div_fmas_f32 v27, v27, v28, v30
	v_div_fixup_f32 v25, v27, v26, v25
	v_med3_f32 v26, v25, -1.0, 1.0
.LBB602_24:                             ;   in Loop: Header=BB602_3 Depth=1
	s_or_b64 exec, exec, s[16:17]
	v_fmac_f32_e32 v24, v24, v26
	v_mul_f32_e32 v24, 0.5, v24
	v_bfi_b32 v0, s18, v0, v24
.LBB602_25:                             ;   in Loop: Header=BB602_3 Depth=1
	s_or_b64 exec, exec, s[14:15]
	v_lshlrev_b32_e32 v24, 16, v13
	v_mul_f32_e32 v25, v24, v24
	v_mul_f32_e32 v25, v25, v24
	;; [unrolled: 1-line block ×3, first 2 shown]
	v_fmac_f32_e32 v26, 0x3d122279, v25
	v_cmp_ge_f32_e64 s[14:15], |v26|, s19
                                        ; implicit-def: $vgpr25
	s_and_saveexec_b64 s[16:17], s[14:15]
	s_xor_b64 s[14:15], exec, s[16:17]
	s_cbranch_execnz .LBB602_28
; %bb.26:                               ;   in Loop: Header=BB602_3 Depth=1
	s_andn2_saveexec_b64 s[14:15], s[14:15]
	s_cbranch_execnz .LBB602_29
.LBB602_27:                             ;   in Loop: Header=BB602_3 Depth=1
	s_or_b64 exec, exec, s[14:15]
	s_and_saveexec_b64 s[14:15], s[0:1]
	s_cbranch_execnz .LBB602_30
	s_branch .LBB602_35
.LBB602_28:                             ;   in Loop: Header=BB602_3 Depth=1
	v_bfi_b32 v25, s20, 1.0, v26
                                        ; implicit-def: $vgpr26
	s_andn2_saveexec_b64 s[14:15], s[14:15]
	s_cbranch_execz .LBB602_27
.LBB602_29:                             ;   in Loop: Header=BB602_3 Depth=1
	v_mul_f32_e32 v25, v26, v26
	v_fmaak_f32 v27, v26, v26, 0x43bd0000
	v_fmaak_f32 v27, v25, v27, 0x46875a00
	v_fmamk_f32 v28, v25, 0x41e00000, v22
	v_fmaak_f32 v27, v25, v27, 0x4803f7c0
	v_fmaak_f32 v28, v25, v28, 0x4773a200
	;; [unrolled: 1-line block ×3, first 2 shown]
	v_mul_f32_e32 v26, v26, v27
	v_div_scale_f32 v27, s[16:17], v25, v25, v26
	v_rcp_f32_e32 v28, v27
	s_nop 0
	v_fma_f32 v29, -v27, v28, 1.0
	v_fmac_f32_e32 v28, v29, v28
	v_div_scale_f32 v29, vcc, v26, v25, v26
	v_mul_f32_e32 v30, v29, v28
	v_fma_f32 v31, -v27, v30, v29
	v_fmac_f32_e32 v30, v31, v28
	v_fma_f32 v27, -v27, v30, v29
	v_div_fmas_f32 v27, v27, v28, v30
	v_div_fixup_f32 v25, v27, v25, v26
	v_med3_f32 v25, v25, -1.0, 1.0
	s_or_b64 exec, exec, s[14:15]
	s_and_saveexec_b64 s[14:15], s[0:1]
	s_cbranch_execz .LBB602_35
.LBB602_30:                             ;   in Loop: Header=BB602_3 Depth=1
	v_lshlrev_b32_e32 v26, 16, v1
	v_mul_f32_e32 v27, v26, v26
	v_mul_f32_e32 v28, v27, v26
	;; [unrolled: 1-line block ×3, first 2 shown]
	v_fmac_f32_e32 v27, 0x3d122279, v28
	v_cmp_ge_f32_e64 s[16:17], |v27|, s19
                                        ; implicit-def: $vgpr28
	s_and_saveexec_b64 s[22:23], s[16:17]
	s_xor_b64 s[16:17], exec, s[22:23]
; %bb.31:                               ;   in Loop: Header=BB602_3 Depth=1
	v_bfi_b32 v28, s20, 1.0, v27
                                        ; implicit-def: $vgpr27
; %bb.32:                               ;   in Loop: Header=BB602_3 Depth=1
	s_andn2_saveexec_b64 s[16:17], s[16:17]
	s_cbranch_execz .LBB602_34
; %bb.33:                               ;   in Loop: Header=BB602_3 Depth=1
	v_mul_f32_e32 v28, v27, v27
	v_fmaak_f32 v29, v27, v27, 0x43bd0000
	v_fmaak_f32 v29, v28, v29, 0x46875a00
	v_fmamk_f32 v30, v28, 0x41e00000, v22
	v_fmaak_f32 v29, v28, v29, 0x4803f7c0
	v_fmaak_f32 v30, v28, v30, 0x4773a200
	;; [unrolled: 1-line block ×3, first 2 shown]
	v_mul_f32_e32 v27, v27, v29
	v_div_scale_f32 v29, s[22:23], v28, v28, v27
	v_rcp_f32_e32 v30, v29
	s_nop 0
	v_fma_f32 v31, -v29, v30, 1.0
	v_fmac_f32_e32 v30, v31, v30
	v_div_scale_f32 v31, vcc, v27, v28, v27
	v_mul_f32_e32 v32, v31, v30
	v_fma_f32 v33, -v29, v32, v31
	v_fmac_f32_e32 v32, v33, v30
	v_fma_f32 v29, -v29, v32, v31
	v_div_fmas_f32 v29, v29, v30, v32
	v_div_fixup_f32 v27, v29, v28, v27
	v_med3_f32 v28, v27, -1.0, 1.0
.LBB602_34:                             ;   in Loop: Header=BB602_3 Depth=1
	s_or_b64 exec, exec, s[16:17]
	v_fmac_f32_e32 v26, v26, v28
	v_mul_f32_e32 v26, 0.5, v26
	v_perm_b32 v1, v1, v26, s21
.LBB602_35:                             ;   in Loop: Header=BB602_3 Depth=1
	s_or_b64 exec, exec, s[14:15]
	v_and_b32_e32 v13, 0xffff0000, v13
	v_mul_f32_e32 v26, v13, v13
	v_mul_f32_e32 v26, v26, v13
	;; [unrolled: 1-line block ×3, first 2 shown]
	v_fmac_f32_e32 v27, 0x3d122279, v26
	v_cmp_ge_f32_e64 s[14:15], |v27|, s19
                                        ; implicit-def: $vgpr26
	s_and_saveexec_b64 s[16:17], s[14:15]
	s_xor_b64 s[14:15], exec, s[16:17]
	s_cbranch_execnz .LBB602_38
; %bb.36:                               ;   in Loop: Header=BB602_3 Depth=1
	s_andn2_saveexec_b64 s[14:15], s[14:15]
	s_cbranch_execnz .LBB602_39
.LBB602_37:                             ;   in Loop: Header=BB602_3 Depth=1
	s_or_b64 exec, exec, s[14:15]
	s_and_saveexec_b64 s[14:15], s[0:1]
	s_cbranch_execnz .LBB602_40
	s_branch .LBB602_45
.LBB602_38:                             ;   in Loop: Header=BB602_3 Depth=1
	v_bfi_b32 v26, s20, 1.0, v27
                                        ; implicit-def: $vgpr27
	s_andn2_saveexec_b64 s[14:15], s[14:15]
	s_cbranch_execz .LBB602_37
.LBB602_39:                             ;   in Loop: Header=BB602_3 Depth=1
	v_mul_f32_e32 v26, v27, v27
	v_fmaak_f32 v28, v27, v27, 0x43bd0000
	v_fmaak_f32 v28, v26, v28, 0x46875a00
	v_fmamk_f32 v29, v26, 0x41e00000, v22
	v_fmaak_f32 v28, v26, v28, 0x4803f7c0
	v_fmaak_f32 v29, v26, v29, 0x4773a200
	;; [unrolled: 1-line block ×3, first 2 shown]
	v_mul_f32_e32 v27, v27, v28
	v_div_scale_f32 v28, s[16:17], v26, v26, v27
	v_rcp_f32_e32 v29, v28
	s_nop 0
	v_fma_f32 v30, -v28, v29, 1.0
	v_fmac_f32_e32 v29, v30, v29
	v_div_scale_f32 v30, vcc, v27, v26, v27
	v_mul_f32_e32 v31, v30, v29
	v_fma_f32 v32, -v28, v31, v30
	v_fmac_f32_e32 v31, v32, v29
	v_fma_f32 v28, -v28, v31, v30
	v_div_fmas_f32 v28, v28, v29, v31
	v_div_fixup_f32 v26, v28, v26, v27
	v_med3_f32 v26, v26, -1.0, 1.0
	s_or_b64 exec, exec, s[14:15]
	s_and_saveexec_b64 s[14:15], s[0:1]
	s_cbranch_execz .LBB602_45
.LBB602_40:                             ;   in Loop: Header=BB602_3 Depth=1
	v_and_b32_e32 v27, 0xffff0000, v1
	v_mul_f32_e32 v28, v27, v27
	v_mul_f32_e32 v29, v28, v27
	;; [unrolled: 1-line block ×3, first 2 shown]
	v_fmac_f32_e32 v28, 0x3d122279, v29
	v_cmp_ge_f32_e64 s[16:17], |v28|, s19
                                        ; implicit-def: $vgpr29
	s_and_saveexec_b64 s[22:23], s[16:17]
	s_xor_b64 s[16:17], exec, s[22:23]
; %bb.41:                               ;   in Loop: Header=BB602_3 Depth=1
	v_bfi_b32 v29, s20, 1.0, v28
                                        ; implicit-def: $vgpr28
; %bb.42:                               ;   in Loop: Header=BB602_3 Depth=1
	s_andn2_saveexec_b64 s[16:17], s[16:17]
	s_cbranch_execz .LBB602_44
; %bb.43:                               ;   in Loop: Header=BB602_3 Depth=1
	v_mul_f32_e32 v29, v28, v28
	v_fmaak_f32 v30, v28, v28, 0x43bd0000
	v_fmaak_f32 v30, v29, v30, 0x46875a00
	v_fmamk_f32 v31, v29, 0x41e00000, v22
	v_fmaak_f32 v30, v29, v30, 0x4803f7c0
	v_fmaak_f32 v31, v29, v31, 0x4773a200
	;; [unrolled: 1-line block ×3, first 2 shown]
	v_mul_f32_e32 v28, v28, v30
	v_div_scale_f32 v30, s[22:23], v29, v29, v28
	v_rcp_f32_e32 v31, v30
	s_nop 0
	v_fma_f32 v32, -v30, v31, 1.0
	v_fmac_f32_e32 v31, v32, v31
	v_div_scale_f32 v32, vcc, v28, v29, v28
	v_mul_f32_e32 v33, v32, v31
	v_fma_f32 v34, -v30, v33, v32
	v_fmac_f32_e32 v33, v34, v31
	v_fma_f32 v30, -v30, v33, v32
	v_div_fmas_f32 v30, v30, v31, v33
	v_div_fixup_f32 v28, v30, v29, v28
	v_med3_f32 v29, v28, -1.0, 1.0
.LBB602_44:                             ;   in Loop: Header=BB602_3 Depth=1
	s_or_b64 exec, exec, s[16:17]
	v_fmac_f32_e32 v27, v27, v29
	v_mul_f32_e32 v27, 0.5, v27
	v_bfi_b32 v1, s18, v1, v27
.LBB602_45:                             ;   in Loop: Header=BB602_3 Depth=1
	s_or_b64 exec, exec, s[14:15]
	v_lshlrev_b32_e32 v27, 16, v14
	v_mul_f32_e32 v28, v27, v27
	v_mul_f32_e32 v28, v28, v27
	;; [unrolled: 1-line block ×3, first 2 shown]
	v_fmac_f32_e32 v29, 0x3d122279, v28
	v_cmp_ge_f32_e64 s[14:15], |v29|, s19
                                        ; implicit-def: $vgpr28
	s_and_saveexec_b64 s[16:17], s[14:15]
	s_xor_b64 s[14:15], exec, s[16:17]
	s_cbranch_execnz .LBB602_48
; %bb.46:                               ;   in Loop: Header=BB602_3 Depth=1
	s_andn2_saveexec_b64 s[14:15], s[14:15]
	s_cbranch_execnz .LBB602_49
.LBB602_47:                             ;   in Loop: Header=BB602_3 Depth=1
	s_or_b64 exec, exec, s[14:15]
	s_and_saveexec_b64 s[14:15], s[0:1]
	s_cbranch_execnz .LBB602_50
	s_branch .LBB602_55
.LBB602_48:                             ;   in Loop: Header=BB602_3 Depth=1
	v_bfi_b32 v28, s20, 1.0, v29
                                        ; implicit-def: $vgpr29
	s_andn2_saveexec_b64 s[14:15], s[14:15]
	s_cbranch_execz .LBB602_47
.LBB602_49:                             ;   in Loop: Header=BB602_3 Depth=1
	v_mul_f32_e32 v28, v29, v29
	v_fmaak_f32 v30, v29, v29, 0x43bd0000
	v_fmaak_f32 v30, v28, v30, 0x46875a00
	v_fmamk_f32 v31, v28, 0x41e00000, v22
	v_fmaak_f32 v30, v28, v30, 0x4803f7c0
	v_fmaak_f32 v31, v28, v31, 0x4773a200
	;; [unrolled: 1-line block ×3, first 2 shown]
	v_mul_f32_e32 v29, v29, v30
	v_div_scale_f32 v30, s[16:17], v28, v28, v29
	v_rcp_f32_e32 v31, v30
	s_nop 0
	v_fma_f32 v32, -v30, v31, 1.0
	v_fmac_f32_e32 v31, v32, v31
	v_div_scale_f32 v32, vcc, v29, v28, v29
	v_mul_f32_e32 v33, v32, v31
	v_fma_f32 v34, -v30, v33, v32
	v_fmac_f32_e32 v33, v34, v31
	v_fma_f32 v30, -v30, v33, v32
	v_div_fmas_f32 v30, v30, v31, v33
	v_div_fixup_f32 v28, v30, v28, v29
	v_med3_f32 v28, v28, -1.0, 1.0
	s_or_b64 exec, exec, s[14:15]
	s_and_saveexec_b64 s[14:15], s[0:1]
	s_cbranch_execz .LBB602_55
.LBB602_50:                             ;   in Loop: Header=BB602_3 Depth=1
	v_lshlrev_b32_e32 v29, 16, v2
	v_mul_f32_e32 v30, v29, v29
	v_mul_f32_e32 v31, v30, v29
	;; [unrolled: 1-line block ×3, first 2 shown]
	v_fmac_f32_e32 v30, 0x3d122279, v31
	v_cmp_ge_f32_e64 s[16:17], |v30|, s19
                                        ; implicit-def: $vgpr31
	s_and_saveexec_b64 s[22:23], s[16:17]
	s_xor_b64 s[16:17], exec, s[22:23]
; %bb.51:                               ;   in Loop: Header=BB602_3 Depth=1
	v_bfi_b32 v31, s20, 1.0, v30
                                        ; implicit-def: $vgpr30
; %bb.52:                               ;   in Loop: Header=BB602_3 Depth=1
	s_andn2_saveexec_b64 s[16:17], s[16:17]
	s_cbranch_execz .LBB602_54
; %bb.53:                               ;   in Loop: Header=BB602_3 Depth=1
	v_mul_f32_e32 v31, v30, v30
	v_fmaak_f32 v32, v30, v30, 0x43bd0000
	v_fmaak_f32 v32, v31, v32, 0x46875a00
	v_fmamk_f32 v33, v31, 0x41e00000, v22
	v_fmaak_f32 v32, v31, v32, 0x4803f7c0
	v_fmaak_f32 v33, v31, v33, 0x4773a200
	;; [unrolled: 1-line block ×3, first 2 shown]
	v_mul_f32_e32 v30, v30, v32
	v_div_scale_f32 v32, s[22:23], v31, v31, v30
	v_rcp_f32_e32 v33, v32
	s_nop 0
	v_fma_f32 v34, -v32, v33, 1.0
	v_fmac_f32_e32 v33, v34, v33
	v_div_scale_f32 v34, vcc, v30, v31, v30
	v_mul_f32_e32 v35, v34, v33
	v_fma_f32 v36, -v32, v35, v34
	v_fmac_f32_e32 v35, v36, v33
	v_fma_f32 v32, -v32, v35, v34
	v_div_fmas_f32 v32, v32, v33, v35
	v_div_fixup_f32 v30, v32, v31, v30
	v_med3_f32 v31, v30, -1.0, 1.0
.LBB602_54:                             ;   in Loop: Header=BB602_3 Depth=1
	s_or_b64 exec, exec, s[16:17]
	v_fmac_f32_e32 v29, v29, v31
	v_mul_f32_e32 v29, 0.5, v29
	v_perm_b32 v2, v2, v29, s21
.LBB602_55:                             ;   in Loop: Header=BB602_3 Depth=1
	s_or_b64 exec, exec, s[14:15]
	v_and_b32_e32 v14, 0xffff0000, v14
	v_mul_f32_e32 v29, v14, v14
	v_mul_f32_e32 v29, v29, v14
	;; [unrolled: 1-line block ×3, first 2 shown]
	v_fmac_f32_e32 v30, 0x3d122279, v29
	v_cmp_ge_f32_e64 s[14:15], |v30|, s19
                                        ; implicit-def: $vgpr29
	s_and_saveexec_b64 s[16:17], s[14:15]
	s_xor_b64 s[14:15], exec, s[16:17]
	s_cbranch_execnz .LBB602_58
; %bb.56:                               ;   in Loop: Header=BB602_3 Depth=1
	s_andn2_saveexec_b64 s[14:15], s[14:15]
	s_cbranch_execnz .LBB602_59
.LBB602_57:                             ;   in Loop: Header=BB602_3 Depth=1
	s_or_b64 exec, exec, s[14:15]
	s_and_saveexec_b64 s[14:15], s[0:1]
	s_cbranch_execnz .LBB602_60
	s_branch .LBB602_65
.LBB602_58:                             ;   in Loop: Header=BB602_3 Depth=1
	v_bfi_b32 v29, s20, 1.0, v30
                                        ; implicit-def: $vgpr30
	s_andn2_saveexec_b64 s[14:15], s[14:15]
	s_cbranch_execz .LBB602_57
.LBB602_59:                             ;   in Loop: Header=BB602_3 Depth=1
	v_mul_f32_e32 v29, v30, v30
	v_fmaak_f32 v31, v30, v30, 0x43bd0000
	v_fmaak_f32 v31, v29, v31, 0x46875a00
	v_fmamk_f32 v32, v29, 0x41e00000, v22
	v_fmaak_f32 v31, v29, v31, 0x4803f7c0
	v_fmaak_f32 v32, v29, v32, 0x4773a200
	;; [unrolled: 1-line block ×3, first 2 shown]
	v_mul_f32_e32 v30, v30, v31
	v_div_scale_f32 v31, s[16:17], v29, v29, v30
	v_rcp_f32_e32 v32, v31
	s_nop 0
	v_fma_f32 v33, -v31, v32, 1.0
	v_fmac_f32_e32 v32, v33, v32
	v_div_scale_f32 v33, vcc, v30, v29, v30
	v_mul_f32_e32 v34, v33, v32
	v_fma_f32 v35, -v31, v34, v33
	v_fmac_f32_e32 v34, v35, v32
	v_fma_f32 v31, -v31, v34, v33
	v_div_fmas_f32 v31, v31, v32, v34
	v_div_fixup_f32 v29, v31, v29, v30
	v_med3_f32 v29, v29, -1.0, 1.0
	s_or_b64 exec, exec, s[14:15]
	s_and_saveexec_b64 s[14:15], s[0:1]
	s_cbranch_execz .LBB602_65
.LBB602_60:                             ;   in Loop: Header=BB602_3 Depth=1
	v_and_b32_e32 v30, 0xffff0000, v2
	v_mul_f32_e32 v31, v30, v30
	v_mul_f32_e32 v32, v31, v30
	;; [unrolled: 1-line block ×3, first 2 shown]
	v_fmac_f32_e32 v31, 0x3d122279, v32
	v_cmp_ge_f32_e64 s[16:17], |v31|, s19
                                        ; implicit-def: $vgpr32
	s_and_saveexec_b64 s[22:23], s[16:17]
	s_xor_b64 s[16:17], exec, s[22:23]
; %bb.61:                               ;   in Loop: Header=BB602_3 Depth=1
	v_bfi_b32 v32, s20, 1.0, v31
                                        ; implicit-def: $vgpr31
; %bb.62:                               ;   in Loop: Header=BB602_3 Depth=1
	s_andn2_saveexec_b64 s[16:17], s[16:17]
	s_cbranch_execz .LBB602_64
; %bb.63:                               ;   in Loop: Header=BB602_3 Depth=1
	v_mul_f32_e32 v32, v31, v31
	v_fmaak_f32 v33, v31, v31, 0x43bd0000
	v_fmaak_f32 v33, v32, v33, 0x46875a00
	v_fmamk_f32 v34, v32, 0x41e00000, v22
	v_fmaak_f32 v33, v32, v33, 0x4803f7c0
	v_fmaak_f32 v34, v32, v34, 0x4773a200
	;; [unrolled: 1-line block ×3, first 2 shown]
	v_mul_f32_e32 v31, v31, v33
	v_div_scale_f32 v33, s[22:23], v32, v32, v31
	v_rcp_f32_e32 v34, v33
	s_nop 0
	v_fma_f32 v35, -v33, v34, 1.0
	v_fmac_f32_e32 v34, v35, v34
	v_div_scale_f32 v35, vcc, v31, v32, v31
	v_mul_f32_e32 v36, v35, v34
	v_fma_f32 v37, -v33, v36, v35
	v_fmac_f32_e32 v36, v37, v34
	v_fma_f32 v33, -v33, v36, v35
	v_div_fmas_f32 v33, v33, v34, v36
	v_div_fixup_f32 v31, v33, v32, v31
	v_med3_f32 v32, v31, -1.0, 1.0
.LBB602_64:                             ;   in Loop: Header=BB602_3 Depth=1
	s_or_b64 exec, exec, s[16:17]
	v_fmac_f32_e32 v30, v30, v32
	v_mul_f32_e32 v30, 0.5, v30
	v_bfi_b32 v2, s18, v2, v30
.LBB602_65:                             ;   in Loop: Header=BB602_3 Depth=1
	s_or_b64 exec, exec, s[14:15]
	v_lshlrev_b32_e32 v30, 16, v15
	v_mul_f32_e32 v31, v30, v30
	v_mul_f32_e32 v31, v31, v30
	v_mul_f32_e32 v32, 0x3f4c422a, v30
	v_fmac_f32_e32 v32, 0x3d122279, v31
	v_cmp_ge_f32_e64 s[14:15], |v32|, s19
                                        ; implicit-def: $vgpr31
	s_and_saveexec_b64 s[16:17], s[14:15]
	s_xor_b64 s[14:15], exec, s[16:17]
	s_cbranch_execnz .LBB602_68
; %bb.66:                               ;   in Loop: Header=BB602_3 Depth=1
	s_andn2_saveexec_b64 s[14:15], s[14:15]
	s_cbranch_execnz .LBB602_69
.LBB602_67:                             ;   in Loop: Header=BB602_3 Depth=1
	s_or_b64 exec, exec, s[14:15]
	s_and_saveexec_b64 s[14:15], s[0:1]
	s_cbranch_execnz .LBB602_70
	s_branch .LBB602_75
.LBB602_68:                             ;   in Loop: Header=BB602_3 Depth=1
	v_bfi_b32 v31, s20, 1.0, v32
                                        ; implicit-def: $vgpr32
	s_andn2_saveexec_b64 s[14:15], s[14:15]
	s_cbranch_execz .LBB602_67
.LBB602_69:                             ;   in Loop: Header=BB602_3 Depth=1
	v_mul_f32_e32 v31, v32, v32
	v_fmaak_f32 v33, v32, v32, 0x43bd0000
	v_fmaak_f32 v33, v31, v33, 0x46875a00
	v_fmamk_f32 v34, v31, 0x41e00000, v22
	v_fmaak_f32 v33, v31, v33, 0x4803f7c0
	v_fmaak_f32 v34, v31, v34, 0x4773a200
	;; [unrolled: 1-line block ×3, first 2 shown]
	v_mul_f32_e32 v32, v32, v33
	v_div_scale_f32 v33, s[16:17], v31, v31, v32
	v_rcp_f32_e32 v34, v33
	s_nop 0
	v_fma_f32 v35, -v33, v34, 1.0
	v_fmac_f32_e32 v34, v35, v34
	v_div_scale_f32 v35, vcc, v32, v31, v32
	v_mul_f32_e32 v36, v35, v34
	v_fma_f32 v37, -v33, v36, v35
	v_fmac_f32_e32 v36, v37, v34
	v_fma_f32 v33, -v33, v36, v35
	v_div_fmas_f32 v33, v33, v34, v36
	v_div_fixup_f32 v31, v33, v31, v32
	v_med3_f32 v31, v31, -1.0, 1.0
	s_or_b64 exec, exec, s[14:15]
	s_and_saveexec_b64 s[14:15], s[0:1]
	s_cbranch_execz .LBB602_75
.LBB602_70:                             ;   in Loop: Header=BB602_3 Depth=1
	v_lshlrev_b32_e32 v32, 16, v3
	v_mul_f32_e32 v33, v32, v32
	v_mul_f32_e32 v34, v33, v32
	;; [unrolled: 1-line block ×3, first 2 shown]
	v_fmac_f32_e32 v33, 0x3d122279, v34
	v_cmp_ge_f32_e64 s[16:17], |v33|, s19
                                        ; implicit-def: $vgpr34
	s_and_saveexec_b64 s[22:23], s[16:17]
	s_xor_b64 s[16:17], exec, s[22:23]
; %bb.71:                               ;   in Loop: Header=BB602_3 Depth=1
	v_bfi_b32 v34, s20, 1.0, v33
                                        ; implicit-def: $vgpr33
; %bb.72:                               ;   in Loop: Header=BB602_3 Depth=1
	s_andn2_saveexec_b64 s[16:17], s[16:17]
	s_cbranch_execz .LBB602_74
; %bb.73:                               ;   in Loop: Header=BB602_3 Depth=1
	v_mul_f32_e32 v34, v33, v33
	v_fmaak_f32 v35, v33, v33, 0x43bd0000
	v_fmaak_f32 v35, v34, v35, 0x46875a00
	v_fmamk_f32 v36, v34, 0x41e00000, v22
	v_fmaak_f32 v35, v34, v35, 0x4803f7c0
	v_fmaak_f32 v36, v34, v36, 0x4773a200
	;; [unrolled: 1-line block ×3, first 2 shown]
	v_mul_f32_e32 v33, v33, v35
	v_div_scale_f32 v35, s[22:23], v34, v34, v33
	v_rcp_f32_e32 v36, v35
	s_nop 0
	v_fma_f32 v37, -v35, v36, 1.0
	v_fmac_f32_e32 v36, v37, v36
	v_div_scale_f32 v37, vcc, v33, v34, v33
	v_mul_f32_e32 v38, v37, v36
	v_fma_f32 v39, -v35, v38, v37
	v_fmac_f32_e32 v38, v39, v36
	v_fma_f32 v35, -v35, v38, v37
	v_div_fmas_f32 v35, v35, v36, v38
	v_div_fixup_f32 v33, v35, v34, v33
	v_med3_f32 v34, v33, -1.0, 1.0
.LBB602_74:                             ;   in Loop: Header=BB602_3 Depth=1
	s_or_b64 exec, exec, s[16:17]
	v_fmac_f32_e32 v32, v32, v34
	v_mul_f32_e32 v32, 0.5, v32
	v_perm_b32 v3, v3, v32, s21
.LBB602_75:                             ;   in Loop: Header=BB602_3 Depth=1
	s_or_b64 exec, exec, s[14:15]
	v_and_b32_e32 v15, 0xffff0000, v15
	v_mul_f32_e32 v32, v15, v15
	v_mul_f32_e32 v32, v32, v15
	;; [unrolled: 1-line block ×3, first 2 shown]
	v_fmac_f32_e32 v33, 0x3d122279, v32
	v_cmp_ge_f32_e64 s[14:15], |v33|, s19
                                        ; implicit-def: $vgpr32
	s_and_saveexec_b64 s[16:17], s[14:15]
	s_xor_b64 s[14:15], exec, s[16:17]
	s_cbranch_execnz .LBB602_78
; %bb.76:                               ;   in Loop: Header=BB602_3 Depth=1
	s_andn2_saveexec_b64 s[14:15], s[14:15]
	s_cbranch_execnz .LBB602_79
.LBB602_77:                             ;   in Loop: Header=BB602_3 Depth=1
	s_or_b64 exec, exec, s[14:15]
	s_and_saveexec_b64 s[14:15], s[0:1]
	s_cbranch_execnz .LBB602_80
	s_branch .LBB602_85
.LBB602_78:                             ;   in Loop: Header=BB602_3 Depth=1
	v_bfi_b32 v32, s20, 1.0, v33
                                        ; implicit-def: $vgpr33
	s_andn2_saveexec_b64 s[14:15], s[14:15]
	s_cbranch_execz .LBB602_77
.LBB602_79:                             ;   in Loop: Header=BB602_3 Depth=1
	v_mul_f32_e32 v32, v33, v33
	v_fmaak_f32 v34, v33, v33, 0x43bd0000
	v_fmaak_f32 v34, v32, v34, 0x46875a00
	v_fmamk_f32 v35, v32, 0x41e00000, v22
	v_fmaak_f32 v34, v32, v34, 0x4803f7c0
	v_fmaak_f32 v35, v32, v35, 0x4773a200
	;; [unrolled: 1-line block ×3, first 2 shown]
	v_mul_f32_e32 v33, v33, v34
	v_div_scale_f32 v34, s[16:17], v32, v32, v33
	v_rcp_f32_e32 v35, v34
	s_nop 0
	v_fma_f32 v36, -v34, v35, 1.0
	v_fmac_f32_e32 v35, v36, v35
	v_div_scale_f32 v36, vcc, v33, v32, v33
	v_mul_f32_e32 v37, v36, v35
	v_fma_f32 v38, -v34, v37, v36
	v_fmac_f32_e32 v37, v38, v35
	v_fma_f32 v34, -v34, v37, v36
	v_div_fmas_f32 v34, v34, v35, v37
	v_div_fixup_f32 v32, v34, v32, v33
	v_med3_f32 v32, v32, -1.0, 1.0
	s_or_b64 exec, exec, s[14:15]
	s_and_saveexec_b64 s[14:15], s[0:1]
	s_cbranch_execz .LBB602_85
.LBB602_80:                             ;   in Loop: Header=BB602_3 Depth=1
	v_and_b32_e32 v33, 0xffff0000, v3
	v_mul_f32_e32 v34, v33, v33
	v_mul_f32_e32 v35, v34, v33
	;; [unrolled: 1-line block ×3, first 2 shown]
	v_fmac_f32_e32 v34, 0x3d122279, v35
	v_cmp_ge_f32_e64 s[16:17], |v34|, s19
                                        ; implicit-def: $vgpr35
	s_and_saveexec_b64 s[22:23], s[16:17]
	s_xor_b64 s[16:17], exec, s[22:23]
; %bb.81:                               ;   in Loop: Header=BB602_3 Depth=1
	v_bfi_b32 v35, s20, 1.0, v34
                                        ; implicit-def: $vgpr34
; %bb.82:                               ;   in Loop: Header=BB602_3 Depth=1
	s_andn2_saveexec_b64 s[16:17], s[16:17]
	s_cbranch_execz .LBB602_84
; %bb.83:                               ;   in Loop: Header=BB602_3 Depth=1
	v_mul_f32_e32 v35, v34, v34
	v_fmaak_f32 v36, v34, v34, 0x43bd0000
	v_fmaak_f32 v36, v35, v36, 0x46875a00
	v_fmamk_f32 v37, v35, 0x41e00000, v22
	v_fmaak_f32 v36, v35, v36, 0x4803f7c0
	v_fmaak_f32 v37, v35, v37, 0x4773a200
	;; [unrolled: 1-line block ×3, first 2 shown]
	v_mul_f32_e32 v34, v34, v36
	v_div_scale_f32 v36, s[22:23], v35, v35, v34
	v_rcp_f32_e32 v37, v36
	s_nop 0
	v_fma_f32 v38, -v36, v37, 1.0
	v_fmac_f32_e32 v37, v38, v37
	v_div_scale_f32 v38, vcc, v34, v35, v34
	v_mul_f32_e32 v39, v38, v37
	v_fma_f32 v40, -v36, v39, v38
	v_fmac_f32_e32 v39, v40, v37
	v_fma_f32 v36, -v36, v39, v38
	v_div_fmas_f32 v36, v36, v37, v39
	v_div_fixup_f32 v34, v36, v35, v34
	v_med3_f32 v35, v34, -1.0, 1.0
.LBB602_84:                             ;   in Loop: Header=BB602_3 Depth=1
	s_or_b64 exec, exec, s[16:17]
	v_fmac_f32_e32 v33, v33, v35
	v_mul_f32_e32 v33, 0.5, v33
	v_bfi_b32 v3, s18, v3, v33
.LBB602_85:                             ;   in Loop: Header=BB602_3 Depth=1
	s_or_b64 exec, exec, s[14:15]
	v_lshlrev_b32_e32 v33, 16, v8
	v_mul_f32_e32 v34, v33, v33
	v_mul_f32_e32 v34, v34, v33
	;; [unrolled: 1-line block ×3, first 2 shown]
	v_fmac_f32_e32 v35, 0x3d122279, v34
	v_cmp_ge_f32_e64 s[14:15], |v35|, s19
                                        ; implicit-def: $vgpr34
	s_and_saveexec_b64 s[16:17], s[14:15]
	s_xor_b64 s[14:15], exec, s[16:17]
	s_cbranch_execnz .LBB602_88
; %bb.86:                               ;   in Loop: Header=BB602_3 Depth=1
	s_andn2_saveexec_b64 s[14:15], s[14:15]
	s_cbranch_execnz .LBB602_89
.LBB602_87:                             ;   in Loop: Header=BB602_3 Depth=1
	s_or_b64 exec, exec, s[14:15]
	s_and_saveexec_b64 s[14:15], s[0:1]
	s_cbranch_execnz .LBB602_90
	s_branch .LBB602_95
.LBB602_88:                             ;   in Loop: Header=BB602_3 Depth=1
	v_bfi_b32 v34, s20, 1.0, v35
                                        ; implicit-def: $vgpr35
	s_andn2_saveexec_b64 s[14:15], s[14:15]
	s_cbranch_execz .LBB602_87
.LBB602_89:                             ;   in Loop: Header=BB602_3 Depth=1
	v_mul_f32_e32 v34, v35, v35
	v_fmaak_f32 v36, v35, v35, 0x43bd0000
	v_fmaak_f32 v36, v34, v36, 0x46875a00
	v_fmamk_f32 v37, v34, 0x41e00000, v22
	v_fmaak_f32 v36, v34, v36, 0x4803f7c0
	v_fmaak_f32 v37, v34, v37, 0x4773a200
	;; [unrolled: 1-line block ×3, first 2 shown]
	v_mul_f32_e32 v35, v35, v36
	v_div_scale_f32 v36, s[16:17], v34, v34, v35
	v_rcp_f32_e32 v37, v36
	s_nop 0
	v_fma_f32 v38, -v36, v37, 1.0
	v_fmac_f32_e32 v37, v38, v37
	v_div_scale_f32 v38, vcc, v35, v34, v35
	v_mul_f32_e32 v39, v38, v37
	v_fma_f32 v40, -v36, v39, v38
	v_fmac_f32_e32 v39, v40, v37
	v_fma_f32 v36, -v36, v39, v38
	v_div_fmas_f32 v36, v36, v37, v39
	v_div_fixup_f32 v34, v36, v34, v35
	v_med3_f32 v34, v34, -1.0, 1.0
	s_or_b64 exec, exec, s[14:15]
	s_and_saveexec_b64 s[14:15], s[0:1]
	s_cbranch_execz .LBB602_95
.LBB602_90:                             ;   in Loop: Header=BB602_3 Depth=1
	v_lshlrev_b32_e32 v35, 16, v4
	v_mul_f32_e32 v36, v35, v35
	v_mul_f32_e32 v37, v36, v35
	;; [unrolled: 1-line block ×3, first 2 shown]
	v_fmac_f32_e32 v36, 0x3d122279, v37
	v_cmp_ge_f32_e64 s[16:17], |v36|, s19
                                        ; implicit-def: $vgpr37
	s_and_saveexec_b64 s[22:23], s[16:17]
	s_xor_b64 s[16:17], exec, s[22:23]
; %bb.91:                               ;   in Loop: Header=BB602_3 Depth=1
	v_bfi_b32 v37, s20, 1.0, v36
                                        ; implicit-def: $vgpr36
; %bb.92:                               ;   in Loop: Header=BB602_3 Depth=1
	s_andn2_saveexec_b64 s[16:17], s[16:17]
	s_cbranch_execz .LBB602_94
; %bb.93:                               ;   in Loop: Header=BB602_3 Depth=1
	v_mul_f32_e32 v37, v36, v36
	v_fmaak_f32 v38, v36, v36, 0x43bd0000
	v_fmaak_f32 v38, v37, v38, 0x46875a00
	v_fmamk_f32 v39, v37, 0x41e00000, v22
	v_fmaak_f32 v38, v37, v38, 0x4803f7c0
	v_fmaak_f32 v39, v37, v39, 0x4773a200
	;; [unrolled: 1-line block ×3, first 2 shown]
	v_mul_f32_e32 v36, v36, v38
	v_div_scale_f32 v38, s[22:23], v37, v37, v36
	v_rcp_f32_e32 v39, v38
	s_nop 0
	v_fma_f32 v40, -v38, v39, 1.0
	v_fmac_f32_e32 v39, v40, v39
	v_div_scale_f32 v40, vcc, v36, v37, v36
	v_mul_f32_e32 v41, v40, v39
	v_fma_f32 v42, -v38, v41, v40
	v_fmac_f32_e32 v41, v42, v39
	v_fma_f32 v38, -v38, v41, v40
	v_div_fmas_f32 v38, v38, v39, v41
	v_div_fixup_f32 v36, v38, v37, v36
	v_med3_f32 v37, v36, -1.0, 1.0
.LBB602_94:                             ;   in Loop: Header=BB602_3 Depth=1
	s_or_b64 exec, exec, s[16:17]
	v_fmac_f32_e32 v35, v35, v37
	v_mul_f32_e32 v35, 0.5, v35
	v_perm_b32 v4, v4, v35, s21
.LBB602_95:                             ;   in Loop: Header=BB602_3 Depth=1
	s_or_b64 exec, exec, s[14:15]
	v_and_b32_e32 v8, 0xffff0000, v8
	v_mul_f32_e32 v35, v8, v8
	v_mul_f32_e32 v35, v35, v8
	;; [unrolled: 1-line block ×3, first 2 shown]
	v_fmac_f32_e32 v36, 0x3d122279, v35
	v_cmp_ge_f32_e64 s[14:15], |v36|, s19
                                        ; implicit-def: $vgpr35
	s_and_saveexec_b64 s[16:17], s[14:15]
	s_xor_b64 s[14:15], exec, s[16:17]
	s_cbranch_execnz .LBB602_98
; %bb.96:                               ;   in Loop: Header=BB602_3 Depth=1
	s_andn2_saveexec_b64 s[14:15], s[14:15]
	s_cbranch_execnz .LBB602_99
.LBB602_97:                             ;   in Loop: Header=BB602_3 Depth=1
	s_or_b64 exec, exec, s[14:15]
	s_and_saveexec_b64 s[14:15], s[0:1]
	s_cbranch_execnz .LBB602_100
	s_branch .LBB602_105
.LBB602_98:                             ;   in Loop: Header=BB602_3 Depth=1
	v_bfi_b32 v35, s20, 1.0, v36
                                        ; implicit-def: $vgpr36
	s_andn2_saveexec_b64 s[14:15], s[14:15]
	s_cbranch_execz .LBB602_97
.LBB602_99:                             ;   in Loop: Header=BB602_3 Depth=1
	v_mul_f32_e32 v35, v36, v36
	v_fmaak_f32 v37, v36, v36, 0x43bd0000
	v_fmaak_f32 v37, v35, v37, 0x46875a00
	v_fmamk_f32 v38, v35, 0x41e00000, v22
	v_fmaak_f32 v37, v35, v37, 0x4803f7c0
	v_fmaak_f32 v38, v35, v38, 0x4773a200
	;; [unrolled: 1-line block ×3, first 2 shown]
	v_mul_f32_e32 v36, v36, v37
	v_div_scale_f32 v37, s[16:17], v35, v35, v36
	v_rcp_f32_e32 v38, v37
	s_nop 0
	v_fma_f32 v39, -v37, v38, 1.0
	v_fmac_f32_e32 v38, v39, v38
	v_div_scale_f32 v39, vcc, v36, v35, v36
	v_mul_f32_e32 v40, v39, v38
	v_fma_f32 v41, -v37, v40, v39
	v_fmac_f32_e32 v40, v41, v38
	v_fma_f32 v37, -v37, v40, v39
	v_div_fmas_f32 v37, v37, v38, v40
	v_div_fixup_f32 v35, v37, v35, v36
	v_med3_f32 v35, v35, -1.0, 1.0
	s_or_b64 exec, exec, s[14:15]
	s_and_saveexec_b64 s[14:15], s[0:1]
	s_cbranch_execz .LBB602_105
.LBB602_100:                            ;   in Loop: Header=BB602_3 Depth=1
	v_and_b32_e32 v36, 0xffff0000, v4
	v_mul_f32_e32 v37, v36, v36
	v_mul_f32_e32 v38, v37, v36
	;; [unrolled: 1-line block ×3, first 2 shown]
	v_fmac_f32_e32 v37, 0x3d122279, v38
	v_cmp_ge_f32_e64 s[16:17], |v37|, s19
                                        ; implicit-def: $vgpr38
	s_and_saveexec_b64 s[22:23], s[16:17]
	s_xor_b64 s[16:17], exec, s[22:23]
; %bb.101:                              ;   in Loop: Header=BB602_3 Depth=1
	v_bfi_b32 v38, s20, 1.0, v37
                                        ; implicit-def: $vgpr37
; %bb.102:                              ;   in Loop: Header=BB602_3 Depth=1
	s_andn2_saveexec_b64 s[16:17], s[16:17]
	s_cbranch_execz .LBB602_104
; %bb.103:                              ;   in Loop: Header=BB602_3 Depth=1
	v_mul_f32_e32 v38, v37, v37
	v_fmaak_f32 v39, v37, v37, 0x43bd0000
	v_fmaak_f32 v39, v38, v39, 0x46875a00
	v_fmamk_f32 v40, v38, 0x41e00000, v22
	v_fmaak_f32 v39, v38, v39, 0x4803f7c0
	v_fmaak_f32 v40, v38, v40, 0x4773a200
	;; [unrolled: 1-line block ×3, first 2 shown]
	v_mul_f32_e32 v37, v37, v39
	v_div_scale_f32 v39, s[22:23], v38, v38, v37
	v_rcp_f32_e32 v40, v39
	s_nop 0
	v_fma_f32 v41, -v39, v40, 1.0
	v_fmac_f32_e32 v40, v41, v40
	v_div_scale_f32 v41, vcc, v37, v38, v37
	v_mul_f32_e32 v42, v41, v40
	v_fma_f32 v43, -v39, v42, v41
	v_fmac_f32_e32 v42, v43, v40
	v_fma_f32 v39, -v39, v42, v41
	v_div_fmas_f32 v39, v39, v40, v42
	v_div_fixup_f32 v37, v39, v38, v37
	v_med3_f32 v38, v37, -1.0, 1.0
.LBB602_104:                            ;   in Loop: Header=BB602_3 Depth=1
	s_or_b64 exec, exec, s[16:17]
	v_fmac_f32_e32 v36, v36, v38
	v_mul_f32_e32 v36, 0.5, v36
	v_bfi_b32 v4, s18, v4, v36
.LBB602_105:                            ;   in Loop: Header=BB602_3 Depth=1
	s_or_b64 exec, exec, s[14:15]
	v_lshlrev_b32_e32 v36, 16, v9
	v_mul_f32_e32 v37, v36, v36
	v_mul_f32_e32 v37, v37, v36
	;; [unrolled: 1-line block ×3, first 2 shown]
	v_fmac_f32_e32 v38, 0x3d122279, v37
	v_cmp_ge_f32_e64 s[14:15], |v38|, s19
                                        ; implicit-def: $vgpr37
	s_and_saveexec_b64 s[16:17], s[14:15]
	s_xor_b64 s[14:15], exec, s[16:17]
	s_cbranch_execnz .LBB602_108
; %bb.106:                              ;   in Loop: Header=BB602_3 Depth=1
	s_andn2_saveexec_b64 s[14:15], s[14:15]
	s_cbranch_execnz .LBB602_109
.LBB602_107:                            ;   in Loop: Header=BB602_3 Depth=1
	s_or_b64 exec, exec, s[14:15]
	s_and_saveexec_b64 s[14:15], s[0:1]
	s_cbranch_execnz .LBB602_110
	s_branch .LBB602_115
.LBB602_108:                            ;   in Loop: Header=BB602_3 Depth=1
	v_bfi_b32 v37, s20, 1.0, v38
                                        ; implicit-def: $vgpr38
	s_andn2_saveexec_b64 s[14:15], s[14:15]
	s_cbranch_execz .LBB602_107
.LBB602_109:                            ;   in Loop: Header=BB602_3 Depth=1
	v_mul_f32_e32 v37, v38, v38
	v_fmaak_f32 v39, v38, v38, 0x43bd0000
	v_fmaak_f32 v39, v37, v39, 0x46875a00
	v_fmamk_f32 v40, v37, 0x41e00000, v22
	v_fmaak_f32 v39, v37, v39, 0x4803f7c0
	v_fmaak_f32 v40, v37, v40, 0x4773a200
	;; [unrolled: 1-line block ×3, first 2 shown]
	v_mul_f32_e32 v38, v38, v39
	v_div_scale_f32 v39, s[16:17], v37, v37, v38
	v_rcp_f32_e32 v40, v39
	s_nop 0
	v_fma_f32 v41, -v39, v40, 1.0
	v_fmac_f32_e32 v40, v41, v40
	v_div_scale_f32 v41, vcc, v38, v37, v38
	v_mul_f32_e32 v42, v41, v40
	v_fma_f32 v43, -v39, v42, v41
	v_fmac_f32_e32 v42, v43, v40
	v_fma_f32 v39, -v39, v42, v41
	v_div_fmas_f32 v39, v39, v40, v42
	v_div_fixup_f32 v37, v39, v37, v38
	v_med3_f32 v37, v37, -1.0, 1.0
	s_or_b64 exec, exec, s[14:15]
	s_and_saveexec_b64 s[14:15], s[0:1]
	s_cbranch_execz .LBB602_115
.LBB602_110:                            ;   in Loop: Header=BB602_3 Depth=1
	v_lshlrev_b32_e32 v38, 16, v5
	v_mul_f32_e32 v39, v38, v38
	v_mul_f32_e32 v40, v39, v38
	;; [unrolled: 1-line block ×3, first 2 shown]
	v_fmac_f32_e32 v39, 0x3d122279, v40
	v_cmp_ge_f32_e64 s[16:17], |v39|, s19
                                        ; implicit-def: $vgpr40
	s_and_saveexec_b64 s[22:23], s[16:17]
	s_xor_b64 s[16:17], exec, s[22:23]
; %bb.111:                              ;   in Loop: Header=BB602_3 Depth=1
	v_bfi_b32 v40, s20, 1.0, v39
                                        ; implicit-def: $vgpr39
; %bb.112:                              ;   in Loop: Header=BB602_3 Depth=1
	s_andn2_saveexec_b64 s[16:17], s[16:17]
	s_cbranch_execz .LBB602_114
; %bb.113:                              ;   in Loop: Header=BB602_3 Depth=1
	v_mul_f32_e32 v40, v39, v39
	v_fmaak_f32 v41, v39, v39, 0x43bd0000
	v_fmaak_f32 v41, v40, v41, 0x46875a00
	v_fmamk_f32 v42, v40, 0x41e00000, v22
	v_fmaak_f32 v41, v40, v41, 0x4803f7c0
	v_fmaak_f32 v42, v40, v42, 0x4773a200
	;; [unrolled: 1-line block ×3, first 2 shown]
	v_mul_f32_e32 v39, v39, v41
	v_div_scale_f32 v41, s[22:23], v40, v40, v39
	v_rcp_f32_e32 v42, v41
	s_nop 0
	v_fma_f32 v43, -v41, v42, 1.0
	v_fmac_f32_e32 v42, v43, v42
	v_div_scale_f32 v43, vcc, v39, v40, v39
	v_mul_f32_e32 v44, v43, v42
	v_fma_f32 v45, -v41, v44, v43
	v_fmac_f32_e32 v44, v45, v42
	v_fma_f32 v41, -v41, v44, v43
	v_div_fmas_f32 v41, v41, v42, v44
	v_div_fixup_f32 v39, v41, v40, v39
	v_med3_f32 v40, v39, -1.0, 1.0
.LBB602_114:                            ;   in Loop: Header=BB602_3 Depth=1
	s_or_b64 exec, exec, s[16:17]
	v_fmac_f32_e32 v38, v38, v40
	v_mul_f32_e32 v38, 0.5, v38
	v_perm_b32 v5, v5, v38, s21
.LBB602_115:                            ;   in Loop: Header=BB602_3 Depth=1
	s_or_b64 exec, exec, s[14:15]
	v_and_b32_e32 v9, 0xffff0000, v9
	v_mul_f32_e32 v38, v9, v9
	v_mul_f32_e32 v38, v38, v9
	;; [unrolled: 1-line block ×3, first 2 shown]
	v_fmac_f32_e32 v39, 0x3d122279, v38
	v_cmp_ge_f32_e64 s[14:15], |v39|, s19
                                        ; implicit-def: $vgpr38
	s_and_saveexec_b64 s[16:17], s[14:15]
	s_xor_b64 s[14:15], exec, s[16:17]
	s_cbranch_execnz .LBB602_118
; %bb.116:                              ;   in Loop: Header=BB602_3 Depth=1
	s_andn2_saveexec_b64 s[14:15], s[14:15]
	s_cbranch_execnz .LBB602_119
.LBB602_117:                            ;   in Loop: Header=BB602_3 Depth=1
	s_or_b64 exec, exec, s[14:15]
	s_and_saveexec_b64 s[14:15], s[0:1]
	s_cbranch_execnz .LBB602_120
	s_branch .LBB602_125
.LBB602_118:                            ;   in Loop: Header=BB602_3 Depth=1
	v_bfi_b32 v38, s20, 1.0, v39
                                        ; implicit-def: $vgpr39
	s_andn2_saveexec_b64 s[14:15], s[14:15]
	s_cbranch_execz .LBB602_117
.LBB602_119:                            ;   in Loop: Header=BB602_3 Depth=1
	v_mul_f32_e32 v38, v39, v39
	v_fmaak_f32 v40, v39, v39, 0x43bd0000
	v_fmaak_f32 v40, v38, v40, 0x46875a00
	v_fmamk_f32 v41, v38, 0x41e00000, v22
	v_fmaak_f32 v40, v38, v40, 0x4803f7c0
	v_fmaak_f32 v41, v38, v41, 0x4773a200
	v_fmaak_f32 v38, v38, v41, 0x4803f7c0
	v_mul_f32_e32 v39, v39, v40
	v_div_scale_f32 v40, s[16:17], v38, v38, v39
	v_rcp_f32_e32 v41, v40
	s_nop 0
	v_fma_f32 v42, -v40, v41, 1.0
	v_fmac_f32_e32 v41, v42, v41
	v_div_scale_f32 v42, vcc, v39, v38, v39
	v_mul_f32_e32 v43, v42, v41
	v_fma_f32 v44, -v40, v43, v42
	v_fmac_f32_e32 v43, v44, v41
	v_fma_f32 v40, -v40, v43, v42
	v_div_fmas_f32 v40, v40, v41, v43
	v_div_fixup_f32 v38, v40, v38, v39
	v_med3_f32 v38, v38, -1.0, 1.0
	s_or_b64 exec, exec, s[14:15]
	s_and_saveexec_b64 s[14:15], s[0:1]
	s_cbranch_execz .LBB602_125
.LBB602_120:                            ;   in Loop: Header=BB602_3 Depth=1
	v_and_b32_e32 v39, 0xffff0000, v5
	v_mul_f32_e32 v40, v39, v39
	v_mul_f32_e32 v41, v40, v39
	;; [unrolled: 1-line block ×3, first 2 shown]
	v_fmac_f32_e32 v40, 0x3d122279, v41
	v_cmp_ge_f32_e64 s[16:17], |v40|, s19
                                        ; implicit-def: $vgpr41
	s_and_saveexec_b64 s[22:23], s[16:17]
	s_xor_b64 s[16:17], exec, s[22:23]
; %bb.121:                              ;   in Loop: Header=BB602_3 Depth=1
	v_bfi_b32 v41, s20, 1.0, v40
                                        ; implicit-def: $vgpr40
; %bb.122:                              ;   in Loop: Header=BB602_3 Depth=1
	s_andn2_saveexec_b64 s[16:17], s[16:17]
	s_cbranch_execz .LBB602_124
; %bb.123:                              ;   in Loop: Header=BB602_3 Depth=1
	v_mul_f32_e32 v41, v40, v40
	v_fmaak_f32 v42, v40, v40, 0x43bd0000
	v_fmaak_f32 v42, v41, v42, 0x46875a00
	v_fmamk_f32 v43, v41, 0x41e00000, v22
	v_fmaak_f32 v42, v41, v42, 0x4803f7c0
	v_fmaak_f32 v43, v41, v43, 0x4773a200
	v_fmaak_f32 v41, v41, v43, 0x4803f7c0
	v_mul_f32_e32 v40, v40, v42
	v_div_scale_f32 v42, s[22:23], v41, v41, v40
	v_rcp_f32_e32 v43, v42
	s_nop 0
	v_fma_f32 v44, -v42, v43, 1.0
	v_fmac_f32_e32 v43, v44, v43
	v_div_scale_f32 v44, vcc, v40, v41, v40
	v_mul_f32_e32 v45, v44, v43
	v_fma_f32 v46, -v42, v45, v44
	v_fmac_f32_e32 v45, v46, v43
	v_fma_f32 v42, -v42, v45, v44
	v_div_fmas_f32 v42, v42, v43, v45
	v_div_fixup_f32 v40, v42, v41, v40
	v_med3_f32 v41, v40, -1.0, 1.0
.LBB602_124:                            ;   in Loop: Header=BB602_3 Depth=1
	s_or_b64 exec, exec, s[16:17]
	v_fmac_f32_e32 v39, v39, v41
	v_mul_f32_e32 v39, 0.5, v39
	v_bfi_b32 v5, s18, v5, v39
.LBB602_125:                            ;   in Loop: Header=BB602_3 Depth=1
	s_or_b64 exec, exec, s[14:15]
	v_lshlrev_b32_e32 v39, 16, v10
	v_mul_f32_e32 v40, v39, v39
	v_mul_f32_e32 v40, v40, v39
	;; [unrolled: 1-line block ×3, first 2 shown]
	v_fmac_f32_e32 v41, 0x3d122279, v40
	v_cmp_ge_f32_e64 s[14:15], |v41|, s19
                                        ; implicit-def: $vgpr40
	s_and_saveexec_b64 s[16:17], s[14:15]
	s_xor_b64 s[14:15], exec, s[16:17]
	s_cbranch_execnz .LBB602_128
; %bb.126:                              ;   in Loop: Header=BB602_3 Depth=1
	s_andn2_saveexec_b64 s[14:15], s[14:15]
	s_cbranch_execnz .LBB602_129
.LBB602_127:                            ;   in Loop: Header=BB602_3 Depth=1
	s_or_b64 exec, exec, s[14:15]
	s_and_saveexec_b64 s[14:15], s[0:1]
	s_cbranch_execnz .LBB602_130
	s_branch .LBB602_135
.LBB602_128:                            ;   in Loop: Header=BB602_3 Depth=1
	v_bfi_b32 v40, s20, 1.0, v41
                                        ; implicit-def: $vgpr41
	s_andn2_saveexec_b64 s[14:15], s[14:15]
	s_cbranch_execz .LBB602_127
.LBB602_129:                            ;   in Loop: Header=BB602_3 Depth=1
	v_mul_f32_e32 v40, v41, v41
	v_fmaak_f32 v42, v41, v41, 0x43bd0000
	v_fmaak_f32 v42, v40, v42, 0x46875a00
	v_fmamk_f32 v43, v40, 0x41e00000, v22
	v_fmaak_f32 v42, v40, v42, 0x4803f7c0
	v_fmaak_f32 v43, v40, v43, 0x4773a200
	v_fmaak_f32 v40, v40, v43, 0x4803f7c0
	v_mul_f32_e32 v41, v41, v42
	v_div_scale_f32 v42, s[16:17], v40, v40, v41
	v_rcp_f32_e32 v43, v42
	s_nop 0
	v_fma_f32 v44, -v42, v43, 1.0
	v_fmac_f32_e32 v43, v44, v43
	v_div_scale_f32 v44, vcc, v41, v40, v41
	v_mul_f32_e32 v45, v44, v43
	v_fma_f32 v46, -v42, v45, v44
	v_fmac_f32_e32 v45, v46, v43
	v_fma_f32 v42, -v42, v45, v44
	v_div_fmas_f32 v42, v42, v43, v45
	v_div_fixup_f32 v40, v42, v40, v41
	v_med3_f32 v40, v40, -1.0, 1.0
	s_or_b64 exec, exec, s[14:15]
	s_and_saveexec_b64 s[14:15], s[0:1]
	s_cbranch_execz .LBB602_135
.LBB602_130:                            ;   in Loop: Header=BB602_3 Depth=1
	v_lshlrev_b32_e32 v41, 16, v6
	v_mul_f32_e32 v42, v41, v41
	v_mul_f32_e32 v43, v42, v41
	;; [unrolled: 1-line block ×3, first 2 shown]
	v_fmac_f32_e32 v42, 0x3d122279, v43
	v_cmp_ge_f32_e64 s[16:17], |v42|, s19
                                        ; implicit-def: $vgpr43
	s_and_saveexec_b64 s[22:23], s[16:17]
	s_xor_b64 s[16:17], exec, s[22:23]
; %bb.131:                              ;   in Loop: Header=BB602_3 Depth=1
	v_bfi_b32 v43, s20, 1.0, v42
                                        ; implicit-def: $vgpr42
; %bb.132:                              ;   in Loop: Header=BB602_3 Depth=1
	s_andn2_saveexec_b64 s[16:17], s[16:17]
	s_cbranch_execz .LBB602_134
; %bb.133:                              ;   in Loop: Header=BB602_3 Depth=1
	v_mul_f32_e32 v43, v42, v42
	v_fmaak_f32 v44, v42, v42, 0x43bd0000
	v_fmaak_f32 v44, v43, v44, 0x46875a00
	v_fmamk_f32 v45, v43, 0x41e00000, v22
	v_fmaak_f32 v44, v43, v44, 0x4803f7c0
	v_fmaak_f32 v45, v43, v45, 0x4773a200
	;; [unrolled: 1-line block ×3, first 2 shown]
	v_mul_f32_e32 v42, v42, v44
	v_div_scale_f32 v44, s[22:23], v43, v43, v42
	v_rcp_f32_e32 v45, v44
	s_nop 0
	v_fma_f32 v46, -v44, v45, 1.0
	v_fmac_f32_e32 v45, v46, v45
	v_div_scale_f32 v46, vcc, v42, v43, v42
	v_mul_f32_e32 v47, v46, v45
	v_fma_f32 v48, -v44, v47, v46
	v_fmac_f32_e32 v47, v48, v45
	v_fma_f32 v44, -v44, v47, v46
	v_div_fmas_f32 v44, v44, v45, v47
	v_div_fixup_f32 v42, v44, v43, v42
	v_med3_f32 v43, v42, -1.0, 1.0
.LBB602_134:                            ;   in Loop: Header=BB602_3 Depth=1
	s_or_b64 exec, exec, s[16:17]
	v_fmac_f32_e32 v41, v41, v43
	v_mul_f32_e32 v41, 0.5, v41
	v_perm_b32 v6, v6, v41, s21
.LBB602_135:                            ;   in Loop: Header=BB602_3 Depth=1
	s_or_b64 exec, exec, s[14:15]
	v_and_b32_e32 v10, 0xffff0000, v10
	v_mul_f32_e32 v41, v10, v10
	v_mul_f32_e32 v41, v41, v10
	;; [unrolled: 1-line block ×3, first 2 shown]
	v_fmac_f32_e32 v42, 0x3d122279, v41
	v_cmp_ge_f32_e64 s[14:15], |v42|, s19
                                        ; implicit-def: $vgpr41
	s_and_saveexec_b64 s[16:17], s[14:15]
	s_xor_b64 s[14:15], exec, s[16:17]
	s_cbranch_execnz .LBB602_138
; %bb.136:                              ;   in Loop: Header=BB602_3 Depth=1
	s_andn2_saveexec_b64 s[14:15], s[14:15]
	s_cbranch_execnz .LBB602_139
.LBB602_137:                            ;   in Loop: Header=BB602_3 Depth=1
	s_or_b64 exec, exec, s[14:15]
	s_and_saveexec_b64 s[14:15], s[0:1]
	s_cbranch_execnz .LBB602_140
	s_branch .LBB602_145
.LBB602_138:                            ;   in Loop: Header=BB602_3 Depth=1
	v_bfi_b32 v41, s20, 1.0, v42
                                        ; implicit-def: $vgpr42
	s_andn2_saveexec_b64 s[14:15], s[14:15]
	s_cbranch_execz .LBB602_137
.LBB602_139:                            ;   in Loop: Header=BB602_3 Depth=1
	v_mul_f32_e32 v41, v42, v42
	v_fmaak_f32 v43, v42, v42, 0x43bd0000
	v_fmaak_f32 v43, v41, v43, 0x46875a00
	v_fmamk_f32 v44, v41, 0x41e00000, v22
	v_fmaak_f32 v43, v41, v43, 0x4803f7c0
	v_fmaak_f32 v44, v41, v44, 0x4773a200
	v_fmaak_f32 v41, v41, v44, 0x4803f7c0
	v_mul_f32_e32 v42, v42, v43
	v_div_scale_f32 v43, s[16:17], v41, v41, v42
	v_rcp_f32_e32 v44, v43
	s_nop 0
	v_fma_f32 v45, -v43, v44, 1.0
	v_fmac_f32_e32 v44, v45, v44
	v_div_scale_f32 v45, vcc, v42, v41, v42
	v_mul_f32_e32 v46, v45, v44
	v_fma_f32 v47, -v43, v46, v45
	v_fmac_f32_e32 v46, v47, v44
	v_fma_f32 v43, -v43, v46, v45
	v_div_fmas_f32 v43, v43, v44, v46
	v_div_fixup_f32 v41, v43, v41, v42
	v_med3_f32 v41, v41, -1.0, 1.0
	s_or_b64 exec, exec, s[14:15]
	s_and_saveexec_b64 s[14:15], s[0:1]
	s_cbranch_execz .LBB602_145
.LBB602_140:                            ;   in Loop: Header=BB602_3 Depth=1
	v_and_b32_e32 v42, 0xffff0000, v6
	v_mul_f32_e32 v43, v42, v42
	v_mul_f32_e32 v44, v43, v42
	;; [unrolled: 1-line block ×3, first 2 shown]
	v_fmac_f32_e32 v43, 0x3d122279, v44
	v_cmp_ge_f32_e64 s[16:17], |v43|, s19
                                        ; implicit-def: $vgpr44
	s_and_saveexec_b64 s[22:23], s[16:17]
	s_xor_b64 s[16:17], exec, s[22:23]
; %bb.141:                              ;   in Loop: Header=BB602_3 Depth=1
	v_bfi_b32 v44, s20, 1.0, v43
                                        ; implicit-def: $vgpr43
; %bb.142:                              ;   in Loop: Header=BB602_3 Depth=1
	s_andn2_saveexec_b64 s[16:17], s[16:17]
	s_cbranch_execz .LBB602_144
; %bb.143:                              ;   in Loop: Header=BB602_3 Depth=1
	v_mul_f32_e32 v44, v43, v43
	v_fmaak_f32 v45, v43, v43, 0x43bd0000
	v_fmaak_f32 v45, v44, v45, 0x46875a00
	v_fmamk_f32 v46, v44, 0x41e00000, v22
	v_fmaak_f32 v45, v44, v45, 0x4803f7c0
	v_fmaak_f32 v46, v44, v46, 0x4773a200
	;; [unrolled: 1-line block ×3, first 2 shown]
	v_mul_f32_e32 v43, v43, v45
	v_div_scale_f32 v45, s[22:23], v44, v44, v43
	v_rcp_f32_e32 v46, v45
	s_nop 0
	v_fma_f32 v47, -v45, v46, 1.0
	v_fmac_f32_e32 v46, v47, v46
	v_div_scale_f32 v47, vcc, v43, v44, v43
	v_mul_f32_e32 v48, v47, v46
	v_fma_f32 v49, -v45, v48, v47
	v_fmac_f32_e32 v48, v49, v46
	v_fma_f32 v45, -v45, v48, v47
	v_div_fmas_f32 v45, v45, v46, v48
	v_div_fixup_f32 v43, v45, v44, v43
	v_med3_f32 v44, v43, -1.0, 1.0
.LBB602_144:                            ;   in Loop: Header=BB602_3 Depth=1
	s_or_b64 exec, exec, s[16:17]
	v_fmac_f32_e32 v42, v42, v44
	v_mul_f32_e32 v42, 0.5, v42
	v_bfi_b32 v6, s18, v6, v42
.LBB602_145:                            ;   in Loop: Header=BB602_3 Depth=1
	s_or_b64 exec, exec, s[14:15]
	v_lshlrev_b32_e32 v42, 16, v11
	v_mul_f32_e32 v43, v42, v42
	v_mul_f32_e32 v43, v43, v42
	;; [unrolled: 1-line block ×3, first 2 shown]
	v_fmac_f32_e32 v44, 0x3d122279, v43
	v_cmp_ge_f32_e64 s[14:15], |v44|, s19
                                        ; implicit-def: $vgpr43
	s_and_saveexec_b64 s[16:17], s[14:15]
	s_xor_b64 s[14:15], exec, s[16:17]
	s_cbranch_execnz .LBB602_148
; %bb.146:                              ;   in Loop: Header=BB602_3 Depth=1
	s_andn2_saveexec_b64 s[14:15], s[14:15]
	s_cbranch_execnz .LBB602_149
.LBB602_147:                            ;   in Loop: Header=BB602_3 Depth=1
	s_or_b64 exec, exec, s[14:15]
	s_and_saveexec_b64 s[14:15], s[0:1]
	s_cbranch_execnz .LBB602_150
	s_branch .LBB602_155
.LBB602_148:                            ;   in Loop: Header=BB602_3 Depth=1
	v_bfi_b32 v43, s20, 1.0, v44
                                        ; implicit-def: $vgpr44
	s_andn2_saveexec_b64 s[14:15], s[14:15]
	s_cbranch_execz .LBB602_147
.LBB602_149:                            ;   in Loop: Header=BB602_3 Depth=1
	v_mul_f32_e32 v43, v44, v44
	v_fmaak_f32 v45, v44, v44, 0x43bd0000
	v_fmaak_f32 v45, v43, v45, 0x46875a00
	v_fmamk_f32 v46, v43, 0x41e00000, v22
	v_fmaak_f32 v45, v43, v45, 0x4803f7c0
	v_fmaak_f32 v46, v43, v46, 0x4773a200
	;; [unrolled: 1-line block ×3, first 2 shown]
	v_mul_f32_e32 v44, v44, v45
	v_div_scale_f32 v45, s[16:17], v43, v43, v44
	v_rcp_f32_e32 v46, v45
	s_nop 0
	v_fma_f32 v47, -v45, v46, 1.0
	v_fmac_f32_e32 v46, v47, v46
	v_div_scale_f32 v47, vcc, v44, v43, v44
	v_mul_f32_e32 v48, v47, v46
	v_fma_f32 v49, -v45, v48, v47
	v_fmac_f32_e32 v48, v49, v46
	v_fma_f32 v45, -v45, v48, v47
	v_div_fmas_f32 v45, v45, v46, v48
	v_div_fixup_f32 v43, v45, v43, v44
	v_med3_f32 v43, v43, -1.0, 1.0
	s_or_b64 exec, exec, s[14:15]
	s_and_saveexec_b64 s[14:15], s[0:1]
	s_cbranch_execz .LBB602_155
.LBB602_150:                            ;   in Loop: Header=BB602_3 Depth=1
	v_lshlrev_b32_e32 v44, 16, v7
	v_mul_f32_e32 v45, v44, v44
	v_mul_f32_e32 v46, v45, v44
	v_mul_f32_e32 v45, 0x3f4c422a, v44
	v_fmac_f32_e32 v45, 0x3d122279, v46
	v_cmp_ge_f32_e64 s[16:17], |v45|, s19
                                        ; implicit-def: $vgpr46
	s_and_saveexec_b64 s[22:23], s[16:17]
	s_xor_b64 s[16:17], exec, s[22:23]
; %bb.151:                              ;   in Loop: Header=BB602_3 Depth=1
	v_bfi_b32 v46, s20, 1.0, v45
                                        ; implicit-def: $vgpr45
; %bb.152:                              ;   in Loop: Header=BB602_3 Depth=1
	s_andn2_saveexec_b64 s[16:17], s[16:17]
	s_cbranch_execz .LBB602_154
; %bb.153:                              ;   in Loop: Header=BB602_3 Depth=1
	v_mul_f32_e32 v46, v45, v45
	v_fmaak_f32 v47, v45, v45, 0x43bd0000
	v_fmaak_f32 v47, v46, v47, 0x46875a00
	v_fmamk_f32 v48, v46, 0x41e00000, v22
	v_fmaak_f32 v47, v46, v47, 0x4803f7c0
	v_fmaak_f32 v48, v46, v48, 0x4773a200
	;; [unrolled: 1-line block ×3, first 2 shown]
	v_mul_f32_e32 v45, v45, v47
	v_div_scale_f32 v47, s[22:23], v46, v46, v45
	v_rcp_f32_e32 v48, v47
	s_nop 0
	v_fma_f32 v49, -v47, v48, 1.0
	v_fmac_f32_e32 v48, v49, v48
	v_div_scale_f32 v49, vcc, v45, v46, v45
	v_mul_f32_e32 v50, v49, v48
	v_fma_f32 v51, -v47, v50, v49
	v_fmac_f32_e32 v50, v51, v48
	v_fma_f32 v47, -v47, v50, v49
	v_div_fmas_f32 v47, v47, v48, v50
	v_div_fixup_f32 v45, v47, v46, v45
	v_med3_f32 v46, v45, -1.0, 1.0
.LBB602_154:                            ;   in Loop: Header=BB602_3 Depth=1
	s_or_b64 exec, exec, s[16:17]
	v_fmac_f32_e32 v44, v44, v46
	v_mul_f32_e32 v44, 0.5, v44
	v_perm_b32 v7, v7, v44, s21
.LBB602_155:                            ;   in Loop: Header=BB602_3 Depth=1
	s_or_b64 exec, exec, s[14:15]
	v_and_b32_e32 v11, 0xffff0000, v11
	v_mul_f32_e32 v44, v11, v11
	v_mul_f32_e32 v44, v44, v11
	;; [unrolled: 1-line block ×3, first 2 shown]
	v_fmac_f32_e32 v45, 0x3d122279, v44
	v_cmp_ge_f32_e64 s[14:15], |v45|, s19
                                        ; implicit-def: $vgpr44
	s_and_saveexec_b64 s[16:17], s[14:15]
	s_xor_b64 s[14:15], exec, s[16:17]
	s_cbranch_execnz .LBB602_158
; %bb.156:                              ;   in Loop: Header=BB602_3 Depth=1
	s_andn2_saveexec_b64 s[14:15], s[14:15]
	s_cbranch_execnz .LBB602_159
.LBB602_157:                            ;   in Loop: Header=BB602_3 Depth=1
	s_or_b64 exec, exec, s[14:15]
	s_and_saveexec_b64 s[14:15], s[0:1]
	s_cbranch_execnz .LBB602_160
	s_branch .LBB602_165
.LBB602_158:                            ;   in Loop: Header=BB602_3 Depth=1
	v_bfi_b32 v44, s20, 1.0, v45
                                        ; implicit-def: $vgpr45
	s_andn2_saveexec_b64 s[14:15], s[14:15]
	s_cbranch_execz .LBB602_157
.LBB602_159:                            ;   in Loop: Header=BB602_3 Depth=1
	v_mul_f32_e32 v44, v45, v45
	v_fmaak_f32 v46, v45, v45, 0x43bd0000
	v_fmaak_f32 v46, v44, v46, 0x46875a00
	v_fmamk_f32 v47, v44, 0x41e00000, v22
	v_fmaak_f32 v46, v44, v46, 0x4803f7c0
	v_fmaak_f32 v47, v44, v47, 0x4773a200
	v_fmaak_f32 v44, v44, v47, 0x4803f7c0
	v_mul_f32_e32 v45, v45, v46
	v_div_scale_f32 v46, s[16:17], v44, v44, v45
	v_rcp_f32_e32 v47, v46
	s_nop 0
	v_fma_f32 v48, -v46, v47, 1.0
	v_fmac_f32_e32 v47, v48, v47
	v_div_scale_f32 v48, vcc, v45, v44, v45
	v_mul_f32_e32 v49, v48, v47
	v_fma_f32 v50, -v46, v49, v48
	v_fmac_f32_e32 v49, v50, v47
	v_fma_f32 v46, -v46, v49, v48
	v_div_fmas_f32 v46, v46, v47, v49
	v_div_fixup_f32 v44, v46, v44, v45
	v_med3_f32 v44, v44, -1.0, 1.0
	s_or_b64 exec, exec, s[14:15]
	s_and_saveexec_b64 s[14:15], s[0:1]
	s_cbranch_execz .LBB602_165
.LBB602_160:                            ;   in Loop: Header=BB602_3 Depth=1
	v_and_b32_e32 v45, 0xffff0000, v7
	v_mul_f32_e32 v46, v45, v45
	v_mul_f32_e32 v47, v46, v45
	;; [unrolled: 1-line block ×3, first 2 shown]
	v_fmac_f32_e32 v46, 0x3d122279, v47
	v_cmp_ge_f32_e64 s[16:17], |v46|, s19
                                        ; implicit-def: $vgpr47
	s_and_saveexec_b64 s[22:23], s[16:17]
	s_xor_b64 s[16:17], exec, s[22:23]
; %bb.161:                              ;   in Loop: Header=BB602_3 Depth=1
	v_bfi_b32 v47, s20, 1.0, v46
                                        ; implicit-def: $vgpr46
; %bb.162:                              ;   in Loop: Header=BB602_3 Depth=1
	s_andn2_saveexec_b64 s[16:17], s[16:17]
	s_cbranch_execz .LBB602_164
; %bb.163:                              ;   in Loop: Header=BB602_3 Depth=1
	v_mul_f32_e32 v47, v46, v46
	v_fmaak_f32 v48, v46, v46, 0x43bd0000
	v_fmaak_f32 v48, v47, v48, 0x46875a00
	v_fmamk_f32 v49, v47, 0x41e00000, v22
	v_fmaak_f32 v48, v47, v48, 0x4803f7c0
	v_fmaak_f32 v49, v47, v49, 0x4773a200
	;; [unrolled: 1-line block ×3, first 2 shown]
	v_mul_f32_e32 v46, v46, v48
	v_div_scale_f32 v48, s[22:23], v47, v47, v46
	v_rcp_f32_e32 v49, v48
	s_nop 0
	v_fma_f32 v50, -v48, v49, 1.0
	v_fmac_f32_e32 v49, v50, v49
	v_div_scale_f32 v50, vcc, v46, v47, v46
	v_mul_f32_e32 v51, v50, v49
	v_fma_f32 v52, -v48, v51, v50
	v_fmac_f32_e32 v51, v52, v49
	v_fma_f32 v48, -v48, v51, v50
	v_div_fmas_f32 v48, v48, v49, v51
	v_div_fixup_f32 v46, v48, v47, v46
	v_med3_f32 v47, v46, -1.0, 1.0
.LBB602_164:                            ;   in Loop: Header=BB602_3 Depth=1
	s_or_b64 exec, exec, s[16:17]
	v_fmac_f32_e32 v45, v45, v47
	v_mul_f32_e32 v45, 0.5, v45
	v_bfi_b32 v7, s18, v7, v45
.LBB602_165:                            ;   in Loop: Header=BB602_3 Depth=1
	s_or_b64 exec, exec, s[14:15]
	v_fmac_f32_e32 v12, v12, v23
	v_fmac_f32_e32 v24, v24, v25
	;; [unrolled: 1-line block ×14, first 2 shown]
	v_mul_f32_e32 v21, 0.5, v12
	v_mul_f32_e32 v23, 0.5, v24
	;; [unrolled: 1-line block ×4, first 2 shown]
	v_fmac_f32_e32 v14, v14, v29
	v_mul_f32_e32 v13, 0.5, v30
	v_fmac_f32_e32 v15, v15, v32
	v_mul_f32_e32 v28, 0.5, v33
	v_mul_f32_e32 v8, 0.5, v8
	;; [unrolled: 1-line block ×11, first 2 shown]
	v_perm_b32 v11, v24, v23, s21
	v_perm_b32 v27, v30, v27, s21
	;; [unrolled: 1-line block ×5, first 2 shown]
	v_lshl_add_u64 v[8:9], s[4:5], 0, v[18:19]
	v_perm_b32 v13, v15, v13, s21
	v_perm_b32 v12, v14, v12, s21
	;; [unrolled: 1-line block ×3, first 2 shown]
	global_store_dwordx4 v[8:9], v[24:27], off offset:-16
	global_store_dwordx4 v[8:9], v[10:13], off offset:-32
	s_and_saveexec_b64 s[14:15], s[0:1]
	s_cbranch_execz .LBB602_2
; %bb.166:                              ;   in Loop: Header=BB602_3 Depth=1
	global_store_dwordx4 v[8:9], v[4:7], off offset:16
	global_store_dwordx4 v[8:9], v[0:3], off
	s_branch .LBB602_2
.LBB602_167:
	s_endpgm
	.section	.rodata,"a",@progbits
	.p2align	6, 0x0
	.amdhsa_kernel _ZN5aiter21activation_kernel_vecItTnPFfRKT_EXadL_ZNS_16gelu_fast_kernelItEEfS3_EELi16EEEvPS1_PS2_l
		.amdhsa_group_segment_fixed_size 0
		.amdhsa_private_segment_fixed_size 0
		.amdhsa_kernarg_size 280
		.amdhsa_user_sgpr_count 2
		.amdhsa_user_sgpr_dispatch_ptr 0
		.amdhsa_user_sgpr_queue_ptr 0
		.amdhsa_user_sgpr_kernarg_segment_ptr 1
		.amdhsa_user_sgpr_dispatch_id 0
		.amdhsa_user_sgpr_kernarg_preload_length 0
		.amdhsa_user_sgpr_kernarg_preload_offset 0
		.amdhsa_user_sgpr_private_segment_size 0
		.amdhsa_uses_dynamic_stack 0
		.amdhsa_enable_private_segment 0
		.amdhsa_system_sgpr_workgroup_id_x 1
		.amdhsa_system_sgpr_workgroup_id_y 0
		.amdhsa_system_sgpr_workgroup_id_z 0
		.amdhsa_system_sgpr_workgroup_info 0
		.amdhsa_system_vgpr_workitem_id 0
		.amdhsa_next_free_vgpr 53
		.amdhsa_next_free_sgpr 24
		.amdhsa_accum_offset 56
		.amdhsa_reserve_vcc 1
		.amdhsa_float_round_mode_32 0
		.amdhsa_float_round_mode_16_64 0
		.amdhsa_float_denorm_mode_32 3
		.amdhsa_float_denorm_mode_16_64 3
		.amdhsa_dx10_clamp 1
		.amdhsa_ieee_mode 1
		.amdhsa_fp16_overflow 0
		.amdhsa_tg_split 0
		.amdhsa_exception_fp_ieee_invalid_op 0
		.amdhsa_exception_fp_denorm_src 0
		.amdhsa_exception_fp_ieee_div_zero 0
		.amdhsa_exception_fp_ieee_overflow 0
		.amdhsa_exception_fp_ieee_underflow 0
		.amdhsa_exception_fp_ieee_inexact 0
		.amdhsa_exception_int_div_zero 0
	.end_amdhsa_kernel
	.section	.text._ZN5aiter21activation_kernel_vecItTnPFfRKT_EXadL_ZNS_16gelu_fast_kernelItEEfS3_EELi16EEEvPS1_PS2_l,"axG",@progbits,_ZN5aiter21activation_kernel_vecItTnPFfRKT_EXadL_ZNS_16gelu_fast_kernelItEEfS3_EELi16EEEvPS1_PS2_l,comdat
.Lfunc_end602:
	.size	_ZN5aiter21activation_kernel_vecItTnPFfRKT_EXadL_ZNS_16gelu_fast_kernelItEEfS3_EELi16EEEvPS1_PS2_l, .Lfunc_end602-_ZN5aiter21activation_kernel_vecItTnPFfRKT_EXadL_ZNS_16gelu_fast_kernelItEEfS3_EELi16EEEvPS1_PS2_l
                                        ; -- End function
	.section	.AMDGPU.csdata,"",@progbits
; Kernel info:
; codeLenInByte = 7996
; NumSgprs: 30
; NumVgprs: 53
; NumAgprs: 0
; TotalNumVgprs: 53
; ScratchSize: 0
; MemoryBound: 0
; FloatMode: 240
; IeeeMode: 1
; LDSByteSize: 0 bytes/workgroup (compile time only)
; SGPRBlocks: 3
; VGPRBlocks: 6
; NumSGPRsForWavesPerEU: 30
; NumVGPRsForWavesPerEU: 53
; AccumOffset: 56
; Occupancy: 8
; WaveLimiterHint : 0
; COMPUTE_PGM_RSRC2:SCRATCH_EN: 0
; COMPUTE_PGM_RSRC2:USER_SGPR: 2
; COMPUTE_PGM_RSRC2:TRAP_HANDLER: 0
; COMPUTE_PGM_RSRC2:TGID_X_EN: 1
; COMPUTE_PGM_RSRC2:TGID_Y_EN: 0
; COMPUTE_PGM_RSRC2:TGID_Z_EN: 0
; COMPUTE_PGM_RSRC2:TIDIG_COMP_CNT: 0
; COMPUTE_PGM_RSRC3_GFX90A:ACCUM_OFFSET: 13
; COMPUTE_PGM_RSRC3_GFX90A:TG_SPLIT: 0
	.section	.text._ZN5aiter21activation_kernel_vecItTnPFfRKT_EXadL_ZNS_16gelu_fast_kernelItEEfS3_EELi8EEEvPS1_PS2_l,"axG",@progbits,_ZN5aiter21activation_kernel_vecItTnPFfRKT_EXadL_ZNS_16gelu_fast_kernelItEEfS3_EELi8EEEvPS1_PS2_l,comdat
	.protected	_ZN5aiter21activation_kernel_vecItTnPFfRKT_EXadL_ZNS_16gelu_fast_kernelItEEfS3_EELi8EEEvPS1_PS2_l ; -- Begin function _ZN5aiter21activation_kernel_vecItTnPFfRKT_EXadL_ZNS_16gelu_fast_kernelItEEfS3_EELi8EEEvPS1_PS2_l
	.globl	_ZN5aiter21activation_kernel_vecItTnPFfRKT_EXadL_ZNS_16gelu_fast_kernelItEEfS3_EELi8EEEvPS1_PS2_l
	.p2align	8
	.type	_ZN5aiter21activation_kernel_vecItTnPFfRKT_EXadL_ZNS_16gelu_fast_kernelItEEfS3_EELi8EEEvPS1_PS2_l,@function
_ZN5aiter21activation_kernel_vecItTnPFfRKT_EXadL_ZNS_16gelu_fast_kernelItEEfS3_EELi8EEEvPS1_PS2_l: ; @_ZN5aiter21activation_kernel_vecItTnPFfRKT_EXadL_ZNS_16gelu_fast_kernelItEEfS3_EELi8EEEvPS1_PS2_l
; %bb.0:
	s_load_dword s3, s[0:1], 0x24
	s_load_dwordx2 s[8:9], s[0:1], 0x10
	s_add_u32 s10, s0, 24
	s_addc_u32 s11, s1, 0
	v_mov_b32_e32 v9, 0
	s_waitcnt lgkmcnt(0)
	s_and_b32 s12, s3, 0xffff
	s_mul_i32 s2, s2, s12
	v_add_lshl_u32 v8, s2, v0, 4
	s_mov_b32 s18, 0xffff
	v_cmp_gt_i64_e32 vcc, s[8:9], v[8:9]
	s_and_saveexec_b64 s[2:3], vcc
	s_cbranch_execz .LBB603_87
; %bb.1:
	s_load_dword s2, s[10:11], 0x0
	s_load_dwordx4 s[4:7], s[0:1], 0x0
	s_mov_b32 s3, 0
	v_lshl_add_u64 v[10:11], v[8:9], 1, 16
	s_mov_b64 s[10:11], 0
	s_waitcnt lgkmcnt(0)
	s_mul_i32 s2, s2, s12
	s_lshl_b32 s2, s2, 4
	s_lshl_b64 s[12:13], s[2:3], 1
	s_mov_b32 s19, 0x40733333
	s_brev_b32 s20, -2
                                        ; implicit-def: $vgpr0
                                        ; implicit-def: $vgpr0
	;; [unrolled: 1-line block ×3, first 2 shown]
	v_mov_b32_e32 v14, 0x4544e000
                                        ; implicit-def: $vgpr0
	s_mov_b32 s21, 0x7060302
                                        ; implicit-def: $vgpr0_vgpr1_vgpr2_vgpr3
	s_branch .LBB603_3
.LBB603_2:                              ;   in Loop: Header=BB603_3 Depth=1
	s_or_b64 exec, exec, s[14:15]
	v_lshl_add_u64 v[8:9], v[8:9], 0, s[2:3]
	v_cmp_le_i64_e32 vcc, s[8:9], v[8:9]
	s_or_b64 s[10:11], vcc, s[10:11]
	v_lshl_add_u64 v[10:11], v[10:11], 0, s[12:13]
	s_andn2_b64 exec, exec, s[10:11]
	s_cbranch_execz .LBB603_87
.LBB603_3:                              ; =>This Inner Loop Header: Depth=1
	v_lshl_add_u64 v[12:13], s[6:7], 0, v[10:11]
	global_load_dwordx4 v[4:7], v[12:13], off offset:-16
	v_lshl_add_u64 v[16:17], v[8:9], 0, 8
	v_cmp_gt_i64_e64 s[0:1], s[8:9], v[16:17]
	s_and_saveexec_b64 s[14:15], s[0:1]
	s_cbranch_execz .LBB603_5
; %bb.4:                                ;   in Loop: Header=BB603_3 Depth=1
	global_load_dwordx4 v[0:3], v[12:13], off
.LBB603_5:                              ;   in Loop: Header=BB603_3 Depth=1
	s_or_b64 exec, exec, s[14:15]
	s_waitcnt vmcnt(0)
	v_lshlrev_b32_e32 v12, 16, v4
	v_mul_f32_e32 v13, v12, v12
	v_mul_f32_e32 v13, v13, v12
	;; [unrolled: 1-line block ×3, first 2 shown]
	v_fmac_f32_e32 v15, 0x3d122279, v13
	v_cmp_ge_f32_e64 s[14:15], |v15|, s19
                                        ; implicit-def: $vgpr13
	s_and_saveexec_b64 s[16:17], s[14:15]
	s_xor_b64 s[14:15], exec, s[16:17]
	s_cbranch_execnz .LBB603_8
; %bb.6:                                ;   in Loop: Header=BB603_3 Depth=1
	s_andn2_saveexec_b64 s[14:15], s[14:15]
	s_cbranch_execnz .LBB603_9
.LBB603_7:                              ;   in Loop: Header=BB603_3 Depth=1
	s_or_b64 exec, exec, s[14:15]
	s_and_saveexec_b64 s[14:15], s[0:1]
	s_cbranch_execnz .LBB603_10
	s_branch .LBB603_15
.LBB603_8:                              ;   in Loop: Header=BB603_3 Depth=1
	v_bfi_b32 v13, s20, 1.0, v15
                                        ; implicit-def: $vgpr15
	s_andn2_saveexec_b64 s[14:15], s[14:15]
	s_cbranch_execz .LBB603_7
.LBB603_9:                              ;   in Loop: Header=BB603_3 Depth=1
	v_mul_f32_e32 v13, v15, v15
	v_fmaak_f32 v16, v15, v15, 0x43bd0000
	v_fmaak_f32 v16, v13, v16, 0x46875a00
	v_fmamk_f32 v17, v13, 0x41e00000, v14
	v_fmaak_f32 v16, v13, v16, 0x4803f7c0
	v_fmaak_f32 v17, v13, v17, 0x4773a200
	;; [unrolled: 1-line block ×3, first 2 shown]
	v_mul_f32_e32 v15, v15, v16
	v_div_scale_f32 v16, s[16:17], v13, v13, v15
	v_rcp_f32_e32 v17, v16
	s_nop 0
	v_fma_f32 v18, -v16, v17, 1.0
	v_fmac_f32_e32 v17, v18, v17
	v_div_scale_f32 v18, vcc, v15, v13, v15
	v_mul_f32_e32 v19, v18, v17
	v_fma_f32 v20, -v16, v19, v18
	v_fmac_f32_e32 v19, v20, v17
	v_fma_f32 v16, -v16, v19, v18
	v_div_fmas_f32 v16, v16, v17, v19
	v_div_fixup_f32 v13, v16, v13, v15
	v_med3_f32 v13, v13, -1.0, 1.0
	s_or_b64 exec, exec, s[14:15]
	s_and_saveexec_b64 s[14:15], s[0:1]
	s_cbranch_execz .LBB603_15
.LBB603_10:                             ;   in Loop: Header=BB603_3 Depth=1
	v_lshlrev_b32_e32 v15, 16, v0
	v_mul_f32_e32 v16, v15, v15
	v_mul_f32_e32 v17, v16, v15
	;; [unrolled: 1-line block ×3, first 2 shown]
	v_fmac_f32_e32 v16, 0x3d122279, v17
	v_cmp_ge_f32_e64 s[16:17], |v16|, s19
                                        ; implicit-def: $vgpr17
	s_and_saveexec_b64 s[22:23], s[16:17]
	s_xor_b64 s[16:17], exec, s[22:23]
; %bb.11:                               ;   in Loop: Header=BB603_3 Depth=1
	v_bfi_b32 v17, s20, 1.0, v16
                                        ; implicit-def: $vgpr16
; %bb.12:                               ;   in Loop: Header=BB603_3 Depth=1
	s_andn2_saveexec_b64 s[16:17], s[16:17]
	s_cbranch_execz .LBB603_14
; %bb.13:                               ;   in Loop: Header=BB603_3 Depth=1
	v_mul_f32_e32 v17, v16, v16
	v_fmaak_f32 v18, v16, v16, 0x43bd0000
	v_fmaak_f32 v18, v17, v18, 0x46875a00
	v_fmamk_f32 v19, v17, 0x41e00000, v14
	v_fmaak_f32 v18, v17, v18, 0x4803f7c0
	v_fmaak_f32 v19, v17, v19, 0x4773a200
	;; [unrolled: 1-line block ×3, first 2 shown]
	v_mul_f32_e32 v16, v16, v18
	v_div_scale_f32 v18, s[22:23], v17, v17, v16
	v_rcp_f32_e32 v19, v18
	s_nop 0
	v_fma_f32 v20, -v18, v19, 1.0
	v_fmac_f32_e32 v19, v20, v19
	v_div_scale_f32 v20, vcc, v16, v17, v16
	v_mul_f32_e32 v21, v20, v19
	v_fma_f32 v22, -v18, v21, v20
	v_fmac_f32_e32 v21, v22, v19
	v_fma_f32 v18, -v18, v21, v20
	v_div_fmas_f32 v18, v18, v19, v21
	v_div_fixup_f32 v16, v18, v17, v16
	v_med3_f32 v17, v16, -1.0, 1.0
.LBB603_14:                             ;   in Loop: Header=BB603_3 Depth=1
	s_or_b64 exec, exec, s[16:17]
	v_fmac_f32_e32 v15, v15, v17
	v_mul_f32_e32 v15, 0.5, v15
	v_perm_b32 v0, v0, v15, s21
.LBB603_15:                             ;   in Loop: Header=BB603_3 Depth=1
	s_or_b64 exec, exec, s[14:15]
	v_and_b32_e32 v4, 0xffff0000, v4
	v_mul_f32_e32 v15, v4, v4
	v_mul_f32_e32 v15, v15, v4
	;; [unrolled: 1-line block ×3, first 2 shown]
	v_fmac_f32_e32 v16, 0x3d122279, v15
	v_cmp_ge_f32_e64 s[14:15], |v16|, s19
                                        ; implicit-def: $vgpr15
	s_and_saveexec_b64 s[16:17], s[14:15]
	s_xor_b64 s[14:15], exec, s[16:17]
	s_cbranch_execnz .LBB603_18
; %bb.16:                               ;   in Loop: Header=BB603_3 Depth=1
	s_andn2_saveexec_b64 s[14:15], s[14:15]
	s_cbranch_execnz .LBB603_19
.LBB603_17:                             ;   in Loop: Header=BB603_3 Depth=1
	s_or_b64 exec, exec, s[14:15]
	s_and_saveexec_b64 s[14:15], s[0:1]
	s_cbranch_execnz .LBB603_20
	s_branch .LBB603_25
.LBB603_18:                             ;   in Loop: Header=BB603_3 Depth=1
	v_bfi_b32 v15, s20, 1.0, v16
                                        ; implicit-def: $vgpr16
	s_andn2_saveexec_b64 s[14:15], s[14:15]
	s_cbranch_execz .LBB603_17
.LBB603_19:                             ;   in Loop: Header=BB603_3 Depth=1
	v_mul_f32_e32 v15, v16, v16
	v_fmaak_f32 v17, v16, v16, 0x43bd0000
	v_fmaak_f32 v17, v15, v17, 0x46875a00
	v_fmamk_f32 v18, v15, 0x41e00000, v14
	v_fmaak_f32 v17, v15, v17, 0x4803f7c0
	v_fmaak_f32 v18, v15, v18, 0x4773a200
	;; [unrolled: 1-line block ×3, first 2 shown]
	v_mul_f32_e32 v16, v16, v17
	v_div_scale_f32 v17, s[16:17], v15, v15, v16
	v_rcp_f32_e32 v18, v17
	s_nop 0
	v_fma_f32 v19, -v17, v18, 1.0
	v_fmac_f32_e32 v18, v19, v18
	v_div_scale_f32 v19, vcc, v16, v15, v16
	v_mul_f32_e32 v20, v19, v18
	v_fma_f32 v21, -v17, v20, v19
	v_fmac_f32_e32 v20, v21, v18
	v_fma_f32 v17, -v17, v20, v19
	v_div_fmas_f32 v17, v17, v18, v20
	v_div_fixup_f32 v15, v17, v15, v16
	v_med3_f32 v15, v15, -1.0, 1.0
	s_or_b64 exec, exec, s[14:15]
	s_and_saveexec_b64 s[14:15], s[0:1]
	s_cbranch_execz .LBB603_25
.LBB603_20:                             ;   in Loop: Header=BB603_3 Depth=1
	v_and_b32_e32 v16, 0xffff0000, v0
	v_mul_f32_e32 v17, v16, v16
	v_mul_f32_e32 v18, v17, v16
	v_mul_f32_e32 v17, 0x3f4c422a, v16
	v_fmac_f32_e32 v17, 0x3d122279, v18
	v_cmp_ge_f32_e64 s[16:17], |v17|, s19
                                        ; implicit-def: $vgpr18
	s_and_saveexec_b64 s[22:23], s[16:17]
	s_xor_b64 s[16:17], exec, s[22:23]
; %bb.21:                               ;   in Loop: Header=BB603_3 Depth=1
	v_bfi_b32 v18, s20, 1.0, v17
                                        ; implicit-def: $vgpr17
; %bb.22:                               ;   in Loop: Header=BB603_3 Depth=1
	s_andn2_saveexec_b64 s[16:17], s[16:17]
	s_cbranch_execz .LBB603_24
; %bb.23:                               ;   in Loop: Header=BB603_3 Depth=1
	v_mul_f32_e32 v18, v17, v17
	v_fmaak_f32 v19, v17, v17, 0x43bd0000
	v_fmaak_f32 v19, v18, v19, 0x46875a00
	v_fmamk_f32 v20, v18, 0x41e00000, v14
	v_fmaak_f32 v19, v18, v19, 0x4803f7c0
	v_fmaak_f32 v20, v18, v20, 0x4773a200
	;; [unrolled: 1-line block ×3, first 2 shown]
	v_mul_f32_e32 v17, v17, v19
	v_div_scale_f32 v19, s[22:23], v18, v18, v17
	v_rcp_f32_e32 v20, v19
	s_nop 0
	v_fma_f32 v21, -v19, v20, 1.0
	v_fmac_f32_e32 v20, v21, v20
	v_div_scale_f32 v21, vcc, v17, v18, v17
	v_mul_f32_e32 v22, v21, v20
	v_fma_f32 v23, -v19, v22, v21
	v_fmac_f32_e32 v22, v23, v20
	v_fma_f32 v19, -v19, v22, v21
	v_div_fmas_f32 v19, v19, v20, v22
	v_div_fixup_f32 v17, v19, v18, v17
	v_med3_f32 v18, v17, -1.0, 1.0
.LBB603_24:                             ;   in Loop: Header=BB603_3 Depth=1
	s_or_b64 exec, exec, s[16:17]
	v_fmac_f32_e32 v16, v16, v18
	v_mul_f32_e32 v16, 0.5, v16
	v_bfi_b32 v0, s18, v0, v16
.LBB603_25:                             ;   in Loop: Header=BB603_3 Depth=1
	s_or_b64 exec, exec, s[14:15]
	v_lshlrev_b32_e32 v16, 16, v5
	v_mul_f32_e32 v17, v16, v16
	v_mul_f32_e32 v17, v17, v16
	;; [unrolled: 1-line block ×3, first 2 shown]
	v_fmac_f32_e32 v18, 0x3d122279, v17
	v_cmp_ge_f32_e64 s[14:15], |v18|, s19
                                        ; implicit-def: $vgpr17
	s_and_saveexec_b64 s[16:17], s[14:15]
	s_xor_b64 s[14:15], exec, s[16:17]
	s_cbranch_execnz .LBB603_28
; %bb.26:                               ;   in Loop: Header=BB603_3 Depth=1
	s_andn2_saveexec_b64 s[14:15], s[14:15]
	s_cbranch_execnz .LBB603_29
.LBB603_27:                             ;   in Loop: Header=BB603_3 Depth=1
	s_or_b64 exec, exec, s[14:15]
	s_and_saveexec_b64 s[14:15], s[0:1]
	s_cbranch_execnz .LBB603_30
	s_branch .LBB603_35
.LBB603_28:                             ;   in Loop: Header=BB603_3 Depth=1
	v_bfi_b32 v17, s20, 1.0, v18
                                        ; implicit-def: $vgpr18
	s_andn2_saveexec_b64 s[14:15], s[14:15]
	s_cbranch_execz .LBB603_27
.LBB603_29:                             ;   in Loop: Header=BB603_3 Depth=1
	v_mul_f32_e32 v17, v18, v18
	v_fmaak_f32 v19, v18, v18, 0x43bd0000
	v_fmaak_f32 v19, v17, v19, 0x46875a00
	v_fmamk_f32 v20, v17, 0x41e00000, v14
	v_fmaak_f32 v19, v17, v19, 0x4803f7c0
	v_fmaak_f32 v20, v17, v20, 0x4773a200
	;; [unrolled: 1-line block ×3, first 2 shown]
	v_mul_f32_e32 v18, v18, v19
	v_div_scale_f32 v19, s[16:17], v17, v17, v18
	v_rcp_f32_e32 v20, v19
	s_nop 0
	v_fma_f32 v21, -v19, v20, 1.0
	v_fmac_f32_e32 v20, v21, v20
	v_div_scale_f32 v21, vcc, v18, v17, v18
	v_mul_f32_e32 v22, v21, v20
	v_fma_f32 v23, -v19, v22, v21
	v_fmac_f32_e32 v22, v23, v20
	v_fma_f32 v19, -v19, v22, v21
	v_div_fmas_f32 v19, v19, v20, v22
	v_div_fixup_f32 v17, v19, v17, v18
	v_med3_f32 v17, v17, -1.0, 1.0
	s_or_b64 exec, exec, s[14:15]
	s_and_saveexec_b64 s[14:15], s[0:1]
	s_cbranch_execz .LBB603_35
.LBB603_30:                             ;   in Loop: Header=BB603_3 Depth=1
	v_lshlrev_b32_e32 v18, 16, v1
	v_mul_f32_e32 v19, v18, v18
	v_mul_f32_e32 v20, v19, v18
	;; [unrolled: 1-line block ×3, first 2 shown]
	v_fmac_f32_e32 v19, 0x3d122279, v20
	v_cmp_ge_f32_e64 s[16:17], |v19|, s19
                                        ; implicit-def: $vgpr20
	s_and_saveexec_b64 s[22:23], s[16:17]
	s_xor_b64 s[16:17], exec, s[22:23]
; %bb.31:                               ;   in Loop: Header=BB603_3 Depth=1
	v_bfi_b32 v20, s20, 1.0, v19
                                        ; implicit-def: $vgpr19
; %bb.32:                               ;   in Loop: Header=BB603_3 Depth=1
	s_andn2_saveexec_b64 s[16:17], s[16:17]
	s_cbranch_execz .LBB603_34
; %bb.33:                               ;   in Loop: Header=BB603_3 Depth=1
	v_mul_f32_e32 v20, v19, v19
	v_fmaak_f32 v21, v19, v19, 0x43bd0000
	v_fmaak_f32 v21, v20, v21, 0x46875a00
	v_fmamk_f32 v22, v20, 0x41e00000, v14
	v_fmaak_f32 v21, v20, v21, 0x4803f7c0
	v_fmaak_f32 v22, v20, v22, 0x4773a200
	;; [unrolled: 1-line block ×3, first 2 shown]
	v_mul_f32_e32 v19, v19, v21
	v_div_scale_f32 v21, s[22:23], v20, v20, v19
	v_rcp_f32_e32 v22, v21
	s_nop 0
	v_fma_f32 v23, -v21, v22, 1.0
	v_fmac_f32_e32 v22, v23, v22
	v_div_scale_f32 v23, vcc, v19, v20, v19
	v_mul_f32_e32 v24, v23, v22
	v_fma_f32 v25, -v21, v24, v23
	v_fmac_f32_e32 v24, v25, v22
	v_fma_f32 v21, -v21, v24, v23
	v_div_fmas_f32 v21, v21, v22, v24
	v_div_fixup_f32 v19, v21, v20, v19
	v_med3_f32 v20, v19, -1.0, 1.0
.LBB603_34:                             ;   in Loop: Header=BB603_3 Depth=1
	s_or_b64 exec, exec, s[16:17]
	v_fmac_f32_e32 v18, v18, v20
	v_mul_f32_e32 v18, 0.5, v18
	v_perm_b32 v1, v1, v18, s21
.LBB603_35:                             ;   in Loop: Header=BB603_3 Depth=1
	s_or_b64 exec, exec, s[14:15]
	v_and_b32_e32 v5, 0xffff0000, v5
	v_mul_f32_e32 v18, v5, v5
	v_mul_f32_e32 v18, v18, v5
	;; [unrolled: 1-line block ×3, first 2 shown]
	v_fmac_f32_e32 v19, 0x3d122279, v18
	v_cmp_ge_f32_e64 s[14:15], |v19|, s19
                                        ; implicit-def: $vgpr18
	s_and_saveexec_b64 s[16:17], s[14:15]
	s_xor_b64 s[14:15], exec, s[16:17]
	s_cbranch_execnz .LBB603_38
; %bb.36:                               ;   in Loop: Header=BB603_3 Depth=1
	s_andn2_saveexec_b64 s[14:15], s[14:15]
	s_cbranch_execnz .LBB603_39
.LBB603_37:                             ;   in Loop: Header=BB603_3 Depth=1
	s_or_b64 exec, exec, s[14:15]
	s_and_saveexec_b64 s[14:15], s[0:1]
	s_cbranch_execnz .LBB603_40
	s_branch .LBB603_45
.LBB603_38:                             ;   in Loop: Header=BB603_3 Depth=1
	v_bfi_b32 v18, s20, 1.0, v19
                                        ; implicit-def: $vgpr19
	s_andn2_saveexec_b64 s[14:15], s[14:15]
	s_cbranch_execz .LBB603_37
.LBB603_39:                             ;   in Loop: Header=BB603_3 Depth=1
	v_mul_f32_e32 v18, v19, v19
	v_fmaak_f32 v20, v19, v19, 0x43bd0000
	v_fmaak_f32 v20, v18, v20, 0x46875a00
	v_fmamk_f32 v21, v18, 0x41e00000, v14
	v_fmaak_f32 v20, v18, v20, 0x4803f7c0
	v_fmaak_f32 v21, v18, v21, 0x4773a200
	;; [unrolled: 1-line block ×3, first 2 shown]
	v_mul_f32_e32 v19, v19, v20
	v_div_scale_f32 v20, s[16:17], v18, v18, v19
	v_rcp_f32_e32 v21, v20
	s_nop 0
	v_fma_f32 v22, -v20, v21, 1.0
	v_fmac_f32_e32 v21, v22, v21
	v_div_scale_f32 v22, vcc, v19, v18, v19
	v_mul_f32_e32 v23, v22, v21
	v_fma_f32 v24, -v20, v23, v22
	v_fmac_f32_e32 v23, v24, v21
	v_fma_f32 v20, -v20, v23, v22
	v_div_fmas_f32 v20, v20, v21, v23
	v_div_fixup_f32 v18, v20, v18, v19
	v_med3_f32 v18, v18, -1.0, 1.0
	s_or_b64 exec, exec, s[14:15]
	s_and_saveexec_b64 s[14:15], s[0:1]
	s_cbranch_execz .LBB603_45
.LBB603_40:                             ;   in Loop: Header=BB603_3 Depth=1
	v_and_b32_e32 v19, 0xffff0000, v1
	v_mul_f32_e32 v20, v19, v19
	v_mul_f32_e32 v21, v20, v19
	;; [unrolled: 1-line block ×3, first 2 shown]
	v_fmac_f32_e32 v20, 0x3d122279, v21
	v_cmp_ge_f32_e64 s[16:17], |v20|, s19
                                        ; implicit-def: $vgpr21
	s_and_saveexec_b64 s[22:23], s[16:17]
	s_xor_b64 s[16:17], exec, s[22:23]
; %bb.41:                               ;   in Loop: Header=BB603_3 Depth=1
	v_bfi_b32 v21, s20, 1.0, v20
                                        ; implicit-def: $vgpr20
; %bb.42:                               ;   in Loop: Header=BB603_3 Depth=1
	s_andn2_saveexec_b64 s[16:17], s[16:17]
	s_cbranch_execz .LBB603_44
; %bb.43:                               ;   in Loop: Header=BB603_3 Depth=1
	v_mul_f32_e32 v21, v20, v20
	v_fmaak_f32 v22, v20, v20, 0x43bd0000
	v_fmaak_f32 v22, v21, v22, 0x46875a00
	v_fmamk_f32 v23, v21, 0x41e00000, v14
	v_fmaak_f32 v22, v21, v22, 0x4803f7c0
	v_fmaak_f32 v23, v21, v23, 0x4773a200
	;; [unrolled: 1-line block ×3, first 2 shown]
	v_mul_f32_e32 v20, v20, v22
	v_div_scale_f32 v22, s[22:23], v21, v21, v20
	v_rcp_f32_e32 v23, v22
	s_nop 0
	v_fma_f32 v24, -v22, v23, 1.0
	v_fmac_f32_e32 v23, v24, v23
	v_div_scale_f32 v24, vcc, v20, v21, v20
	v_mul_f32_e32 v25, v24, v23
	v_fma_f32 v26, -v22, v25, v24
	v_fmac_f32_e32 v25, v26, v23
	v_fma_f32 v22, -v22, v25, v24
	v_div_fmas_f32 v22, v22, v23, v25
	v_div_fixup_f32 v20, v22, v21, v20
	v_med3_f32 v21, v20, -1.0, 1.0
.LBB603_44:                             ;   in Loop: Header=BB603_3 Depth=1
	s_or_b64 exec, exec, s[16:17]
	v_fmac_f32_e32 v19, v19, v21
	v_mul_f32_e32 v19, 0.5, v19
	v_bfi_b32 v1, s18, v1, v19
.LBB603_45:                             ;   in Loop: Header=BB603_3 Depth=1
	s_or_b64 exec, exec, s[14:15]
	v_lshlrev_b32_e32 v19, 16, v6
	v_mul_f32_e32 v20, v19, v19
	v_mul_f32_e32 v20, v20, v19
	;; [unrolled: 1-line block ×3, first 2 shown]
	v_fmac_f32_e32 v21, 0x3d122279, v20
	v_cmp_ge_f32_e64 s[14:15], |v21|, s19
                                        ; implicit-def: $vgpr20
	s_and_saveexec_b64 s[16:17], s[14:15]
	s_xor_b64 s[14:15], exec, s[16:17]
	s_cbranch_execnz .LBB603_48
; %bb.46:                               ;   in Loop: Header=BB603_3 Depth=1
	s_andn2_saveexec_b64 s[14:15], s[14:15]
	s_cbranch_execnz .LBB603_49
.LBB603_47:                             ;   in Loop: Header=BB603_3 Depth=1
	s_or_b64 exec, exec, s[14:15]
	s_and_saveexec_b64 s[14:15], s[0:1]
	s_cbranch_execnz .LBB603_50
	s_branch .LBB603_55
.LBB603_48:                             ;   in Loop: Header=BB603_3 Depth=1
	v_bfi_b32 v20, s20, 1.0, v21
                                        ; implicit-def: $vgpr21
	s_andn2_saveexec_b64 s[14:15], s[14:15]
	s_cbranch_execz .LBB603_47
.LBB603_49:                             ;   in Loop: Header=BB603_3 Depth=1
	v_mul_f32_e32 v20, v21, v21
	v_fmaak_f32 v22, v21, v21, 0x43bd0000
	v_fmaak_f32 v22, v20, v22, 0x46875a00
	v_fmamk_f32 v23, v20, 0x41e00000, v14
	v_fmaak_f32 v22, v20, v22, 0x4803f7c0
	v_fmaak_f32 v23, v20, v23, 0x4773a200
	;; [unrolled: 1-line block ×3, first 2 shown]
	v_mul_f32_e32 v21, v21, v22
	v_div_scale_f32 v22, s[16:17], v20, v20, v21
	v_rcp_f32_e32 v23, v22
	s_nop 0
	v_fma_f32 v24, -v22, v23, 1.0
	v_fmac_f32_e32 v23, v24, v23
	v_div_scale_f32 v24, vcc, v21, v20, v21
	v_mul_f32_e32 v25, v24, v23
	v_fma_f32 v26, -v22, v25, v24
	v_fmac_f32_e32 v25, v26, v23
	v_fma_f32 v22, -v22, v25, v24
	v_div_fmas_f32 v22, v22, v23, v25
	v_div_fixup_f32 v20, v22, v20, v21
	v_med3_f32 v20, v20, -1.0, 1.0
	s_or_b64 exec, exec, s[14:15]
	s_and_saveexec_b64 s[14:15], s[0:1]
	s_cbranch_execz .LBB603_55
.LBB603_50:                             ;   in Loop: Header=BB603_3 Depth=1
	v_lshlrev_b32_e32 v21, 16, v2
	v_mul_f32_e32 v22, v21, v21
	v_mul_f32_e32 v23, v22, v21
	;; [unrolled: 1-line block ×3, first 2 shown]
	v_fmac_f32_e32 v22, 0x3d122279, v23
	v_cmp_ge_f32_e64 s[16:17], |v22|, s19
                                        ; implicit-def: $vgpr23
	s_and_saveexec_b64 s[22:23], s[16:17]
	s_xor_b64 s[16:17], exec, s[22:23]
; %bb.51:                               ;   in Loop: Header=BB603_3 Depth=1
	v_bfi_b32 v23, s20, 1.0, v22
                                        ; implicit-def: $vgpr22
; %bb.52:                               ;   in Loop: Header=BB603_3 Depth=1
	s_andn2_saveexec_b64 s[16:17], s[16:17]
	s_cbranch_execz .LBB603_54
; %bb.53:                               ;   in Loop: Header=BB603_3 Depth=1
	v_mul_f32_e32 v23, v22, v22
	v_fmaak_f32 v24, v22, v22, 0x43bd0000
	v_fmaak_f32 v24, v23, v24, 0x46875a00
	v_fmamk_f32 v25, v23, 0x41e00000, v14
	v_fmaak_f32 v24, v23, v24, 0x4803f7c0
	v_fmaak_f32 v25, v23, v25, 0x4773a200
	;; [unrolled: 1-line block ×3, first 2 shown]
	v_mul_f32_e32 v22, v22, v24
	v_div_scale_f32 v24, s[22:23], v23, v23, v22
	v_rcp_f32_e32 v25, v24
	s_nop 0
	v_fma_f32 v26, -v24, v25, 1.0
	v_fmac_f32_e32 v25, v26, v25
	v_div_scale_f32 v26, vcc, v22, v23, v22
	v_mul_f32_e32 v27, v26, v25
	v_fma_f32 v28, -v24, v27, v26
	v_fmac_f32_e32 v27, v28, v25
	v_fma_f32 v24, -v24, v27, v26
	v_div_fmas_f32 v24, v24, v25, v27
	v_div_fixup_f32 v22, v24, v23, v22
	v_med3_f32 v23, v22, -1.0, 1.0
.LBB603_54:                             ;   in Loop: Header=BB603_3 Depth=1
	s_or_b64 exec, exec, s[16:17]
	v_fmac_f32_e32 v21, v21, v23
	v_mul_f32_e32 v21, 0.5, v21
	v_perm_b32 v2, v2, v21, s21
.LBB603_55:                             ;   in Loop: Header=BB603_3 Depth=1
	s_or_b64 exec, exec, s[14:15]
	v_and_b32_e32 v6, 0xffff0000, v6
	v_mul_f32_e32 v21, v6, v6
	v_mul_f32_e32 v21, v21, v6
	;; [unrolled: 1-line block ×3, first 2 shown]
	v_fmac_f32_e32 v22, 0x3d122279, v21
	v_cmp_ge_f32_e64 s[14:15], |v22|, s19
                                        ; implicit-def: $vgpr21
	s_and_saveexec_b64 s[16:17], s[14:15]
	s_xor_b64 s[14:15], exec, s[16:17]
	s_cbranch_execnz .LBB603_58
; %bb.56:                               ;   in Loop: Header=BB603_3 Depth=1
	s_andn2_saveexec_b64 s[14:15], s[14:15]
	s_cbranch_execnz .LBB603_59
.LBB603_57:                             ;   in Loop: Header=BB603_3 Depth=1
	s_or_b64 exec, exec, s[14:15]
	s_and_saveexec_b64 s[14:15], s[0:1]
	s_cbranch_execnz .LBB603_60
	s_branch .LBB603_65
.LBB603_58:                             ;   in Loop: Header=BB603_3 Depth=1
	v_bfi_b32 v21, s20, 1.0, v22
                                        ; implicit-def: $vgpr22
	s_andn2_saveexec_b64 s[14:15], s[14:15]
	s_cbranch_execz .LBB603_57
.LBB603_59:                             ;   in Loop: Header=BB603_3 Depth=1
	v_mul_f32_e32 v21, v22, v22
	v_fmaak_f32 v23, v22, v22, 0x43bd0000
	v_fmaak_f32 v23, v21, v23, 0x46875a00
	v_fmamk_f32 v24, v21, 0x41e00000, v14
	v_fmaak_f32 v23, v21, v23, 0x4803f7c0
	v_fmaak_f32 v24, v21, v24, 0x4773a200
	;; [unrolled: 1-line block ×3, first 2 shown]
	v_mul_f32_e32 v22, v22, v23
	v_div_scale_f32 v23, s[16:17], v21, v21, v22
	v_rcp_f32_e32 v24, v23
	s_nop 0
	v_fma_f32 v25, -v23, v24, 1.0
	v_fmac_f32_e32 v24, v25, v24
	v_div_scale_f32 v25, vcc, v22, v21, v22
	v_mul_f32_e32 v26, v25, v24
	v_fma_f32 v27, -v23, v26, v25
	v_fmac_f32_e32 v26, v27, v24
	v_fma_f32 v23, -v23, v26, v25
	v_div_fmas_f32 v23, v23, v24, v26
	v_div_fixup_f32 v21, v23, v21, v22
	v_med3_f32 v21, v21, -1.0, 1.0
	s_or_b64 exec, exec, s[14:15]
	s_and_saveexec_b64 s[14:15], s[0:1]
	s_cbranch_execz .LBB603_65
.LBB603_60:                             ;   in Loop: Header=BB603_3 Depth=1
	v_and_b32_e32 v22, 0xffff0000, v2
	v_mul_f32_e32 v23, v22, v22
	v_mul_f32_e32 v24, v23, v22
	;; [unrolled: 1-line block ×3, first 2 shown]
	v_fmac_f32_e32 v23, 0x3d122279, v24
	v_cmp_ge_f32_e64 s[16:17], |v23|, s19
                                        ; implicit-def: $vgpr24
	s_and_saveexec_b64 s[22:23], s[16:17]
	s_xor_b64 s[16:17], exec, s[22:23]
; %bb.61:                               ;   in Loop: Header=BB603_3 Depth=1
	v_bfi_b32 v24, s20, 1.0, v23
                                        ; implicit-def: $vgpr23
; %bb.62:                               ;   in Loop: Header=BB603_3 Depth=1
	s_andn2_saveexec_b64 s[16:17], s[16:17]
	s_cbranch_execz .LBB603_64
; %bb.63:                               ;   in Loop: Header=BB603_3 Depth=1
	v_mul_f32_e32 v24, v23, v23
	v_fmaak_f32 v25, v23, v23, 0x43bd0000
	v_fmaak_f32 v25, v24, v25, 0x46875a00
	v_fmamk_f32 v26, v24, 0x41e00000, v14
	v_fmaak_f32 v25, v24, v25, 0x4803f7c0
	v_fmaak_f32 v26, v24, v26, 0x4773a200
	;; [unrolled: 1-line block ×3, first 2 shown]
	v_mul_f32_e32 v23, v23, v25
	v_div_scale_f32 v25, s[22:23], v24, v24, v23
	v_rcp_f32_e32 v26, v25
	s_nop 0
	v_fma_f32 v27, -v25, v26, 1.0
	v_fmac_f32_e32 v26, v27, v26
	v_div_scale_f32 v27, vcc, v23, v24, v23
	v_mul_f32_e32 v28, v27, v26
	v_fma_f32 v29, -v25, v28, v27
	v_fmac_f32_e32 v28, v29, v26
	v_fma_f32 v25, -v25, v28, v27
	v_div_fmas_f32 v25, v25, v26, v28
	v_div_fixup_f32 v23, v25, v24, v23
	v_med3_f32 v24, v23, -1.0, 1.0
.LBB603_64:                             ;   in Loop: Header=BB603_3 Depth=1
	s_or_b64 exec, exec, s[16:17]
	v_fmac_f32_e32 v22, v22, v24
	v_mul_f32_e32 v22, 0.5, v22
	v_bfi_b32 v2, s18, v2, v22
.LBB603_65:                             ;   in Loop: Header=BB603_3 Depth=1
	s_or_b64 exec, exec, s[14:15]
	v_lshlrev_b32_e32 v22, 16, v7
	v_mul_f32_e32 v23, v22, v22
	v_mul_f32_e32 v23, v23, v22
	;; [unrolled: 1-line block ×3, first 2 shown]
	v_fmac_f32_e32 v24, 0x3d122279, v23
	v_cmp_ge_f32_e64 s[14:15], |v24|, s19
                                        ; implicit-def: $vgpr23
	s_and_saveexec_b64 s[16:17], s[14:15]
	s_xor_b64 s[14:15], exec, s[16:17]
	s_cbranch_execnz .LBB603_68
; %bb.66:                               ;   in Loop: Header=BB603_3 Depth=1
	s_andn2_saveexec_b64 s[14:15], s[14:15]
	s_cbranch_execnz .LBB603_69
.LBB603_67:                             ;   in Loop: Header=BB603_3 Depth=1
	s_or_b64 exec, exec, s[14:15]
	s_and_saveexec_b64 s[14:15], s[0:1]
	s_cbranch_execnz .LBB603_70
	s_branch .LBB603_75
.LBB603_68:                             ;   in Loop: Header=BB603_3 Depth=1
	v_bfi_b32 v23, s20, 1.0, v24
                                        ; implicit-def: $vgpr24
	s_andn2_saveexec_b64 s[14:15], s[14:15]
	s_cbranch_execz .LBB603_67
.LBB603_69:                             ;   in Loop: Header=BB603_3 Depth=1
	v_mul_f32_e32 v23, v24, v24
	v_fmaak_f32 v25, v24, v24, 0x43bd0000
	v_fmaak_f32 v25, v23, v25, 0x46875a00
	v_fmamk_f32 v26, v23, 0x41e00000, v14
	v_fmaak_f32 v25, v23, v25, 0x4803f7c0
	v_fmaak_f32 v26, v23, v26, 0x4773a200
	;; [unrolled: 1-line block ×3, first 2 shown]
	v_mul_f32_e32 v24, v24, v25
	v_div_scale_f32 v25, s[16:17], v23, v23, v24
	v_rcp_f32_e32 v26, v25
	s_nop 0
	v_fma_f32 v27, -v25, v26, 1.0
	v_fmac_f32_e32 v26, v27, v26
	v_div_scale_f32 v27, vcc, v24, v23, v24
	v_mul_f32_e32 v28, v27, v26
	v_fma_f32 v29, -v25, v28, v27
	v_fmac_f32_e32 v28, v29, v26
	v_fma_f32 v25, -v25, v28, v27
	v_div_fmas_f32 v25, v25, v26, v28
	v_div_fixup_f32 v23, v25, v23, v24
	v_med3_f32 v23, v23, -1.0, 1.0
	s_or_b64 exec, exec, s[14:15]
	s_and_saveexec_b64 s[14:15], s[0:1]
	s_cbranch_execz .LBB603_75
.LBB603_70:                             ;   in Loop: Header=BB603_3 Depth=1
	v_lshlrev_b32_e32 v24, 16, v3
	v_mul_f32_e32 v25, v24, v24
	v_mul_f32_e32 v26, v25, v24
	v_mul_f32_e32 v25, 0x3f4c422a, v24
	v_fmac_f32_e32 v25, 0x3d122279, v26
	v_cmp_ge_f32_e64 s[16:17], |v25|, s19
                                        ; implicit-def: $vgpr26
	s_and_saveexec_b64 s[22:23], s[16:17]
	s_xor_b64 s[16:17], exec, s[22:23]
; %bb.71:                               ;   in Loop: Header=BB603_3 Depth=1
	v_bfi_b32 v26, s20, 1.0, v25
                                        ; implicit-def: $vgpr25
; %bb.72:                               ;   in Loop: Header=BB603_3 Depth=1
	s_andn2_saveexec_b64 s[16:17], s[16:17]
	s_cbranch_execz .LBB603_74
; %bb.73:                               ;   in Loop: Header=BB603_3 Depth=1
	v_mul_f32_e32 v26, v25, v25
	v_fmaak_f32 v27, v25, v25, 0x43bd0000
	v_fmaak_f32 v27, v26, v27, 0x46875a00
	v_fmamk_f32 v28, v26, 0x41e00000, v14
	v_fmaak_f32 v27, v26, v27, 0x4803f7c0
	v_fmaak_f32 v28, v26, v28, 0x4773a200
	;; [unrolled: 1-line block ×3, first 2 shown]
	v_mul_f32_e32 v25, v25, v27
	v_div_scale_f32 v27, s[22:23], v26, v26, v25
	v_rcp_f32_e32 v28, v27
	s_nop 0
	v_fma_f32 v29, -v27, v28, 1.0
	v_fmac_f32_e32 v28, v29, v28
	v_div_scale_f32 v29, vcc, v25, v26, v25
	v_mul_f32_e32 v30, v29, v28
	v_fma_f32 v31, -v27, v30, v29
	v_fmac_f32_e32 v30, v31, v28
	v_fma_f32 v27, -v27, v30, v29
	v_div_fmas_f32 v27, v27, v28, v30
	v_div_fixup_f32 v25, v27, v26, v25
	v_med3_f32 v26, v25, -1.0, 1.0
.LBB603_74:                             ;   in Loop: Header=BB603_3 Depth=1
	s_or_b64 exec, exec, s[16:17]
	v_fmac_f32_e32 v24, v24, v26
	v_mul_f32_e32 v24, 0.5, v24
	v_perm_b32 v3, v3, v24, s21
.LBB603_75:                             ;   in Loop: Header=BB603_3 Depth=1
	s_or_b64 exec, exec, s[14:15]
	v_and_b32_e32 v7, 0xffff0000, v7
	v_mul_f32_e32 v24, v7, v7
	v_mul_f32_e32 v24, v24, v7
	;; [unrolled: 1-line block ×3, first 2 shown]
	v_fmac_f32_e32 v25, 0x3d122279, v24
	v_cmp_ge_f32_e64 s[14:15], |v25|, s19
                                        ; implicit-def: $vgpr24
	s_and_saveexec_b64 s[16:17], s[14:15]
	s_xor_b64 s[14:15], exec, s[16:17]
	s_cbranch_execnz .LBB603_78
; %bb.76:                               ;   in Loop: Header=BB603_3 Depth=1
	s_andn2_saveexec_b64 s[14:15], s[14:15]
	s_cbranch_execnz .LBB603_79
.LBB603_77:                             ;   in Loop: Header=BB603_3 Depth=1
	s_or_b64 exec, exec, s[14:15]
	s_and_saveexec_b64 s[14:15], s[0:1]
	s_cbranch_execnz .LBB603_80
	s_branch .LBB603_85
.LBB603_78:                             ;   in Loop: Header=BB603_3 Depth=1
	v_bfi_b32 v24, s20, 1.0, v25
                                        ; implicit-def: $vgpr25
	s_andn2_saveexec_b64 s[14:15], s[14:15]
	s_cbranch_execz .LBB603_77
.LBB603_79:                             ;   in Loop: Header=BB603_3 Depth=1
	v_mul_f32_e32 v24, v25, v25
	v_fmaak_f32 v26, v25, v25, 0x43bd0000
	v_fmaak_f32 v26, v24, v26, 0x46875a00
	v_fmamk_f32 v27, v24, 0x41e00000, v14
	v_fmaak_f32 v26, v24, v26, 0x4803f7c0
	v_fmaak_f32 v27, v24, v27, 0x4773a200
	;; [unrolled: 1-line block ×3, first 2 shown]
	v_mul_f32_e32 v25, v25, v26
	v_div_scale_f32 v26, s[16:17], v24, v24, v25
	v_rcp_f32_e32 v27, v26
	s_nop 0
	v_fma_f32 v28, -v26, v27, 1.0
	v_fmac_f32_e32 v27, v28, v27
	v_div_scale_f32 v28, vcc, v25, v24, v25
	v_mul_f32_e32 v29, v28, v27
	v_fma_f32 v30, -v26, v29, v28
	v_fmac_f32_e32 v29, v30, v27
	v_fma_f32 v26, -v26, v29, v28
	v_div_fmas_f32 v26, v26, v27, v29
	v_div_fixup_f32 v24, v26, v24, v25
	v_med3_f32 v24, v24, -1.0, 1.0
	s_or_b64 exec, exec, s[14:15]
	s_and_saveexec_b64 s[14:15], s[0:1]
	s_cbranch_execz .LBB603_85
.LBB603_80:                             ;   in Loop: Header=BB603_3 Depth=1
	v_and_b32_e32 v25, 0xffff0000, v3
	v_mul_f32_e32 v26, v25, v25
	v_mul_f32_e32 v27, v26, v25
	;; [unrolled: 1-line block ×3, first 2 shown]
	v_fmac_f32_e32 v26, 0x3d122279, v27
	v_cmp_ge_f32_e64 s[16:17], |v26|, s19
                                        ; implicit-def: $vgpr27
	s_and_saveexec_b64 s[22:23], s[16:17]
	s_xor_b64 s[16:17], exec, s[22:23]
; %bb.81:                               ;   in Loop: Header=BB603_3 Depth=1
	v_bfi_b32 v27, s20, 1.0, v26
                                        ; implicit-def: $vgpr26
; %bb.82:                               ;   in Loop: Header=BB603_3 Depth=1
	s_andn2_saveexec_b64 s[16:17], s[16:17]
	s_cbranch_execz .LBB603_84
; %bb.83:                               ;   in Loop: Header=BB603_3 Depth=1
	v_mul_f32_e32 v27, v26, v26
	v_fmaak_f32 v28, v26, v26, 0x43bd0000
	v_fmaak_f32 v28, v27, v28, 0x46875a00
	v_fmamk_f32 v29, v27, 0x41e00000, v14
	v_fmaak_f32 v28, v27, v28, 0x4803f7c0
	v_fmaak_f32 v29, v27, v29, 0x4773a200
	;; [unrolled: 1-line block ×3, first 2 shown]
	v_mul_f32_e32 v26, v26, v28
	v_div_scale_f32 v28, s[22:23], v27, v27, v26
	v_rcp_f32_e32 v29, v28
	s_nop 0
	v_fma_f32 v30, -v28, v29, 1.0
	v_fmac_f32_e32 v29, v30, v29
	v_div_scale_f32 v30, vcc, v26, v27, v26
	v_mul_f32_e32 v31, v30, v29
	v_fma_f32 v32, -v28, v31, v30
	v_fmac_f32_e32 v31, v32, v29
	v_fma_f32 v28, -v28, v31, v30
	v_div_fmas_f32 v28, v28, v29, v31
	v_div_fixup_f32 v26, v28, v27, v26
	v_med3_f32 v27, v26, -1.0, 1.0
.LBB603_84:                             ;   in Loop: Header=BB603_3 Depth=1
	s_or_b64 exec, exec, s[16:17]
	v_fmac_f32_e32 v25, v25, v27
	v_mul_f32_e32 v25, 0.5, v25
	v_bfi_b32 v3, s18, v3, v25
.LBB603_85:                             ;   in Loop: Header=BB603_3 Depth=1
	s_or_b64 exec, exec, s[14:15]
	v_fmac_f32_e32 v12, v12, v13
	v_fmac_f32_e32 v4, v4, v15
	;; [unrolled: 1-line block ×8, first 2 shown]
	v_mul_f32_e32 v12, 0.5, v12
	v_mul_f32_e32 v4, 0.5, v4
	;; [unrolled: 1-line block ×8, first 2 shown]
	v_perm_b32 v19, v7, v16, s21
	v_perm_b32 v18, v6, v15, s21
	;; [unrolled: 1-line block ×4, first 2 shown]
	v_lshl_add_u64 v[4:5], s[4:5], 0, v[10:11]
	global_store_dwordx4 v[4:5], v[16:19], off offset:-16
	s_and_saveexec_b64 s[14:15], s[0:1]
	s_cbranch_execz .LBB603_2
; %bb.86:                               ;   in Loop: Header=BB603_3 Depth=1
	global_store_dwordx4 v[4:5], v[0:3], off
	s_branch .LBB603_2
.LBB603_87:
	s_endpgm
	.section	.rodata,"a",@progbits
	.p2align	6, 0x0
	.amdhsa_kernel _ZN5aiter21activation_kernel_vecItTnPFfRKT_EXadL_ZNS_16gelu_fast_kernelItEEfS3_EELi8EEEvPS1_PS2_l
		.amdhsa_group_segment_fixed_size 0
		.amdhsa_private_segment_fixed_size 0
		.amdhsa_kernarg_size 280
		.amdhsa_user_sgpr_count 2
		.amdhsa_user_sgpr_dispatch_ptr 0
		.amdhsa_user_sgpr_queue_ptr 0
		.amdhsa_user_sgpr_kernarg_segment_ptr 1
		.amdhsa_user_sgpr_dispatch_id 0
		.amdhsa_user_sgpr_kernarg_preload_length 0
		.amdhsa_user_sgpr_kernarg_preload_offset 0
		.amdhsa_user_sgpr_private_segment_size 0
		.amdhsa_uses_dynamic_stack 0
		.amdhsa_enable_private_segment 0
		.amdhsa_system_sgpr_workgroup_id_x 1
		.amdhsa_system_sgpr_workgroup_id_y 0
		.amdhsa_system_sgpr_workgroup_id_z 0
		.amdhsa_system_sgpr_workgroup_info 0
		.amdhsa_system_vgpr_workitem_id 0
		.amdhsa_next_free_vgpr 33
		.amdhsa_next_free_sgpr 24
		.amdhsa_accum_offset 36
		.amdhsa_reserve_vcc 1
		.amdhsa_float_round_mode_32 0
		.amdhsa_float_round_mode_16_64 0
		.amdhsa_float_denorm_mode_32 3
		.amdhsa_float_denorm_mode_16_64 3
		.amdhsa_dx10_clamp 1
		.amdhsa_ieee_mode 1
		.amdhsa_fp16_overflow 0
		.amdhsa_tg_split 0
		.amdhsa_exception_fp_ieee_invalid_op 0
		.amdhsa_exception_fp_denorm_src 0
		.amdhsa_exception_fp_ieee_div_zero 0
		.amdhsa_exception_fp_ieee_overflow 0
		.amdhsa_exception_fp_ieee_underflow 0
		.amdhsa_exception_fp_ieee_inexact 0
		.amdhsa_exception_int_div_zero 0
	.end_amdhsa_kernel
	.section	.text._ZN5aiter21activation_kernel_vecItTnPFfRKT_EXadL_ZNS_16gelu_fast_kernelItEEfS3_EELi8EEEvPS1_PS2_l,"axG",@progbits,_ZN5aiter21activation_kernel_vecItTnPFfRKT_EXadL_ZNS_16gelu_fast_kernelItEEfS3_EELi8EEEvPS1_PS2_l,comdat
.Lfunc_end603:
	.size	_ZN5aiter21activation_kernel_vecItTnPFfRKT_EXadL_ZNS_16gelu_fast_kernelItEEfS3_EELi8EEEvPS1_PS2_l, .Lfunc_end603-_ZN5aiter21activation_kernel_vecItTnPFfRKT_EXadL_ZNS_16gelu_fast_kernelItEEfS3_EELi8EEEvPS1_PS2_l
                                        ; -- End function
	.section	.AMDGPU.csdata,"",@progbits
; Kernel info:
; codeLenInByte = 4124
; NumSgprs: 30
; NumVgprs: 33
; NumAgprs: 0
; TotalNumVgprs: 33
; ScratchSize: 0
; MemoryBound: 0
; FloatMode: 240
; IeeeMode: 1
; LDSByteSize: 0 bytes/workgroup (compile time only)
; SGPRBlocks: 3
; VGPRBlocks: 4
; NumSGPRsForWavesPerEU: 30
; NumVGPRsForWavesPerEU: 33
; AccumOffset: 36
; Occupancy: 8
; WaveLimiterHint : 0
; COMPUTE_PGM_RSRC2:SCRATCH_EN: 0
; COMPUTE_PGM_RSRC2:USER_SGPR: 2
; COMPUTE_PGM_RSRC2:TRAP_HANDLER: 0
; COMPUTE_PGM_RSRC2:TGID_X_EN: 1
; COMPUTE_PGM_RSRC2:TGID_Y_EN: 0
; COMPUTE_PGM_RSRC2:TGID_Z_EN: 0
; COMPUTE_PGM_RSRC2:TIDIG_COMP_CNT: 0
; COMPUTE_PGM_RSRC3_GFX90A:ACCUM_OFFSET: 8
; COMPUTE_PGM_RSRC3_GFX90A:TG_SPLIT: 0
	.section	.text._ZN5aiter21activation_kernel_vecItTnPFfRKT_EXadL_ZNS_16gelu_fast_kernelItEEfS3_EELi4EEEvPS1_PS2_l,"axG",@progbits,_ZN5aiter21activation_kernel_vecItTnPFfRKT_EXadL_ZNS_16gelu_fast_kernelItEEfS3_EELi4EEEvPS1_PS2_l,comdat
	.protected	_ZN5aiter21activation_kernel_vecItTnPFfRKT_EXadL_ZNS_16gelu_fast_kernelItEEfS3_EELi4EEEvPS1_PS2_l ; -- Begin function _ZN5aiter21activation_kernel_vecItTnPFfRKT_EXadL_ZNS_16gelu_fast_kernelItEEfS3_EELi4EEEvPS1_PS2_l
	.globl	_ZN5aiter21activation_kernel_vecItTnPFfRKT_EXadL_ZNS_16gelu_fast_kernelItEEfS3_EELi4EEEvPS1_PS2_l
	.p2align	8
	.type	_ZN5aiter21activation_kernel_vecItTnPFfRKT_EXadL_ZNS_16gelu_fast_kernelItEEfS3_EELi4EEEvPS1_PS2_l,@function
_ZN5aiter21activation_kernel_vecItTnPFfRKT_EXadL_ZNS_16gelu_fast_kernelItEEfS3_EELi4EEEvPS1_PS2_l: ; @_ZN5aiter21activation_kernel_vecItTnPFfRKT_EXadL_ZNS_16gelu_fast_kernelItEEfS3_EELi4EEEvPS1_PS2_l
; %bb.0:
	s_load_dword s3, s[0:1], 0x24
	s_load_dwordx2 s[8:9], s[0:1], 0x10
	s_add_u32 s10, s0, 24
	s_addc_u32 s11, s1, 0
	v_mov_b32_e32 v1, 0
	s_waitcnt lgkmcnt(0)
	s_and_b32 s12, s3, 0xffff
	s_mul_i32 s2, s2, s12
	v_add_lshl_u32 v0, s2, v0, 3
	s_mov_b32 s18, 0xffff
	v_cmp_gt_i64_e32 vcc, s[8:9], v[0:1]
	s_and_saveexec_b64 s[2:3], vcc
	s_cbranch_execz .LBB604_47
; %bb.1:
	s_load_dword s2, s[10:11], 0x0
	s_load_dwordx4 s[4:7], s[0:1], 0x0
	s_mov_b32 s3, 0
	v_lshl_add_u64 v[2:3], v[0:1], 1, 8
	s_mov_b64 s[10:11], 0
	s_waitcnt lgkmcnt(0)
	s_mul_i32 s2, s2, s12
	s_lshl_b32 s2, s2, 3
	s_lshl_b64 s[12:13], s[2:3], 1
	s_mov_b32 s19, 0x40733333
	s_brev_b32 s20, -2
                                        ; implicit-def: $vgpr4
                                        ; implicit-def: $vgpr4
	;; [unrolled: 1-line block ×3, first 2 shown]
	v_mov_b32_e32 v10, 0x4544e000
                                        ; implicit-def: $vgpr4
	s_mov_b32 s21, 0x7060302
                                        ; implicit-def: $vgpr4_vgpr5
	s_branch .LBB604_3
.LBB604_2:                              ;   in Loop: Header=BB604_3 Depth=1
	s_or_b64 exec, exec, s[14:15]
	v_lshl_add_u64 v[0:1], v[0:1], 0, s[2:3]
	v_cmp_le_i64_e32 vcc, s[8:9], v[0:1]
	s_or_b64 s[10:11], vcc, s[10:11]
	v_lshl_add_u64 v[2:3], v[2:3], 0, s[12:13]
	s_andn2_b64 exec, exec, s[10:11]
	s_cbranch_execz .LBB604_47
.LBB604_3:                              ; =>This Inner Loop Header: Depth=1
	v_lshl_add_u64 v[8:9], s[6:7], 0, v[2:3]
	global_load_dwordx2 v[6:7], v[8:9], off offset:-8
	v_lshl_add_u64 v[12:13], v[0:1], 0, 4
	v_cmp_gt_i64_e64 s[0:1], s[8:9], v[12:13]
	s_and_saveexec_b64 s[14:15], s[0:1]
	s_cbranch_execz .LBB604_5
; %bb.4:                                ;   in Loop: Header=BB604_3 Depth=1
	global_load_dwordx2 v[4:5], v[8:9], off
.LBB604_5:                              ;   in Loop: Header=BB604_3 Depth=1
	s_or_b64 exec, exec, s[14:15]
	s_waitcnt vmcnt(0)
	v_lshlrev_b32_e32 v8, 16, v6
	v_mul_f32_e32 v9, v8, v8
	v_mul_f32_e32 v9, v9, v8
	v_mul_f32_e32 v11, 0x3f4c422a, v8
	v_fmac_f32_e32 v11, 0x3d122279, v9
	v_cmp_ge_f32_e64 s[14:15], |v11|, s19
                                        ; implicit-def: $vgpr9
	s_and_saveexec_b64 s[16:17], s[14:15]
	s_xor_b64 s[14:15], exec, s[16:17]
	s_cbranch_execnz .LBB604_8
; %bb.6:                                ;   in Loop: Header=BB604_3 Depth=1
	s_andn2_saveexec_b64 s[14:15], s[14:15]
	s_cbranch_execnz .LBB604_9
.LBB604_7:                              ;   in Loop: Header=BB604_3 Depth=1
	s_or_b64 exec, exec, s[14:15]
	s_and_saveexec_b64 s[14:15], s[0:1]
	s_cbranch_execnz .LBB604_10
	s_branch .LBB604_15
.LBB604_8:                              ;   in Loop: Header=BB604_3 Depth=1
	v_bfi_b32 v9, s20, 1.0, v11
                                        ; implicit-def: $vgpr11
	s_andn2_saveexec_b64 s[14:15], s[14:15]
	s_cbranch_execz .LBB604_7
.LBB604_9:                              ;   in Loop: Header=BB604_3 Depth=1
	v_mul_f32_e32 v9, v11, v11
	v_fmaak_f32 v12, v11, v11, 0x43bd0000
	v_fmaak_f32 v12, v9, v12, 0x46875a00
	v_fmamk_f32 v13, v9, 0x41e00000, v10
	v_fmaak_f32 v12, v9, v12, 0x4803f7c0
	v_fmaak_f32 v13, v9, v13, 0x4773a200
	;; [unrolled: 1-line block ×3, first 2 shown]
	v_mul_f32_e32 v11, v11, v12
	v_div_scale_f32 v12, s[16:17], v9, v9, v11
	v_rcp_f32_e32 v13, v12
	s_nop 0
	v_fma_f32 v14, -v12, v13, 1.0
	v_fmac_f32_e32 v13, v14, v13
	v_div_scale_f32 v14, vcc, v11, v9, v11
	v_mul_f32_e32 v15, v14, v13
	v_fma_f32 v16, -v12, v15, v14
	v_fmac_f32_e32 v15, v16, v13
	v_fma_f32 v12, -v12, v15, v14
	v_div_fmas_f32 v12, v12, v13, v15
	v_div_fixup_f32 v9, v12, v9, v11
	v_med3_f32 v9, v9, -1.0, 1.0
	s_or_b64 exec, exec, s[14:15]
	s_and_saveexec_b64 s[14:15], s[0:1]
	s_cbranch_execz .LBB604_15
.LBB604_10:                             ;   in Loop: Header=BB604_3 Depth=1
	v_lshlrev_b32_e32 v11, 16, v4
	v_mul_f32_e32 v12, v11, v11
	v_mul_f32_e32 v13, v12, v11
	;; [unrolled: 1-line block ×3, first 2 shown]
	v_fmac_f32_e32 v12, 0x3d122279, v13
	v_cmp_ge_f32_e64 s[16:17], |v12|, s19
                                        ; implicit-def: $vgpr13
	s_and_saveexec_b64 s[22:23], s[16:17]
	s_xor_b64 s[16:17], exec, s[22:23]
; %bb.11:                               ;   in Loop: Header=BB604_3 Depth=1
	v_bfi_b32 v13, s20, 1.0, v12
                                        ; implicit-def: $vgpr12
; %bb.12:                               ;   in Loop: Header=BB604_3 Depth=1
	s_andn2_saveexec_b64 s[16:17], s[16:17]
	s_cbranch_execz .LBB604_14
; %bb.13:                               ;   in Loop: Header=BB604_3 Depth=1
	v_mul_f32_e32 v13, v12, v12
	v_fmaak_f32 v14, v12, v12, 0x43bd0000
	v_fmaak_f32 v14, v13, v14, 0x46875a00
	v_fmamk_f32 v15, v13, 0x41e00000, v10
	v_fmaak_f32 v14, v13, v14, 0x4803f7c0
	v_fmaak_f32 v15, v13, v15, 0x4773a200
	;; [unrolled: 1-line block ×3, first 2 shown]
	v_mul_f32_e32 v12, v12, v14
	v_div_scale_f32 v14, s[22:23], v13, v13, v12
	v_rcp_f32_e32 v15, v14
	s_nop 0
	v_fma_f32 v16, -v14, v15, 1.0
	v_fmac_f32_e32 v15, v16, v15
	v_div_scale_f32 v16, vcc, v12, v13, v12
	v_mul_f32_e32 v17, v16, v15
	v_fma_f32 v18, -v14, v17, v16
	v_fmac_f32_e32 v17, v18, v15
	v_fma_f32 v14, -v14, v17, v16
	v_div_fmas_f32 v14, v14, v15, v17
	v_div_fixup_f32 v12, v14, v13, v12
	v_med3_f32 v13, v12, -1.0, 1.0
.LBB604_14:                             ;   in Loop: Header=BB604_3 Depth=1
	s_or_b64 exec, exec, s[16:17]
	v_fmac_f32_e32 v11, v11, v13
	v_mul_f32_e32 v11, 0.5, v11
	v_perm_b32 v4, v4, v11, s21
.LBB604_15:                             ;   in Loop: Header=BB604_3 Depth=1
	s_or_b64 exec, exec, s[14:15]
	v_and_b32_e32 v6, 0xffff0000, v6
	v_mul_f32_e32 v11, v6, v6
	v_mul_f32_e32 v11, v11, v6
	;; [unrolled: 1-line block ×3, first 2 shown]
	v_fmac_f32_e32 v12, 0x3d122279, v11
	v_cmp_ge_f32_e64 s[14:15], |v12|, s19
                                        ; implicit-def: $vgpr11
	s_and_saveexec_b64 s[16:17], s[14:15]
	s_xor_b64 s[14:15], exec, s[16:17]
	s_cbranch_execnz .LBB604_18
; %bb.16:                               ;   in Loop: Header=BB604_3 Depth=1
	s_andn2_saveexec_b64 s[14:15], s[14:15]
	s_cbranch_execnz .LBB604_19
.LBB604_17:                             ;   in Loop: Header=BB604_3 Depth=1
	s_or_b64 exec, exec, s[14:15]
	s_and_saveexec_b64 s[14:15], s[0:1]
	s_cbranch_execnz .LBB604_20
	s_branch .LBB604_25
.LBB604_18:                             ;   in Loop: Header=BB604_3 Depth=1
	v_bfi_b32 v11, s20, 1.0, v12
                                        ; implicit-def: $vgpr12
	s_andn2_saveexec_b64 s[14:15], s[14:15]
	s_cbranch_execz .LBB604_17
.LBB604_19:                             ;   in Loop: Header=BB604_3 Depth=1
	v_mul_f32_e32 v11, v12, v12
	v_fmaak_f32 v13, v12, v12, 0x43bd0000
	v_fmaak_f32 v13, v11, v13, 0x46875a00
	v_fmamk_f32 v14, v11, 0x41e00000, v10
	v_fmaak_f32 v13, v11, v13, 0x4803f7c0
	v_fmaak_f32 v14, v11, v14, 0x4773a200
	;; [unrolled: 1-line block ×3, first 2 shown]
	v_mul_f32_e32 v12, v12, v13
	v_div_scale_f32 v13, s[16:17], v11, v11, v12
	v_rcp_f32_e32 v14, v13
	s_nop 0
	v_fma_f32 v15, -v13, v14, 1.0
	v_fmac_f32_e32 v14, v15, v14
	v_div_scale_f32 v15, vcc, v12, v11, v12
	v_mul_f32_e32 v16, v15, v14
	v_fma_f32 v17, -v13, v16, v15
	v_fmac_f32_e32 v16, v17, v14
	v_fma_f32 v13, -v13, v16, v15
	v_div_fmas_f32 v13, v13, v14, v16
	v_div_fixup_f32 v11, v13, v11, v12
	v_med3_f32 v11, v11, -1.0, 1.0
	s_or_b64 exec, exec, s[14:15]
	s_and_saveexec_b64 s[14:15], s[0:1]
	s_cbranch_execz .LBB604_25
.LBB604_20:                             ;   in Loop: Header=BB604_3 Depth=1
	v_and_b32_e32 v12, 0xffff0000, v4
	v_mul_f32_e32 v13, v12, v12
	v_mul_f32_e32 v14, v13, v12
	;; [unrolled: 1-line block ×3, first 2 shown]
	v_fmac_f32_e32 v13, 0x3d122279, v14
	v_cmp_ge_f32_e64 s[16:17], |v13|, s19
                                        ; implicit-def: $vgpr14
	s_and_saveexec_b64 s[22:23], s[16:17]
	s_xor_b64 s[16:17], exec, s[22:23]
; %bb.21:                               ;   in Loop: Header=BB604_3 Depth=1
	v_bfi_b32 v14, s20, 1.0, v13
                                        ; implicit-def: $vgpr13
; %bb.22:                               ;   in Loop: Header=BB604_3 Depth=1
	s_andn2_saveexec_b64 s[16:17], s[16:17]
	s_cbranch_execz .LBB604_24
; %bb.23:                               ;   in Loop: Header=BB604_3 Depth=1
	v_mul_f32_e32 v14, v13, v13
	v_fmaak_f32 v15, v13, v13, 0x43bd0000
	v_fmaak_f32 v15, v14, v15, 0x46875a00
	v_fmamk_f32 v16, v14, 0x41e00000, v10
	v_fmaak_f32 v15, v14, v15, 0x4803f7c0
	v_fmaak_f32 v16, v14, v16, 0x4773a200
	;; [unrolled: 1-line block ×3, first 2 shown]
	v_mul_f32_e32 v13, v13, v15
	v_div_scale_f32 v15, s[22:23], v14, v14, v13
	v_rcp_f32_e32 v16, v15
	s_nop 0
	v_fma_f32 v17, -v15, v16, 1.0
	v_fmac_f32_e32 v16, v17, v16
	v_div_scale_f32 v17, vcc, v13, v14, v13
	v_mul_f32_e32 v18, v17, v16
	v_fma_f32 v19, -v15, v18, v17
	v_fmac_f32_e32 v18, v19, v16
	v_fma_f32 v15, -v15, v18, v17
	v_div_fmas_f32 v15, v15, v16, v18
	v_div_fixup_f32 v13, v15, v14, v13
	v_med3_f32 v14, v13, -1.0, 1.0
.LBB604_24:                             ;   in Loop: Header=BB604_3 Depth=1
	s_or_b64 exec, exec, s[16:17]
	v_fmac_f32_e32 v12, v12, v14
	v_mul_f32_e32 v12, 0.5, v12
	v_bfi_b32 v4, s18, v4, v12
.LBB604_25:                             ;   in Loop: Header=BB604_3 Depth=1
	s_or_b64 exec, exec, s[14:15]
	v_lshlrev_b32_e32 v12, 16, v7
	v_mul_f32_e32 v13, v12, v12
	v_mul_f32_e32 v13, v13, v12
	;; [unrolled: 1-line block ×3, first 2 shown]
	v_fmac_f32_e32 v14, 0x3d122279, v13
	v_cmp_ge_f32_e64 s[14:15], |v14|, s19
                                        ; implicit-def: $vgpr13
	s_and_saveexec_b64 s[16:17], s[14:15]
	s_xor_b64 s[14:15], exec, s[16:17]
	s_cbranch_execnz .LBB604_28
; %bb.26:                               ;   in Loop: Header=BB604_3 Depth=1
	s_andn2_saveexec_b64 s[14:15], s[14:15]
	s_cbranch_execnz .LBB604_29
.LBB604_27:                             ;   in Loop: Header=BB604_3 Depth=1
	s_or_b64 exec, exec, s[14:15]
	s_and_saveexec_b64 s[14:15], s[0:1]
	s_cbranch_execnz .LBB604_30
	s_branch .LBB604_35
.LBB604_28:                             ;   in Loop: Header=BB604_3 Depth=1
	v_bfi_b32 v13, s20, 1.0, v14
                                        ; implicit-def: $vgpr14
	s_andn2_saveexec_b64 s[14:15], s[14:15]
	s_cbranch_execz .LBB604_27
.LBB604_29:                             ;   in Loop: Header=BB604_3 Depth=1
	v_mul_f32_e32 v13, v14, v14
	v_fmaak_f32 v15, v14, v14, 0x43bd0000
	v_fmaak_f32 v15, v13, v15, 0x46875a00
	v_fmamk_f32 v16, v13, 0x41e00000, v10
	v_fmaak_f32 v15, v13, v15, 0x4803f7c0
	v_fmaak_f32 v16, v13, v16, 0x4773a200
	;; [unrolled: 1-line block ×3, first 2 shown]
	v_mul_f32_e32 v14, v14, v15
	v_div_scale_f32 v15, s[16:17], v13, v13, v14
	v_rcp_f32_e32 v16, v15
	s_nop 0
	v_fma_f32 v17, -v15, v16, 1.0
	v_fmac_f32_e32 v16, v17, v16
	v_div_scale_f32 v17, vcc, v14, v13, v14
	v_mul_f32_e32 v18, v17, v16
	v_fma_f32 v19, -v15, v18, v17
	v_fmac_f32_e32 v18, v19, v16
	v_fma_f32 v15, -v15, v18, v17
	v_div_fmas_f32 v15, v15, v16, v18
	v_div_fixup_f32 v13, v15, v13, v14
	v_med3_f32 v13, v13, -1.0, 1.0
	s_or_b64 exec, exec, s[14:15]
	s_and_saveexec_b64 s[14:15], s[0:1]
	s_cbranch_execz .LBB604_35
.LBB604_30:                             ;   in Loop: Header=BB604_3 Depth=1
	v_lshlrev_b32_e32 v14, 16, v5
	v_mul_f32_e32 v15, v14, v14
	v_mul_f32_e32 v16, v15, v14
	;; [unrolled: 1-line block ×3, first 2 shown]
	v_fmac_f32_e32 v15, 0x3d122279, v16
	v_cmp_ge_f32_e64 s[16:17], |v15|, s19
                                        ; implicit-def: $vgpr16
	s_and_saveexec_b64 s[22:23], s[16:17]
	s_xor_b64 s[16:17], exec, s[22:23]
; %bb.31:                               ;   in Loop: Header=BB604_3 Depth=1
	v_bfi_b32 v16, s20, 1.0, v15
                                        ; implicit-def: $vgpr15
; %bb.32:                               ;   in Loop: Header=BB604_3 Depth=1
	s_andn2_saveexec_b64 s[16:17], s[16:17]
	s_cbranch_execz .LBB604_34
; %bb.33:                               ;   in Loop: Header=BB604_3 Depth=1
	v_mul_f32_e32 v16, v15, v15
	v_fmaak_f32 v17, v15, v15, 0x43bd0000
	v_fmaak_f32 v17, v16, v17, 0x46875a00
	v_fmamk_f32 v18, v16, 0x41e00000, v10
	v_fmaak_f32 v17, v16, v17, 0x4803f7c0
	v_fmaak_f32 v18, v16, v18, 0x4773a200
	;; [unrolled: 1-line block ×3, first 2 shown]
	v_mul_f32_e32 v15, v15, v17
	v_div_scale_f32 v17, s[22:23], v16, v16, v15
	v_rcp_f32_e32 v18, v17
	s_nop 0
	v_fma_f32 v19, -v17, v18, 1.0
	v_fmac_f32_e32 v18, v19, v18
	v_div_scale_f32 v19, vcc, v15, v16, v15
	v_mul_f32_e32 v20, v19, v18
	v_fma_f32 v21, -v17, v20, v19
	v_fmac_f32_e32 v20, v21, v18
	v_fma_f32 v17, -v17, v20, v19
	v_div_fmas_f32 v17, v17, v18, v20
	v_div_fixup_f32 v15, v17, v16, v15
	v_med3_f32 v16, v15, -1.0, 1.0
.LBB604_34:                             ;   in Loop: Header=BB604_3 Depth=1
	s_or_b64 exec, exec, s[16:17]
	v_fmac_f32_e32 v14, v14, v16
	v_mul_f32_e32 v14, 0.5, v14
	v_perm_b32 v5, v5, v14, s21
.LBB604_35:                             ;   in Loop: Header=BB604_3 Depth=1
	s_or_b64 exec, exec, s[14:15]
	v_and_b32_e32 v7, 0xffff0000, v7
	v_mul_f32_e32 v14, v7, v7
	v_mul_f32_e32 v14, v14, v7
	;; [unrolled: 1-line block ×3, first 2 shown]
	v_fmac_f32_e32 v15, 0x3d122279, v14
	v_cmp_ge_f32_e64 s[14:15], |v15|, s19
                                        ; implicit-def: $vgpr14
	s_and_saveexec_b64 s[16:17], s[14:15]
	s_xor_b64 s[14:15], exec, s[16:17]
	s_cbranch_execnz .LBB604_38
; %bb.36:                               ;   in Loop: Header=BB604_3 Depth=1
	s_andn2_saveexec_b64 s[14:15], s[14:15]
	s_cbranch_execnz .LBB604_39
.LBB604_37:                             ;   in Loop: Header=BB604_3 Depth=1
	s_or_b64 exec, exec, s[14:15]
	s_and_saveexec_b64 s[14:15], s[0:1]
	s_cbranch_execnz .LBB604_40
	s_branch .LBB604_45
.LBB604_38:                             ;   in Loop: Header=BB604_3 Depth=1
	v_bfi_b32 v14, s20, 1.0, v15
                                        ; implicit-def: $vgpr15
	s_andn2_saveexec_b64 s[14:15], s[14:15]
	s_cbranch_execz .LBB604_37
.LBB604_39:                             ;   in Loop: Header=BB604_3 Depth=1
	v_mul_f32_e32 v14, v15, v15
	v_fmaak_f32 v16, v15, v15, 0x43bd0000
	v_fmaak_f32 v16, v14, v16, 0x46875a00
	v_fmamk_f32 v17, v14, 0x41e00000, v10
	v_fmaak_f32 v16, v14, v16, 0x4803f7c0
	v_fmaak_f32 v17, v14, v17, 0x4773a200
	;; [unrolled: 1-line block ×3, first 2 shown]
	v_mul_f32_e32 v15, v15, v16
	v_div_scale_f32 v16, s[16:17], v14, v14, v15
	v_rcp_f32_e32 v17, v16
	s_nop 0
	v_fma_f32 v18, -v16, v17, 1.0
	v_fmac_f32_e32 v17, v18, v17
	v_div_scale_f32 v18, vcc, v15, v14, v15
	v_mul_f32_e32 v19, v18, v17
	v_fma_f32 v20, -v16, v19, v18
	v_fmac_f32_e32 v19, v20, v17
	v_fma_f32 v16, -v16, v19, v18
	v_div_fmas_f32 v16, v16, v17, v19
	v_div_fixup_f32 v14, v16, v14, v15
	v_med3_f32 v14, v14, -1.0, 1.0
	s_or_b64 exec, exec, s[14:15]
	s_and_saveexec_b64 s[14:15], s[0:1]
	s_cbranch_execz .LBB604_45
.LBB604_40:                             ;   in Loop: Header=BB604_3 Depth=1
	v_and_b32_e32 v15, 0xffff0000, v5
	v_mul_f32_e32 v16, v15, v15
	v_mul_f32_e32 v17, v16, v15
	;; [unrolled: 1-line block ×3, first 2 shown]
	v_fmac_f32_e32 v16, 0x3d122279, v17
	v_cmp_ge_f32_e64 s[16:17], |v16|, s19
                                        ; implicit-def: $vgpr17
	s_and_saveexec_b64 s[22:23], s[16:17]
	s_xor_b64 s[16:17], exec, s[22:23]
; %bb.41:                               ;   in Loop: Header=BB604_3 Depth=1
	v_bfi_b32 v17, s20, 1.0, v16
                                        ; implicit-def: $vgpr16
; %bb.42:                               ;   in Loop: Header=BB604_3 Depth=1
	s_andn2_saveexec_b64 s[16:17], s[16:17]
	s_cbranch_execz .LBB604_44
; %bb.43:                               ;   in Loop: Header=BB604_3 Depth=1
	v_mul_f32_e32 v17, v16, v16
	v_fmaak_f32 v18, v16, v16, 0x43bd0000
	v_fmaak_f32 v18, v17, v18, 0x46875a00
	v_fmamk_f32 v19, v17, 0x41e00000, v10
	v_fmaak_f32 v18, v17, v18, 0x4803f7c0
	v_fmaak_f32 v19, v17, v19, 0x4773a200
	;; [unrolled: 1-line block ×3, first 2 shown]
	v_mul_f32_e32 v16, v16, v18
	v_div_scale_f32 v18, s[22:23], v17, v17, v16
	v_rcp_f32_e32 v19, v18
	s_nop 0
	v_fma_f32 v20, -v18, v19, 1.0
	v_fmac_f32_e32 v19, v20, v19
	v_div_scale_f32 v20, vcc, v16, v17, v16
	v_mul_f32_e32 v21, v20, v19
	v_fma_f32 v22, -v18, v21, v20
	v_fmac_f32_e32 v21, v22, v19
	v_fma_f32 v18, -v18, v21, v20
	v_div_fmas_f32 v18, v18, v19, v21
	v_div_fixup_f32 v16, v18, v17, v16
	v_med3_f32 v17, v16, -1.0, 1.0
.LBB604_44:                             ;   in Loop: Header=BB604_3 Depth=1
	s_or_b64 exec, exec, s[16:17]
	v_fmac_f32_e32 v15, v15, v17
	v_mul_f32_e32 v15, 0.5, v15
	v_bfi_b32 v5, s18, v5, v15
.LBB604_45:                             ;   in Loop: Header=BB604_3 Depth=1
	s_or_b64 exec, exec, s[14:15]
	v_fmac_f32_e32 v8, v8, v9
	v_fmac_f32_e32 v6, v6, v11
	;; [unrolled: 1-line block ×4, first 2 shown]
	v_mul_f32_e32 v8, 0.5, v8
	v_mul_f32_e32 v6, 0.5, v6
	;; [unrolled: 1-line block ×4, first 2 shown]
	v_perm_b32 v9, v7, v9, s21
	v_perm_b32 v8, v6, v8, s21
	v_lshl_add_u64 v[6:7], s[4:5], 0, v[2:3]
	global_store_dwordx2 v[6:7], v[8:9], off offset:-8
	s_and_saveexec_b64 s[14:15], s[0:1]
	s_cbranch_execz .LBB604_2
; %bb.46:                               ;   in Loop: Header=BB604_3 Depth=1
	global_store_dwordx2 v[6:7], v[4:5], off
	s_branch .LBB604_2
.LBB604_47:
	s_endpgm
	.section	.rodata,"a",@progbits
	.p2align	6, 0x0
	.amdhsa_kernel _ZN5aiter21activation_kernel_vecItTnPFfRKT_EXadL_ZNS_16gelu_fast_kernelItEEfS3_EELi4EEEvPS1_PS2_l
		.amdhsa_group_segment_fixed_size 0
		.amdhsa_private_segment_fixed_size 0
		.amdhsa_kernarg_size 280
		.amdhsa_user_sgpr_count 2
		.amdhsa_user_sgpr_dispatch_ptr 0
		.amdhsa_user_sgpr_queue_ptr 0
		.amdhsa_user_sgpr_kernarg_segment_ptr 1
		.amdhsa_user_sgpr_dispatch_id 0
		.amdhsa_user_sgpr_kernarg_preload_length 0
		.amdhsa_user_sgpr_kernarg_preload_offset 0
		.amdhsa_user_sgpr_private_segment_size 0
		.amdhsa_uses_dynamic_stack 0
		.amdhsa_enable_private_segment 0
		.amdhsa_system_sgpr_workgroup_id_x 1
		.amdhsa_system_sgpr_workgroup_id_y 0
		.amdhsa_system_sgpr_workgroup_id_z 0
		.amdhsa_system_sgpr_workgroup_info 0
		.amdhsa_system_vgpr_workitem_id 0
		.amdhsa_next_free_vgpr 23
		.amdhsa_next_free_sgpr 24
		.amdhsa_accum_offset 24
		.amdhsa_reserve_vcc 1
		.amdhsa_float_round_mode_32 0
		.amdhsa_float_round_mode_16_64 0
		.amdhsa_float_denorm_mode_32 3
		.amdhsa_float_denorm_mode_16_64 3
		.amdhsa_dx10_clamp 1
		.amdhsa_ieee_mode 1
		.amdhsa_fp16_overflow 0
		.amdhsa_tg_split 0
		.amdhsa_exception_fp_ieee_invalid_op 0
		.amdhsa_exception_fp_denorm_src 0
		.amdhsa_exception_fp_ieee_div_zero 0
		.amdhsa_exception_fp_ieee_overflow 0
		.amdhsa_exception_fp_ieee_underflow 0
		.amdhsa_exception_fp_ieee_inexact 0
		.amdhsa_exception_int_div_zero 0
	.end_amdhsa_kernel
	.section	.text._ZN5aiter21activation_kernel_vecItTnPFfRKT_EXadL_ZNS_16gelu_fast_kernelItEEfS3_EELi4EEEvPS1_PS2_l,"axG",@progbits,_ZN5aiter21activation_kernel_vecItTnPFfRKT_EXadL_ZNS_16gelu_fast_kernelItEEfS3_EELi4EEEvPS1_PS2_l,comdat
.Lfunc_end604:
	.size	_ZN5aiter21activation_kernel_vecItTnPFfRKT_EXadL_ZNS_16gelu_fast_kernelItEEfS3_EELi4EEEvPS1_PS2_l, .Lfunc_end604-_ZN5aiter21activation_kernel_vecItTnPFfRKT_EXadL_ZNS_16gelu_fast_kernelItEEfS3_EELi4EEEvPS1_PS2_l
                                        ; -- End function
	.section	.AMDGPU.csdata,"",@progbits
; Kernel info:
; codeLenInByte = 2204
; NumSgprs: 30
; NumVgprs: 23
; NumAgprs: 0
; TotalNumVgprs: 23
; ScratchSize: 0
; MemoryBound: 0
; FloatMode: 240
; IeeeMode: 1
; LDSByteSize: 0 bytes/workgroup (compile time only)
; SGPRBlocks: 3
; VGPRBlocks: 2
; NumSGPRsForWavesPerEU: 30
; NumVGPRsForWavesPerEU: 23
; AccumOffset: 24
; Occupancy: 8
; WaveLimiterHint : 0
; COMPUTE_PGM_RSRC2:SCRATCH_EN: 0
; COMPUTE_PGM_RSRC2:USER_SGPR: 2
; COMPUTE_PGM_RSRC2:TRAP_HANDLER: 0
; COMPUTE_PGM_RSRC2:TGID_X_EN: 1
; COMPUTE_PGM_RSRC2:TGID_Y_EN: 0
; COMPUTE_PGM_RSRC2:TGID_Z_EN: 0
; COMPUTE_PGM_RSRC2:TIDIG_COMP_CNT: 0
; COMPUTE_PGM_RSRC3_GFX90A:ACCUM_OFFSET: 5
; COMPUTE_PGM_RSRC3_GFX90A:TG_SPLIT: 0
	.section	.text._ZN5aiter21activation_kernel_vecItTnPFfRKT_EXadL_ZNS_16gelu_fast_kernelItEEfS3_EELi2EEEvPS1_PS2_l,"axG",@progbits,_ZN5aiter21activation_kernel_vecItTnPFfRKT_EXadL_ZNS_16gelu_fast_kernelItEEfS3_EELi2EEEvPS1_PS2_l,comdat
	.protected	_ZN5aiter21activation_kernel_vecItTnPFfRKT_EXadL_ZNS_16gelu_fast_kernelItEEfS3_EELi2EEEvPS1_PS2_l ; -- Begin function _ZN5aiter21activation_kernel_vecItTnPFfRKT_EXadL_ZNS_16gelu_fast_kernelItEEfS3_EELi2EEEvPS1_PS2_l
	.globl	_ZN5aiter21activation_kernel_vecItTnPFfRKT_EXadL_ZNS_16gelu_fast_kernelItEEfS3_EELi2EEEvPS1_PS2_l
	.p2align	8
	.type	_ZN5aiter21activation_kernel_vecItTnPFfRKT_EXadL_ZNS_16gelu_fast_kernelItEEfS3_EELi2EEEvPS1_PS2_l,@function
_ZN5aiter21activation_kernel_vecItTnPFfRKT_EXadL_ZNS_16gelu_fast_kernelItEEfS3_EELi2EEEvPS1_PS2_l: ; @_ZN5aiter21activation_kernel_vecItTnPFfRKT_EXadL_ZNS_16gelu_fast_kernelItEEfS3_EELi2EEEvPS1_PS2_l
; %bb.0:
	s_load_dword s3, s[0:1], 0x24
	s_load_dwordx2 s[8:9], s[0:1], 0x10
	s_add_u32 s10, s0, 24
	s_addc_u32 s11, s1, 0
	v_mov_b32_e32 v1, 0
	s_waitcnt lgkmcnt(0)
	s_and_b32 s12, s3, 0xffff
	s_mul_i32 s2, s2, s12
	v_add_lshl_u32 v0, s2, v0, 2
	s_mov_b32 s18, 0xffff
	v_cmp_gt_i64_e32 vcc, s[8:9], v[0:1]
	s_and_saveexec_b64 s[2:3], vcc
	s_cbranch_execz .LBB605_27
; %bb.1:
	s_load_dword s2, s[10:11], 0x0
	s_load_dwordx4 s[4:7], s[0:1], 0x0
	s_mov_b32 s3, 0
	v_lshl_add_u64 v[2:3], v[0:1], 1, 4
	s_mov_b64 s[10:11], 0
	s_waitcnt lgkmcnt(0)
	s_mul_i32 s2, s2, s12
	s_lshl_b32 s2, s2, 2
	s_lshl_b64 s[12:13], s[2:3], 1
	s_mov_b32 s19, 0x40733333
	s_brev_b32 s20, -2
	v_mov_b32_e32 v6, 0x4544e000
	s_mov_b32 s21, 0x7060302
                                        ; implicit-def: $vgpr4
                                        ; implicit-def: $vgpr4
	;; [unrolled: 1-line block ×4, first 2 shown]
                                        ; implicit-def: $vgpr7
	s_branch .LBB605_3
.LBB605_2:                              ;   in Loop: Header=BB605_3 Depth=1
	s_or_b64 exec, exec, s[14:15]
	v_lshl_add_u64 v[0:1], v[0:1], 0, s[2:3]
	v_cmp_le_i64_e32 vcc, s[8:9], v[0:1]
	s_or_b64 s[10:11], vcc, s[10:11]
	v_lshl_add_u64 v[2:3], v[2:3], 0, s[12:13]
	s_andn2_b64 exec, exec, s[10:11]
	s_cbranch_execz .LBB605_27
.LBB605_3:                              ; =>This Inner Loop Header: Depth=1
	v_lshl_add_u64 v[4:5], s[6:7], 0, v[2:3]
	global_load_dword v8, v[4:5], off offset:-4
	v_lshl_add_u64 v[10:11], v[0:1], 0, 2
	v_cmp_gt_i64_e64 s[0:1], s[8:9], v[10:11]
	s_and_saveexec_b64 s[14:15], s[0:1]
	s_cbranch_execz .LBB605_5
; %bb.4:                                ;   in Loop: Header=BB605_3 Depth=1
	global_load_dword v7, v[4:5], off
.LBB605_5:                              ;   in Loop: Header=BB605_3 Depth=1
	s_or_b64 exec, exec, s[14:15]
	s_waitcnt vmcnt(0)
	v_lshlrev_b32_e32 v4, 16, v8
	v_mul_f32_e32 v5, v4, v4
	v_mul_f32_e32 v5, v5, v4
	;; [unrolled: 1-line block ×3, first 2 shown]
	v_fmac_f32_e32 v9, 0x3d122279, v5
	v_cmp_ge_f32_e64 s[14:15], |v9|, s19
                                        ; implicit-def: $vgpr5
	s_and_saveexec_b64 s[16:17], s[14:15]
	s_xor_b64 s[14:15], exec, s[16:17]
	s_cbranch_execnz .LBB605_8
; %bb.6:                                ;   in Loop: Header=BB605_3 Depth=1
	s_andn2_saveexec_b64 s[14:15], s[14:15]
	s_cbranch_execnz .LBB605_9
.LBB605_7:                              ;   in Loop: Header=BB605_3 Depth=1
	s_or_b64 exec, exec, s[14:15]
	s_and_saveexec_b64 s[14:15], s[0:1]
	s_cbranch_execnz .LBB605_10
	s_branch .LBB605_15
.LBB605_8:                              ;   in Loop: Header=BB605_3 Depth=1
	v_bfi_b32 v5, s20, 1.0, v9
                                        ; implicit-def: $vgpr9
	s_andn2_saveexec_b64 s[14:15], s[14:15]
	s_cbranch_execz .LBB605_7
.LBB605_9:                              ;   in Loop: Header=BB605_3 Depth=1
	v_mul_f32_e32 v5, v9, v9
	v_fmaak_f32 v10, v9, v9, 0x43bd0000
	v_fmaak_f32 v10, v5, v10, 0x46875a00
	v_fmamk_f32 v11, v5, 0x41e00000, v6
	v_fmaak_f32 v10, v5, v10, 0x4803f7c0
	v_fmaak_f32 v11, v5, v11, 0x4773a200
	;; [unrolled: 1-line block ×3, first 2 shown]
	v_mul_f32_e32 v9, v9, v10
	v_div_scale_f32 v10, s[16:17], v5, v5, v9
	v_rcp_f32_e32 v11, v10
	s_nop 0
	v_fma_f32 v12, -v10, v11, 1.0
	v_fmac_f32_e32 v11, v12, v11
	v_div_scale_f32 v12, vcc, v9, v5, v9
	v_mul_f32_e32 v13, v12, v11
	v_fma_f32 v14, -v10, v13, v12
	v_fmac_f32_e32 v13, v14, v11
	v_fma_f32 v10, -v10, v13, v12
	v_div_fmas_f32 v10, v10, v11, v13
	v_div_fixup_f32 v5, v10, v5, v9
	v_med3_f32 v5, v5, -1.0, 1.0
	s_or_b64 exec, exec, s[14:15]
	s_and_saveexec_b64 s[14:15], s[0:1]
	s_cbranch_execz .LBB605_15
.LBB605_10:                             ;   in Loop: Header=BB605_3 Depth=1
	v_lshlrev_b32_e32 v9, 16, v7
	v_mul_f32_e32 v10, v9, v9
	v_mul_f32_e32 v11, v10, v9
	;; [unrolled: 1-line block ×3, first 2 shown]
	v_fmac_f32_e32 v10, 0x3d122279, v11
	v_cmp_ge_f32_e64 s[16:17], |v10|, s19
                                        ; implicit-def: $vgpr11
	s_and_saveexec_b64 s[22:23], s[16:17]
	s_xor_b64 s[16:17], exec, s[22:23]
; %bb.11:                               ;   in Loop: Header=BB605_3 Depth=1
	v_bfi_b32 v11, s20, 1.0, v10
                                        ; implicit-def: $vgpr10
; %bb.12:                               ;   in Loop: Header=BB605_3 Depth=1
	s_andn2_saveexec_b64 s[16:17], s[16:17]
	s_cbranch_execz .LBB605_14
; %bb.13:                               ;   in Loop: Header=BB605_3 Depth=1
	v_mul_f32_e32 v11, v10, v10
	v_fmaak_f32 v12, v10, v10, 0x43bd0000
	v_fmaak_f32 v12, v11, v12, 0x46875a00
	v_fmamk_f32 v13, v11, 0x41e00000, v6
	v_fmaak_f32 v12, v11, v12, 0x4803f7c0
	v_fmaak_f32 v13, v11, v13, 0x4773a200
	;; [unrolled: 1-line block ×3, first 2 shown]
	v_mul_f32_e32 v10, v10, v12
	v_div_scale_f32 v12, s[22:23], v11, v11, v10
	v_rcp_f32_e32 v13, v12
	s_nop 0
	v_fma_f32 v14, -v12, v13, 1.0
	v_fmac_f32_e32 v13, v14, v13
	v_div_scale_f32 v14, vcc, v10, v11, v10
	v_mul_f32_e32 v15, v14, v13
	v_fma_f32 v16, -v12, v15, v14
	v_fmac_f32_e32 v15, v16, v13
	v_fma_f32 v12, -v12, v15, v14
	v_div_fmas_f32 v12, v12, v13, v15
	v_div_fixup_f32 v10, v12, v11, v10
	v_med3_f32 v11, v10, -1.0, 1.0
.LBB605_14:                             ;   in Loop: Header=BB605_3 Depth=1
	s_or_b64 exec, exec, s[16:17]
	v_fmac_f32_e32 v9, v9, v11
	v_mul_f32_e32 v9, 0.5, v9
	v_perm_b32 v7, v7, v9, s21
.LBB605_15:                             ;   in Loop: Header=BB605_3 Depth=1
	s_or_b64 exec, exec, s[14:15]
	v_and_b32_e32 v8, 0xffff0000, v8
	v_mul_f32_e32 v9, v8, v8
	v_mul_f32_e32 v9, v9, v8
	;; [unrolled: 1-line block ×3, first 2 shown]
	v_fmac_f32_e32 v10, 0x3d122279, v9
	v_cmp_ge_f32_e64 s[14:15], |v10|, s19
                                        ; implicit-def: $vgpr9
	s_and_saveexec_b64 s[16:17], s[14:15]
	s_xor_b64 s[14:15], exec, s[16:17]
	s_cbranch_execnz .LBB605_18
; %bb.16:                               ;   in Loop: Header=BB605_3 Depth=1
	s_andn2_saveexec_b64 s[14:15], s[14:15]
	s_cbranch_execnz .LBB605_19
.LBB605_17:                             ;   in Loop: Header=BB605_3 Depth=1
	s_or_b64 exec, exec, s[14:15]
	s_and_saveexec_b64 s[14:15], s[0:1]
	s_cbranch_execnz .LBB605_20
	s_branch .LBB605_25
.LBB605_18:                             ;   in Loop: Header=BB605_3 Depth=1
	v_bfi_b32 v9, s20, 1.0, v10
                                        ; implicit-def: $vgpr10
	s_andn2_saveexec_b64 s[14:15], s[14:15]
	s_cbranch_execz .LBB605_17
.LBB605_19:                             ;   in Loop: Header=BB605_3 Depth=1
	v_mul_f32_e32 v9, v10, v10
	v_fmaak_f32 v11, v10, v10, 0x43bd0000
	v_fmaak_f32 v11, v9, v11, 0x46875a00
	v_fmamk_f32 v12, v9, 0x41e00000, v6
	v_fmaak_f32 v11, v9, v11, 0x4803f7c0
	v_fmaak_f32 v12, v9, v12, 0x4773a200
	v_fmaak_f32 v9, v9, v12, 0x4803f7c0
	v_mul_f32_e32 v10, v10, v11
	v_div_scale_f32 v11, s[16:17], v9, v9, v10
	v_rcp_f32_e32 v12, v11
	s_nop 0
	v_fma_f32 v13, -v11, v12, 1.0
	v_fmac_f32_e32 v12, v13, v12
	v_div_scale_f32 v13, vcc, v10, v9, v10
	v_mul_f32_e32 v14, v13, v12
	v_fma_f32 v15, -v11, v14, v13
	v_fmac_f32_e32 v14, v15, v12
	v_fma_f32 v11, -v11, v14, v13
	v_div_fmas_f32 v11, v11, v12, v14
	v_div_fixup_f32 v9, v11, v9, v10
	v_med3_f32 v9, v9, -1.0, 1.0
	s_or_b64 exec, exec, s[14:15]
	s_and_saveexec_b64 s[14:15], s[0:1]
	s_cbranch_execz .LBB605_25
.LBB605_20:                             ;   in Loop: Header=BB605_3 Depth=1
	v_and_b32_e32 v10, 0xffff0000, v7
	v_mul_f32_e32 v11, v10, v10
	v_mul_f32_e32 v12, v11, v10
	v_mul_f32_e32 v11, 0x3f4c422a, v10
	v_fmac_f32_e32 v11, 0x3d122279, v12
	v_cmp_ge_f32_e64 s[16:17], |v11|, s19
                                        ; implicit-def: $vgpr12
	s_and_saveexec_b64 s[22:23], s[16:17]
	s_xor_b64 s[16:17], exec, s[22:23]
; %bb.21:                               ;   in Loop: Header=BB605_3 Depth=1
	v_bfi_b32 v12, s20, 1.0, v11
                                        ; implicit-def: $vgpr11
; %bb.22:                               ;   in Loop: Header=BB605_3 Depth=1
	s_andn2_saveexec_b64 s[16:17], s[16:17]
	s_cbranch_execz .LBB605_24
; %bb.23:                               ;   in Loop: Header=BB605_3 Depth=1
	v_mul_f32_e32 v12, v11, v11
	v_fmaak_f32 v13, v11, v11, 0x43bd0000
	v_fmaak_f32 v13, v12, v13, 0x46875a00
	v_fmamk_f32 v14, v12, 0x41e00000, v6
	v_fmaak_f32 v13, v12, v13, 0x4803f7c0
	v_fmaak_f32 v14, v12, v14, 0x4773a200
	;; [unrolled: 1-line block ×3, first 2 shown]
	v_mul_f32_e32 v11, v11, v13
	v_div_scale_f32 v13, s[22:23], v12, v12, v11
	v_rcp_f32_e32 v14, v13
	s_nop 0
	v_fma_f32 v15, -v13, v14, 1.0
	v_fmac_f32_e32 v14, v15, v14
	v_div_scale_f32 v15, vcc, v11, v12, v11
	v_mul_f32_e32 v16, v15, v14
	v_fma_f32 v17, -v13, v16, v15
	v_fmac_f32_e32 v16, v17, v14
	v_fma_f32 v13, -v13, v16, v15
	v_div_fmas_f32 v13, v13, v14, v16
	v_div_fixup_f32 v11, v13, v12, v11
	v_med3_f32 v12, v11, -1.0, 1.0
.LBB605_24:                             ;   in Loop: Header=BB605_3 Depth=1
	s_or_b64 exec, exec, s[16:17]
	v_fmac_f32_e32 v10, v10, v12
	v_mul_f32_e32 v10, 0.5, v10
	v_bfi_b32 v7, s18, v7, v10
.LBB605_25:                             ;   in Loop: Header=BB605_3 Depth=1
	s_or_b64 exec, exec, s[14:15]
	v_fmac_f32_e32 v4, v4, v5
	v_fmac_f32_e32 v8, v8, v9
	v_mul_f32_e32 v4, 0.5, v4
	v_mul_f32_e32 v5, 0.5, v8
	v_perm_b32 v8, v5, v4, s21
	v_lshl_add_u64 v[4:5], s[4:5], 0, v[2:3]
	global_store_dword v[4:5], v8, off offset:-4
	s_and_saveexec_b64 s[14:15], s[0:1]
	s_cbranch_execz .LBB605_2
; %bb.26:                               ;   in Loop: Header=BB605_3 Depth=1
	global_store_dword v[4:5], v7, off
	s_branch .LBB605_2
.LBB605_27:
	s_endpgm
	.section	.rodata,"a",@progbits
	.p2align	6, 0x0
	.amdhsa_kernel _ZN5aiter21activation_kernel_vecItTnPFfRKT_EXadL_ZNS_16gelu_fast_kernelItEEfS3_EELi2EEEvPS1_PS2_l
		.amdhsa_group_segment_fixed_size 0
		.amdhsa_private_segment_fixed_size 0
		.amdhsa_kernarg_size 280
		.amdhsa_user_sgpr_count 2
		.amdhsa_user_sgpr_dispatch_ptr 0
		.amdhsa_user_sgpr_queue_ptr 0
		.amdhsa_user_sgpr_kernarg_segment_ptr 1
		.amdhsa_user_sgpr_dispatch_id 0
		.amdhsa_user_sgpr_kernarg_preload_length 0
		.amdhsa_user_sgpr_kernarg_preload_offset 0
		.amdhsa_user_sgpr_private_segment_size 0
		.amdhsa_uses_dynamic_stack 0
		.amdhsa_enable_private_segment 0
		.amdhsa_system_sgpr_workgroup_id_x 1
		.amdhsa_system_sgpr_workgroup_id_y 0
		.amdhsa_system_sgpr_workgroup_id_z 0
		.amdhsa_system_sgpr_workgroup_info 0
		.amdhsa_system_vgpr_workitem_id 0
		.amdhsa_next_free_vgpr 18
		.amdhsa_next_free_sgpr 24
		.amdhsa_accum_offset 20
		.amdhsa_reserve_vcc 1
		.amdhsa_float_round_mode_32 0
		.amdhsa_float_round_mode_16_64 0
		.amdhsa_float_denorm_mode_32 3
		.amdhsa_float_denorm_mode_16_64 3
		.amdhsa_dx10_clamp 1
		.amdhsa_ieee_mode 1
		.amdhsa_fp16_overflow 0
		.amdhsa_tg_split 0
		.amdhsa_exception_fp_ieee_invalid_op 0
		.amdhsa_exception_fp_denorm_src 0
		.amdhsa_exception_fp_ieee_div_zero 0
		.amdhsa_exception_fp_ieee_overflow 0
		.amdhsa_exception_fp_ieee_underflow 0
		.amdhsa_exception_fp_ieee_inexact 0
		.amdhsa_exception_int_div_zero 0
	.end_amdhsa_kernel
	.section	.text._ZN5aiter21activation_kernel_vecItTnPFfRKT_EXadL_ZNS_16gelu_fast_kernelItEEfS3_EELi2EEEvPS1_PS2_l,"axG",@progbits,_ZN5aiter21activation_kernel_vecItTnPFfRKT_EXadL_ZNS_16gelu_fast_kernelItEEfS3_EELi2EEEvPS1_PS2_l,comdat
.Lfunc_end605:
	.size	_ZN5aiter21activation_kernel_vecItTnPFfRKT_EXadL_ZNS_16gelu_fast_kernelItEEfS3_EELi2EEEvPS1_PS2_l, .Lfunc_end605-_ZN5aiter21activation_kernel_vecItTnPFfRKT_EXadL_ZNS_16gelu_fast_kernelItEEfS3_EELi2EEEvPS1_PS2_l
                                        ; -- End function
	.section	.AMDGPU.csdata,"",@progbits
; Kernel info:
; codeLenInByte = 1244
; NumSgprs: 30
; NumVgprs: 18
; NumAgprs: 0
; TotalNumVgprs: 18
; ScratchSize: 0
; MemoryBound: 0
; FloatMode: 240
; IeeeMode: 1
; LDSByteSize: 0 bytes/workgroup (compile time only)
; SGPRBlocks: 3
; VGPRBlocks: 2
; NumSGPRsForWavesPerEU: 30
; NumVGPRsForWavesPerEU: 18
; AccumOffset: 20
; Occupancy: 8
; WaveLimiterHint : 0
; COMPUTE_PGM_RSRC2:SCRATCH_EN: 0
; COMPUTE_PGM_RSRC2:USER_SGPR: 2
; COMPUTE_PGM_RSRC2:TRAP_HANDLER: 0
; COMPUTE_PGM_RSRC2:TGID_X_EN: 1
; COMPUTE_PGM_RSRC2:TGID_Y_EN: 0
; COMPUTE_PGM_RSRC2:TGID_Z_EN: 0
; COMPUTE_PGM_RSRC2:TIDIG_COMP_CNT: 0
; COMPUTE_PGM_RSRC3_GFX90A:ACCUM_OFFSET: 4
; COMPUTE_PGM_RSRC3_GFX90A:TG_SPLIT: 0
	.section	.text._ZN5aiter21activation_kernel_vecItTnPFfRKT_EXadL_ZNS_16gelu_fast_kernelItEEfS3_EELi1EEEvPS1_PS2_l,"axG",@progbits,_ZN5aiter21activation_kernel_vecItTnPFfRKT_EXadL_ZNS_16gelu_fast_kernelItEEfS3_EELi1EEEvPS1_PS2_l,comdat
	.protected	_ZN5aiter21activation_kernel_vecItTnPFfRKT_EXadL_ZNS_16gelu_fast_kernelItEEfS3_EELi1EEEvPS1_PS2_l ; -- Begin function _ZN5aiter21activation_kernel_vecItTnPFfRKT_EXadL_ZNS_16gelu_fast_kernelItEEfS3_EELi1EEEvPS1_PS2_l
	.globl	_ZN5aiter21activation_kernel_vecItTnPFfRKT_EXadL_ZNS_16gelu_fast_kernelItEEfS3_EELi1EEEvPS1_PS2_l
	.p2align	8
	.type	_ZN5aiter21activation_kernel_vecItTnPFfRKT_EXadL_ZNS_16gelu_fast_kernelItEEfS3_EELi1EEEvPS1_PS2_l,@function
_ZN5aiter21activation_kernel_vecItTnPFfRKT_EXadL_ZNS_16gelu_fast_kernelItEEfS3_EELi1EEEvPS1_PS2_l: ; @_ZN5aiter21activation_kernel_vecItTnPFfRKT_EXadL_ZNS_16gelu_fast_kernelItEEfS3_EELi1EEEvPS1_PS2_l
; %bb.0:
	s_load_dword s3, s[0:1], 0x24
	s_load_dwordx2 s[8:9], s[0:1], 0x10
	s_add_u32 s10, s0, 24
	s_addc_u32 s11, s1, 0
	v_mov_b32_e32 v1, 0
	s_waitcnt lgkmcnt(0)
	s_and_b32 s12, s3, 0xffff
	s_mul_i32 s2, s2, s12
	v_add_lshl_u32 v0, s2, v0, 1
	v_cmp_gt_i64_e32 vcc, s[8:9], v[0:1]
	s_and_saveexec_b64 s[2:3], vcc
	s_cbranch_execz .LBB606_15
; %bb.1:
	s_load_dword s2, s[10:11], 0x0
	s_load_dwordx4 s[4:7], s[0:1], 0x0
	s_mov_b32 s3, 0
	v_lshlrev_b64 v[2:3], 1, v[0:1]
	s_mov_b64 s[10:11], 0
	s_waitcnt lgkmcnt(0)
	s_mul_i32 s2, s2, s12
	s_lshl_b32 s2, s2, 1
	s_lshl_b64 s[12:13], s[2:3], 1
	s_mov_b32 s16, 0x40733333
	s_brev_b32 s17, -2
	v_mov_b32_e32 v6, 0x4544e000
                                        ; implicit-def: $vgpr4
                                        ; implicit-def: $vgpr4
	;; [unrolled: 1-line block ×4, first 2 shown]
                                        ; implicit-def: $vgpr7
	s_branch .LBB606_4
.LBB606_2:                              ;   in Loop: Header=BB606_4 Depth=1
	s_or_b64 exec, exec, s[0:1]
	v_fmac_f32_e32 v7, v7, v9
	v_mul_f32_e32 v7, 0.5, v7
	v_lshrrev_b32_e32 v7, 16, v7
	v_lshl_add_u64 v[10:11], s[4:5], 0, v[2:3]
	v_or_b32_e32 v4, 1, v0
	v_mov_b32_e32 v5, v1
	global_store_short v[10:11], v8, off
	v_mov_b32_e32 v8, v7
.LBB606_3:                              ;   in Loop: Header=BB606_4 Depth=1
	s_or_b64 exec, exec, s[14:15]
	v_lshl_add_u64 v[0:1], v[0:1], 0, s[2:3]
	v_cmp_le_i64_e32 vcc, s[8:9], v[0:1]
	v_lshl_add_u64 v[4:5], v[4:5], 1, s[4:5]
	s_or_b64 s[10:11], vcc, s[10:11]
	v_lshl_add_u64 v[2:3], v[2:3], 0, s[12:13]
	global_store_short v[4:5], v8, off
	s_andn2_b64 exec, exec, s[10:11]
	s_cbranch_execz .LBB606_15
.LBB606_4:                              ; =>This Inner Loop Header: Depth=1
	v_lshl_add_u64 v[4:5], s[6:7], 0, v[2:3]
	global_load_ushort v8, v[4:5], off
	v_lshl_add_u64 v[10:11], v[0:1], 0, 1
	v_cmp_gt_i64_e64 s[0:1], s[8:9], v[10:11]
	s_and_saveexec_b64 s[14:15], s[0:1]
	s_cbranch_execz .LBB606_6
; %bb.5:                                ;   in Loop: Header=BB606_4 Depth=1
	global_load_ushort v7, v[4:5], off offset:2
.LBB606_6:                              ;   in Loop: Header=BB606_4 Depth=1
	s_or_b64 exec, exec, s[14:15]
	s_waitcnt vmcnt(0)
	v_lshlrev_b32_e32 v4, 16, v8
	v_mul_f32_e32 v5, v4, v4
	v_mul_f32_e32 v8, v5, v4
	;; [unrolled: 1-line block ×3, first 2 shown]
	v_fmac_f32_e32 v5, 0x3d122279, v8
	v_cmp_ge_f32_e64 s[14:15], |v5|, s16
                                        ; implicit-def: $vgpr8
	s_and_saveexec_b64 s[18:19], s[14:15]
	s_xor_b64 s[14:15], exec, s[18:19]
; %bb.7:                                ;   in Loop: Header=BB606_4 Depth=1
	v_bfi_b32 v8, s17, 1.0, v5
                                        ; implicit-def: $vgpr5
; %bb.8:                                ;   in Loop: Header=BB606_4 Depth=1
	s_andn2_saveexec_b64 s[14:15], s[14:15]
	s_cbranch_execz .LBB606_10
; %bb.9:                                ;   in Loop: Header=BB606_4 Depth=1
	v_mul_f32_e32 v8, v5, v5
	v_fmaak_f32 v9, v5, v5, 0x43bd0000
	v_fmaak_f32 v9, v8, v9, 0x46875a00
	v_fmamk_f32 v10, v8, 0x41e00000, v6
	v_fmaak_f32 v9, v8, v9, 0x4803f7c0
	v_fmaak_f32 v10, v8, v10, 0x4773a200
	;; [unrolled: 1-line block ×3, first 2 shown]
	v_mul_f32_e32 v5, v5, v9
	v_div_scale_f32 v9, s[18:19], v8, v8, v5
	v_rcp_f32_e32 v10, v9
	s_nop 0
	v_fma_f32 v11, -v9, v10, 1.0
	v_fmac_f32_e32 v10, v11, v10
	v_div_scale_f32 v11, vcc, v5, v8, v5
	v_mul_f32_e32 v12, v11, v10
	v_fma_f32 v13, -v9, v12, v11
	v_fmac_f32_e32 v12, v13, v10
	v_fma_f32 v9, -v9, v12, v11
	v_div_fmas_f32 v9, v9, v10, v12
	v_div_fixup_f32 v5, v9, v8, v5
	v_med3_f32 v8, v5, -1.0, 1.0
.LBB606_10:                             ;   in Loop: Header=BB606_4 Depth=1
	s_or_b64 exec, exec, s[14:15]
	v_fmac_f32_e32 v4, v4, v8
	v_mul_f32_e32 v4, 0.5, v4
	v_lshrrev_b32_e32 v8, 16, v4
	v_mov_b64_e32 v[4:5], v[0:1]
	s_and_saveexec_b64 s[14:15], s[0:1]
	s_cbranch_execz .LBB606_3
; %bb.11:                               ;   in Loop: Header=BB606_4 Depth=1
	v_lshlrev_b32_e32 v7, 16, v7
	v_mul_f32_e32 v4, v7, v7
	v_mul_f32_e32 v5, v4, v7
	;; [unrolled: 1-line block ×3, first 2 shown]
	v_fmac_f32_e32 v4, 0x3d122279, v5
	v_cmp_ge_f32_e64 s[0:1], |v4|, s16
                                        ; implicit-def: $vgpr9
	s_and_saveexec_b64 s[18:19], s[0:1]
	s_xor_b64 s[0:1], exec, s[18:19]
; %bb.12:                               ;   in Loop: Header=BB606_4 Depth=1
	v_bfi_b32 v9, s17, 1.0, v4
                                        ; implicit-def: $vgpr4
; %bb.13:                               ;   in Loop: Header=BB606_4 Depth=1
	s_andn2_saveexec_b64 s[0:1], s[0:1]
	s_cbranch_execz .LBB606_2
; %bb.14:                               ;   in Loop: Header=BB606_4 Depth=1
	v_mul_f32_e32 v5, v4, v4
	v_fmaak_f32 v9, v4, v4, 0x43bd0000
	v_fmaak_f32 v9, v5, v9, 0x46875a00
	v_fmamk_f32 v10, v5, 0x41e00000, v6
	v_fmaak_f32 v9, v5, v9, 0x4803f7c0
	v_fmaak_f32 v10, v5, v10, 0x4773a200
	;; [unrolled: 1-line block ×3, first 2 shown]
	v_mul_f32_e32 v4, v4, v9
	v_div_scale_f32 v9, s[18:19], v5, v5, v4
	v_rcp_f32_e32 v10, v9
	s_nop 0
	v_fma_f32 v11, -v9, v10, 1.0
	v_fmac_f32_e32 v10, v11, v10
	v_div_scale_f32 v11, vcc, v4, v5, v4
	v_mul_f32_e32 v12, v11, v10
	v_fma_f32 v13, -v9, v12, v11
	v_fmac_f32_e32 v12, v13, v10
	v_fma_f32 v9, -v9, v12, v11
	v_div_fmas_f32 v9, v9, v10, v12
	v_div_fixup_f32 v4, v9, v5, v4
	v_med3_f32 v9, v4, -1.0, 1.0
	s_branch .LBB606_2
.LBB606_15:
	s_endpgm
	.section	.rodata,"a",@progbits
	.p2align	6, 0x0
	.amdhsa_kernel _ZN5aiter21activation_kernel_vecItTnPFfRKT_EXadL_ZNS_16gelu_fast_kernelItEEfS3_EELi1EEEvPS1_PS2_l
		.amdhsa_group_segment_fixed_size 0
		.amdhsa_private_segment_fixed_size 0
		.amdhsa_kernarg_size 280
		.amdhsa_user_sgpr_count 2
		.amdhsa_user_sgpr_dispatch_ptr 0
		.amdhsa_user_sgpr_queue_ptr 0
		.amdhsa_user_sgpr_kernarg_segment_ptr 1
		.amdhsa_user_sgpr_dispatch_id 0
		.amdhsa_user_sgpr_kernarg_preload_length 0
		.amdhsa_user_sgpr_kernarg_preload_offset 0
		.amdhsa_user_sgpr_private_segment_size 0
		.amdhsa_uses_dynamic_stack 0
		.amdhsa_enable_private_segment 0
		.amdhsa_system_sgpr_workgroup_id_x 1
		.amdhsa_system_sgpr_workgroup_id_y 0
		.amdhsa_system_sgpr_workgroup_id_z 0
		.amdhsa_system_sgpr_workgroup_info 0
		.amdhsa_system_vgpr_workitem_id 0
		.amdhsa_next_free_vgpr 14
		.amdhsa_next_free_sgpr 20
		.amdhsa_accum_offset 16
		.amdhsa_reserve_vcc 1
		.amdhsa_float_round_mode_32 0
		.amdhsa_float_round_mode_16_64 0
		.amdhsa_float_denorm_mode_32 3
		.amdhsa_float_denorm_mode_16_64 3
		.amdhsa_dx10_clamp 1
		.amdhsa_ieee_mode 1
		.amdhsa_fp16_overflow 0
		.amdhsa_tg_split 0
		.amdhsa_exception_fp_ieee_invalid_op 0
		.amdhsa_exception_fp_denorm_src 0
		.amdhsa_exception_fp_ieee_div_zero 0
		.amdhsa_exception_fp_ieee_overflow 0
		.amdhsa_exception_fp_ieee_underflow 0
		.amdhsa_exception_fp_ieee_inexact 0
		.amdhsa_exception_int_div_zero 0
	.end_amdhsa_kernel
	.section	.text._ZN5aiter21activation_kernel_vecItTnPFfRKT_EXadL_ZNS_16gelu_fast_kernelItEEfS3_EELi1EEEvPS1_PS2_l,"axG",@progbits,_ZN5aiter21activation_kernel_vecItTnPFfRKT_EXadL_ZNS_16gelu_fast_kernelItEEfS3_EELi1EEEvPS1_PS2_l,comdat
.Lfunc_end606:
	.size	_ZN5aiter21activation_kernel_vecItTnPFfRKT_EXadL_ZNS_16gelu_fast_kernelItEEfS3_EELi1EEEvPS1_PS2_l, .Lfunc_end606-_ZN5aiter21activation_kernel_vecItTnPFfRKT_EXadL_ZNS_16gelu_fast_kernelItEEfS3_EELi1EEEvPS1_PS2_l
                                        ; -- End function
	.section	.AMDGPU.csdata,"",@progbits
; Kernel info:
; codeLenInByte = 724
; NumSgprs: 26
; NumVgprs: 14
; NumAgprs: 0
; TotalNumVgprs: 14
; ScratchSize: 0
; MemoryBound: 0
; FloatMode: 240
; IeeeMode: 1
; LDSByteSize: 0 bytes/workgroup (compile time only)
; SGPRBlocks: 3
; VGPRBlocks: 1
; NumSGPRsForWavesPerEU: 26
; NumVGPRsForWavesPerEU: 14
; AccumOffset: 16
; Occupancy: 8
; WaveLimiterHint : 0
; COMPUTE_PGM_RSRC2:SCRATCH_EN: 0
; COMPUTE_PGM_RSRC2:USER_SGPR: 2
; COMPUTE_PGM_RSRC2:TRAP_HANDLER: 0
; COMPUTE_PGM_RSRC2:TGID_X_EN: 1
; COMPUTE_PGM_RSRC2:TGID_Y_EN: 0
; COMPUTE_PGM_RSRC2:TGID_Z_EN: 0
; COMPUTE_PGM_RSRC2:TIDIG_COMP_CNT: 0
; COMPUTE_PGM_RSRC3_GFX90A:ACCUM_OFFSET: 3
; COMPUTE_PGM_RSRC3_GFX90A:TG_SPLIT: 0
	.text
	.p2alignl 6, 3212836864
	.fill 256, 4, 3212836864
	.type	__hip_cuid_7857c0324347fd60,@object ; @__hip_cuid_7857c0324347fd60
	.section	.bss,"aw",@nobits
	.globl	__hip_cuid_7857c0324347fd60
__hip_cuid_7857c0324347fd60:
	.byte	0                               ; 0x0
	.size	__hip_cuid_7857c0324347fd60, 1

	.ident	"AMD clang version 19.0.0git (https://github.com/RadeonOpenCompute/llvm-project roc-6.4.0 25133 c7fe45cf4b819c5991fe208aaa96edf142730f1d)"
	.section	".note.GNU-stack","",@progbits
	.addrsig
	.addrsig_sym __hip_cuid_7857c0324347fd60
	.amdgpu_metadata
---
amdhsa.kernels:
  - .agpr_count:     0
    .args:           []
    .group_segment_fixed_size: 0
    .kernarg_segment_align: 4
    .kernarg_segment_size: 0
    .language:       OpenCL C
    .language_version:
      - 2
      - 0
    .max_flat_workgroup_size: 1024
    .name:           _ZN7ck_tileL11flush_cacheEv
    .private_segment_fixed_size: 0
    .sgpr_count:     6
    .sgpr_spill_count: 0
    .symbol:         _ZN7ck_tileL11flush_cacheEv.kd
    .uniform_work_group_size: 1
    .uses_dynamic_stack: false
    .vgpr_count:     0
    .vgpr_spill_count: 0
    .wavefront_size: 64
  - .agpr_count:     0
    .args:
      - .actual_access:  write_only
        .address_space:  global
        .offset:         0
        .size:           8
        .value_kind:     global_buffer
      - .actual_access:  read_only
        .address_space:  global
        .offset:         8
        .size:           8
        .value_kind:     global_buffer
      - .offset:         16
        .size:           4
        .value_kind:     by_value
      - .offset:         20
        .size:           4
        .value_kind:     by_value
      - .offset:         24
        .size:           4
        .value_kind:     hidden_block_count_x
      - .offset:         28
        .size:           4
        .value_kind:     hidden_block_count_y
      - .offset:         32
        .size:           4
        .value_kind:     hidden_block_count_z
      - .offset:         36
        .size:           2
        .value_kind:     hidden_group_size_x
      - .offset:         38
        .size:           2
        .value_kind:     hidden_group_size_y
      - .offset:         40
        .size:           2
        .value_kind:     hidden_group_size_z
      - .offset:         42
        .size:           2
        .value_kind:     hidden_remainder_x
      - .offset:         44
        .size:           2
        .value_kind:     hidden_remainder_y
      - .offset:         46
        .size:           2
        .value_kind:     hidden_remainder_z
      - .offset:         64
        .size:           8
        .value_kind:     hidden_global_offset_x
      - .offset:         72
        .size:           8
        .value_kind:     hidden_global_offset_y
      - .offset:         80
        .size:           8
        .value_kind:     hidden_global_offset_z
      - .offset:         88
        .size:           2
        .value_kind:     hidden_grid_dims
    .group_segment_fixed_size: 0
    .kernarg_segment_align: 8
    .kernarg_segment_size: 280
    .language:       OpenCL C
    .language_version:
      - 2
      - 0
    .max_flat_workgroup_size: 1024
    .name:           _ZN5aiter18act_and_mul_kernelIftTnPFfRKT_EXadL_ZNS_11silu_kernelIfEEfS3_EELi16ELb1ELi0EEEvPT0_PS2_if
    .private_segment_fixed_size: 0
    .sgpr_count:     31
    .sgpr_spill_count: 0
    .symbol:         _ZN5aiter18act_and_mul_kernelIftTnPFfRKT_EXadL_ZNS_11silu_kernelIfEEfS3_EELi16ELb1ELi0EEEvPT0_PS2_if.kd
    .uniform_work_group_size: 1
    .uses_dynamic_stack: false
    .vgpr_count:     41
    .vgpr_spill_count: 0
    .wavefront_size: 64
  - .agpr_count:     0
    .args:
      - .actual_access:  write_only
        .address_space:  global
        .offset:         0
        .size:           8
        .value_kind:     global_buffer
      - .actual_access:  read_only
        .address_space:  global
        .offset:         8
        .size:           8
        .value_kind:     global_buffer
      - .offset:         16
        .size:           4
        .value_kind:     by_value
      - .offset:         20
        .size:           4
        .value_kind:     by_value
      - .offset:         24
        .size:           4
        .value_kind:     hidden_block_count_x
      - .offset:         28
        .size:           4
        .value_kind:     hidden_block_count_y
      - .offset:         32
        .size:           4
        .value_kind:     hidden_block_count_z
      - .offset:         36
        .size:           2
        .value_kind:     hidden_group_size_x
      - .offset:         38
        .size:           2
        .value_kind:     hidden_group_size_y
      - .offset:         40
        .size:           2
        .value_kind:     hidden_group_size_z
      - .offset:         42
        .size:           2
        .value_kind:     hidden_remainder_x
      - .offset:         44
        .size:           2
        .value_kind:     hidden_remainder_y
      - .offset:         46
        .size:           2
        .value_kind:     hidden_remainder_z
      - .offset:         64
        .size:           8
        .value_kind:     hidden_global_offset_x
      - .offset:         72
        .size:           8
        .value_kind:     hidden_global_offset_y
      - .offset:         80
        .size:           8
        .value_kind:     hidden_global_offset_z
      - .offset:         88
        .size:           2
        .value_kind:     hidden_grid_dims
    .group_segment_fixed_size: 0
    .kernarg_segment_align: 8
    .kernarg_segment_size: 280
    .language:       OpenCL C
    .language_version:
      - 2
      - 0
    .max_flat_workgroup_size: 1024
    .name:           _ZN5aiter18act_and_mul_kernelIftTnPFfRKT_EXadL_ZNS_11silu_kernelIfEEfS3_EELi8ELb1ELi0EEEvPT0_PS2_if
    .private_segment_fixed_size: 0
    .sgpr_count:     46
    .sgpr_spill_count: 0
    .symbol:         _ZN5aiter18act_and_mul_kernelIftTnPFfRKT_EXadL_ZNS_11silu_kernelIfEEfS3_EELi8ELb1ELi0EEEvPT0_PS2_if.kd
    .uniform_work_group_size: 1
    .uses_dynamic_stack: false
    .vgpr_count:     46
    .vgpr_spill_count: 0
    .wavefront_size: 64
  - .agpr_count:     0
    .args:
      - .actual_access:  write_only
        .address_space:  global
        .offset:         0
        .size:           8
        .value_kind:     global_buffer
      - .actual_access:  read_only
        .address_space:  global
        .offset:         8
        .size:           8
        .value_kind:     global_buffer
      - .offset:         16
        .size:           4
        .value_kind:     by_value
      - .offset:         20
        .size:           4
        .value_kind:     by_value
      - .offset:         24
        .size:           4
        .value_kind:     hidden_block_count_x
      - .offset:         28
        .size:           4
        .value_kind:     hidden_block_count_y
      - .offset:         32
        .size:           4
        .value_kind:     hidden_block_count_z
      - .offset:         36
        .size:           2
        .value_kind:     hidden_group_size_x
      - .offset:         38
        .size:           2
        .value_kind:     hidden_group_size_y
      - .offset:         40
        .size:           2
        .value_kind:     hidden_group_size_z
      - .offset:         42
        .size:           2
        .value_kind:     hidden_remainder_x
      - .offset:         44
        .size:           2
        .value_kind:     hidden_remainder_y
      - .offset:         46
        .size:           2
        .value_kind:     hidden_remainder_z
      - .offset:         64
        .size:           8
        .value_kind:     hidden_global_offset_x
      - .offset:         72
        .size:           8
        .value_kind:     hidden_global_offset_y
      - .offset:         80
        .size:           8
        .value_kind:     hidden_global_offset_z
      - .offset:         88
        .size:           2
        .value_kind:     hidden_grid_dims
    .group_segment_fixed_size: 0
    .kernarg_segment_align: 8
    .kernarg_segment_size: 280
    .language:       OpenCL C
    .language_version:
      - 2
      - 0
    .max_flat_workgroup_size: 1024
    .name:           _ZN5aiter18act_and_mul_kernelIftTnPFfRKT_EXadL_ZNS_11silu_kernelIfEEfS3_EELi4ELb1ELi0EEEvPT0_PS2_if
    .private_segment_fixed_size: 0
    .sgpr_count:     37
    .sgpr_spill_count: 0
    .symbol:         _ZN5aiter18act_and_mul_kernelIftTnPFfRKT_EXadL_ZNS_11silu_kernelIfEEfS3_EELi4ELb1ELi0EEEvPT0_PS2_if.kd
    .uniform_work_group_size: 1
    .uses_dynamic_stack: false
    .vgpr_count:     25
    .vgpr_spill_count: 0
    .wavefront_size: 64
  - .agpr_count:     0
    .args:
      - .actual_access:  write_only
        .address_space:  global
        .offset:         0
        .size:           8
        .value_kind:     global_buffer
      - .actual_access:  read_only
        .address_space:  global
        .offset:         8
        .size:           8
        .value_kind:     global_buffer
      - .offset:         16
        .size:           4
        .value_kind:     by_value
      - .offset:         20
        .size:           4
        .value_kind:     by_value
      - .offset:         24
        .size:           4
        .value_kind:     hidden_block_count_x
      - .offset:         28
        .size:           4
        .value_kind:     hidden_block_count_y
      - .offset:         32
        .size:           4
        .value_kind:     hidden_block_count_z
      - .offset:         36
        .size:           2
        .value_kind:     hidden_group_size_x
      - .offset:         38
        .size:           2
        .value_kind:     hidden_group_size_y
      - .offset:         40
        .size:           2
        .value_kind:     hidden_group_size_z
      - .offset:         42
        .size:           2
        .value_kind:     hidden_remainder_x
      - .offset:         44
        .size:           2
        .value_kind:     hidden_remainder_y
      - .offset:         46
        .size:           2
        .value_kind:     hidden_remainder_z
      - .offset:         64
        .size:           8
        .value_kind:     hidden_global_offset_x
      - .offset:         72
        .size:           8
        .value_kind:     hidden_global_offset_y
      - .offset:         80
        .size:           8
        .value_kind:     hidden_global_offset_z
      - .offset:         88
        .size:           2
        .value_kind:     hidden_grid_dims
    .group_segment_fixed_size: 0
    .kernarg_segment_align: 8
    .kernarg_segment_size: 280
    .language:       OpenCL C
    .language_version:
      - 2
      - 0
    .max_flat_workgroup_size: 1024
    .name:           _ZN5aiter18act_and_mul_kernelIftTnPFfRKT_EXadL_ZNS_11silu_kernelIfEEfS3_EELi2ELb1ELi0EEEvPT0_PS2_if
    .private_segment_fixed_size: 0
    .sgpr_count:     33
    .sgpr_spill_count: 0
    .symbol:         _ZN5aiter18act_and_mul_kernelIftTnPFfRKT_EXadL_ZNS_11silu_kernelIfEEfS3_EELi2ELb1ELi0EEEvPT0_PS2_if.kd
    .uniform_work_group_size: 1
    .uses_dynamic_stack: false
    .vgpr_count:     15
    .vgpr_spill_count: 0
    .wavefront_size: 64
  - .agpr_count:     0
    .args:
      - .actual_access:  write_only
        .address_space:  global
        .offset:         0
        .size:           8
        .value_kind:     global_buffer
      - .actual_access:  read_only
        .address_space:  global
        .offset:         8
        .size:           8
        .value_kind:     global_buffer
      - .offset:         16
        .size:           4
        .value_kind:     by_value
      - .offset:         20
        .size:           4
        .value_kind:     by_value
      - .offset:         24
        .size:           4
        .value_kind:     hidden_block_count_x
      - .offset:         28
        .size:           4
        .value_kind:     hidden_block_count_y
      - .offset:         32
        .size:           4
        .value_kind:     hidden_block_count_z
      - .offset:         36
        .size:           2
        .value_kind:     hidden_group_size_x
      - .offset:         38
        .size:           2
        .value_kind:     hidden_group_size_y
      - .offset:         40
        .size:           2
        .value_kind:     hidden_group_size_z
      - .offset:         42
        .size:           2
        .value_kind:     hidden_remainder_x
      - .offset:         44
        .size:           2
        .value_kind:     hidden_remainder_y
      - .offset:         46
        .size:           2
        .value_kind:     hidden_remainder_z
      - .offset:         64
        .size:           8
        .value_kind:     hidden_global_offset_x
      - .offset:         72
        .size:           8
        .value_kind:     hidden_global_offset_y
      - .offset:         80
        .size:           8
        .value_kind:     hidden_global_offset_z
      - .offset:         88
        .size:           2
        .value_kind:     hidden_grid_dims
    .group_segment_fixed_size: 0
    .kernarg_segment_align: 8
    .kernarg_segment_size: 280
    .language:       OpenCL C
    .language_version:
      - 2
      - 0
    .max_flat_workgroup_size: 1024
    .name:           _ZN5aiter18act_and_mul_kernelIftTnPFfRKT_EXadL_ZNS_11silu_kernelIfEEfS3_EELi1ELb1ELi0EEEvPT0_PS2_if
    .private_segment_fixed_size: 0
    .sgpr_count:     32
    .sgpr_spill_count: 0
    .symbol:         _ZN5aiter18act_and_mul_kernelIftTnPFfRKT_EXadL_ZNS_11silu_kernelIfEEfS3_EELi1ELb1ELi0EEEvPT0_PS2_if.kd
    .uniform_work_group_size: 1
    .uses_dynamic_stack: false
    .vgpr_count:     11
    .vgpr_spill_count: 0
    .wavefront_size: 64
  - .agpr_count:     0
    .args:
      - .actual_access:  write_only
        .address_space:  global
        .offset:         0
        .size:           8
        .value_kind:     global_buffer
      - .actual_access:  read_only
        .address_space:  global
        .offset:         8
        .size:           8
        .value_kind:     global_buffer
      - .offset:         16
        .size:           4
        .value_kind:     by_value
      - .offset:         20
        .size:           4
        .value_kind:     by_value
      - .offset:         24
        .size:           4
        .value_kind:     hidden_block_count_x
      - .offset:         28
        .size:           4
        .value_kind:     hidden_block_count_y
      - .offset:         32
        .size:           4
        .value_kind:     hidden_block_count_z
      - .offset:         36
        .size:           2
        .value_kind:     hidden_group_size_x
      - .offset:         38
        .size:           2
        .value_kind:     hidden_group_size_y
      - .offset:         40
        .size:           2
        .value_kind:     hidden_group_size_z
      - .offset:         42
        .size:           2
        .value_kind:     hidden_remainder_x
      - .offset:         44
        .size:           2
        .value_kind:     hidden_remainder_y
      - .offset:         46
        .size:           2
        .value_kind:     hidden_remainder_z
      - .offset:         64
        .size:           8
        .value_kind:     hidden_global_offset_x
      - .offset:         72
        .size:           8
        .value_kind:     hidden_global_offset_y
      - .offset:         80
        .size:           8
        .value_kind:     hidden_global_offset_z
      - .offset:         88
        .size:           2
        .value_kind:     hidden_grid_dims
    .group_segment_fixed_size: 0
    .kernarg_segment_align: 8
    .kernarg_segment_size: 280
    .language:       OpenCL C
    .language_version:
      - 2
      - 0
    .max_flat_workgroup_size: 1024
    .name:           _ZN5aiter18act_and_mul_kernelIfDF16_TnPFfRKT_EXadL_ZNS_11silu_kernelIfEEfS3_EELi16ELb1ELi0EEEvPT0_PS2_if
    .private_segment_fixed_size: 0
    .sgpr_count:     30
    .sgpr_spill_count: 0
    .symbol:         _ZN5aiter18act_and_mul_kernelIfDF16_TnPFfRKT_EXadL_ZNS_11silu_kernelIfEEfS3_EELi16ELb1ELi0EEEvPT0_PS2_if.kd
    .uniform_work_group_size: 1
    .uses_dynamic_stack: false
    .vgpr_count:     41
    .vgpr_spill_count: 0
    .wavefront_size: 64
  - .agpr_count:     0
    .args:
      - .actual_access:  write_only
        .address_space:  global
        .offset:         0
        .size:           8
        .value_kind:     global_buffer
      - .actual_access:  read_only
        .address_space:  global
        .offset:         8
        .size:           8
        .value_kind:     global_buffer
      - .offset:         16
        .size:           4
        .value_kind:     by_value
      - .offset:         20
        .size:           4
        .value_kind:     by_value
      - .offset:         24
        .size:           4
        .value_kind:     hidden_block_count_x
      - .offset:         28
        .size:           4
        .value_kind:     hidden_block_count_y
      - .offset:         32
        .size:           4
        .value_kind:     hidden_block_count_z
      - .offset:         36
        .size:           2
        .value_kind:     hidden_group_size_x
      - .offset:         38
        .size:           2
        .value_kind:     hidden_group_size_y
      - .offset:         40
        .size:           2
        .value_kind:     hidden_group_size_z
      - .offset:         42
        .size:           2
        .value_kind:     hidden_remainder_x
      - .offset:         44
        .size:           2
        .value_kind:     hidden_remainder_y
      - .offset:         46
        .size:           2
        .value_kind:     hidden_remainder_z
      - .offset:         64
        .size:           8
        .value_kind:     hidden_global_offset_x
      - .offset:         72
        .size:           8
        .value_kind:     hidden_global_offset_y
      - .offset:         80
        .size:           8
        .value_kind:     hidden_global_offset_z
      - .offset:         88
        .size:           2
        .value_kind:     hidden_grid_dims
    .group_segment_fixed_size: 0
    .kernarg_segment_align: 8
    .kernarg_segment_size: 280
    .language:       OpenCL C
    .language_version:
      - 2
      - 0
    .max_flat_workgroup_size: 1024
    .name:           _ZN5aiter18act_and_mul_kernelIfDF16_TnPFfRKT_EXadL_ZNS_11silu_kernelIfEEfS3_EELi8ELb1ELi0EEEvPT0_PS2_if
    .private_segment_fixed_size: 0
    .sgpr_count:     45
    .sgpr_spill_count: 0
    .symbol:         _ZN5aiter18act_and_mul_kernelIfDF16_TnPFfRKT_EXadL_ZNS_11silu_kernelIfEEfS3_EELi8ELb1ELi0EEEvPT0_PS2_if.kd
    .uniform_work_group_size: 1
    .uses_dynamic_stack: false
    .vgpr_count:     46
    .vgpr_spill_count: 0
    .wavefront_size: 64
  - .agpr_count:     0
    .args:
      - .actual_access:  write_only
        .address_space:  global
        .offset:         0
        .size:           8
        .value_kind:     global_buffer
      - .actual_access:  read_only
        .address_space:  global
        .offset:         8
        .size:           8
        .value_kind:     global_buffer
      - .offset:         16
        .size:           4
        .value_kind:     by_value
      - .offset:         20
        .size:           4
        .value_kind:     by_value
      - .offset:         24
        .size:           4
        .value_kind:     hidden_block_count_x
      - .offset:         28
        .size:           4
        .value_kind:     hidden_block_count_y
      - .offset:         32
        .size:           4
        .value_kind:     hidden_block_count_z
      - .offset:         36
        .size:           2
        .value_kind:     hidden_group_size_x
      - .offset:         38
        .size:           2
        .value_kind:     hidden_group_size_y
      - .offset:         40
        .size:           2
        .value_kind:     hidden_group_size_z
      - .offset:         42
        .size:           2
        .value_kind:     hidden_remainder_x
      - .offset:         44
        .size:           2
        .value_kind:     hidden_remainder_y
      - .offset:         46
        .size:           2
        .value_kind:     hidden_remainder_z
      - .offset:         64
        .size:           8
        .value_kind:     hidden_global_offset_x
      - .offset:         72
        .size:           8
        .value_kind:     hidden_global_offset_y
      - .offset:         80
        .size:           8
        .value_kind:     hidden_global_offset_z
      - .offset:         88
        .size:           2
        .value_kind:     hidden_grid_dims
    .group_segment_fixed_size: 0
    .kernarg_segment_align: 8
    .kernarg_segment_size: 280
    .language:       OpenCL C
    .language_version:
      - 2
      - 0
    .max_flat_workgroup_size: 1024
    .name:           _ZN5aiter18act_and_mul_kernelIfDF16_TnPFfRKT_EXadL_ZNS_11silu_kernelIfEEfS3_EELi4ELb1ELi0EEEvPT0_PS2_if
    .private_segment_fixed_size: 0
    .sgpr_count:     36
    .sgpr_spill_count: 0
    .symbol:         _ZN5aiter18act_and_mul_kernelIfDF16_TnPFfRKT_EXadL_ZNS_11silu_kernelIfEEfS3_EELi4ELb1ELi0EEEvPT0_PS2_if.kd
    .uniform_work_group_size: 1
    .uses_dynamic_stack: false
    .vgpr_count:     26
    .vgpr_spill_count: 0
    .wavefront_size: 64
  - .agpr_count:     0
    .args:
      - .actual_access:  write_only
        .address_space:  global
        .offset:         0
        .size:           8
        .value_kind:     global_buffer
      - .actual_access:  read_only
        .address_space:  global
        .offset:         8
        .size:           8
        .value_kind:     global_buffer
      - .offset:         16
        .size:           4
        .value_kind:     by_value
      - .offset:         20
        .size:           4
        .value_kind:     by_value
      - .offset:         24
        .size:           4
        .value_kind:     hidden_block_count_x
      - .offset:         28
        .size:           4
        .value_kind:     hidden_block_count_y
      - .offset:         32
        .size:           4
        .value_kind:     hidden_block_count_z
      - .offset:         36
        .size:           2
        .value_kind:     hidden_group_size_x
      - .offset:         38
        .size:           2
        .value_kind:     hidden_group_size_y
      - .offset:         40
        .size:           2
        .value_kind:     hidden_group_size_z
      - .offset:         42
        .size:           2
        .value_kind:     hidden_remainder_x
      - .offset:         44
        .size:           2
        .value_kind:     hidden_remainder_y
      - .offset:         46
        .size:           2
        .value_kind:     hidden_remainder_z
      - .offset:         64
        .size:           8
        .value_kind:     hidden_global_offset_x
      - .offset:         72
        .size:           8
        .value_kind:     hidden_global_offset_y
      - .offset:         80
        .size:           8
        .value_kind:     hidden_global_offset_z
      - .offset:         88
        .size:           2
        .value_kind:     hidden_grid_dims
    .group_segment_fixed_size: 0
    .kernarg_segment_align: 8
    .kernarg_segment_size: 280
    .language:       OpenCL C
    .language_version:
      - 2
      - 0
    .max_flat_workgroup_size: 1024
    .name:           _ZN5aiter18act_and_mul_kernelIfDF16_TnPFfRKT_EXadL_ZNS_11silu_kernelIfEEfS3_EELi2ELb1ELi0EEEvPT0_PS2_if
    .private_segment_fixed_size: 0
    .sgpr_count:     32
    .sgpr_spill_count: 0
    .symbol:         _ZN5aiter18act_and_mul_kernelIfDF16_TnPFfRKT_EXadL_ZNS_11silu_kernelIfEEfS3_EELi2ELb1ELi0EEEvPT0_PS2_if.kd
    .uniform_work_group_size: 1
    .uses_dynamic_stack: false
    .vgpr_count:     16
    .vgpr_spill_count: 0
    .wavefront_size: 64
  - .agpr_count:     0
    .args:
      - .actual_access:  write_only
        .address_space:  global
        .offset:         0
        .size:           8
        .value_kind:     global_buffer
      - .actual_access:  read_only
        .address_space:  global
        .offset:         8
        .size:           8
        .value_kind:     global_buffer
      - .offset:         16
        .size:           4
        .value_kind:     by_value
      - .offset:         20
        .size:           4
        .value_kind:     by_value
      - .offset:         24
        .size:           4
        .value_kind:     hidden_block_count_x
      - .offset:         28
        .size:           4
        .value_kind:     hidden_block_count_y
      - .offset:         32
        .size:           4
        .value_kind:     hidden_block_count_z
      - .offset:         36
        .size:           2
        .value_kind:     hidden_group_size_x
      - .offset:         38
        .size:           2
        .value_kind:     hidden_group_size_y
      - .offset:         40
        .size:           2
        .value_kind:     hidden_group_size_z
      - .offset:         42
        .size:           2
        .value_kind:     hidden_remainder_x
      - .offset:         44
        .size:           2
        .value_kind:     hidden_remainder_y
      - .offset:         46
        .size:           2
        .value_kind:     hidden_remainder_z
      - .offset:         64
        .size:           8
        .value_kind:     hidden_global_offset_x
      - .offset:         72
        .size:           8
        .value_kind:     hidden_global_offset_y
      - .offset:         80
        .size:           8
        .value_kind:     hidden_global_offset_z
      - .offset:         88
        .size:           2
        .value_kind:     hidden_grid_dims
    .group_segment_fixed_size: 0
    .kernarg_segment_align: 8
    .kernarg_segment_size: 280
    .language:       OpenCL C
    .language_version:
      - 2
      - 0
    .max_flat_workgroup_size: 1024
    .name:           _ZN5aiter18act_and_mul_kernelIfDF16_TnPFfRKT_EXadL_ZNS_11silu_kernelIfEEfS3_EELi1ELb1ELi0EEEvPT0_PS2_if
    .private_segment_fixed_size: 0
    .sgpr_count:     32
    .sgpr_spill_count: 0
    .symbol:         _ZN5aiter18act_and_mul_kernelIfDF16_TnPFfRKT_EXadL_ZNS_11silu_kernelIfEEfS3_EELi1ELb1ELi0EEEvPT0_PS2_if.kd
    .uniform_work_group_size: 1
    .uses_dynamic_stack: false
    .vgpr_count:     11
    .vgpr_spill_count: 0
    .wavefront_size: 64
  - .agpr_count:     0
    .args:
      - .actual_access:  write_only
        .address_space:  global
        .offset:         0
        .size:           8
        .value_kind:     global_buffer
      - .actual_access:  read_only
        .address_space:  global
        .offset:         8
        .size:           8
        .value_kind:     global_buffer
      - .offset:         16
        .size:           4
        .value_kind:     by_value
      - .offset:         20
        .size:           4
        .value_kind:     by_value
      - .offset:         24
        .size:           4
        .value_kind:     hidden_block_count_x
      - .offset:         28
        .size:           4
        .value_kind:     hidden_block_count_y
      - .offset:         32
        .size:           4
        .value_kind:     hidden_block_count_z
      - .offset:         36
        .size:           2
        .value_kind:     hidden_group_size_x
      - .offset:         38
        .size:           2
        .value_kind:     hidden_group_size_y
      - .offset:         40
        .size:           2
        .value_kind:     hidden_group_size_z
      - .offset:         42
        .size:           2
        .value_kind:     hidden_remainder_x
      - .offset:         44
        .size:           2
        .value_kind:     hidden_remainder_y
      - .offset:         46
        .size:           2
        .value_kind:     hidden_remainder_z
      - .offset:         64
        .size:           8
        .value_kind:     hidden_global_offset_x
      - .offset:         72
        .size:           8
        .value_kind:     hidden_global_offset_y
      - .offset:         80
        .size:           8
        .value_kind:     hidden_global_offset_z
      - .offset:         88
        .size:           2
        .value_kind:     hidden_grid_dims
    .group_segment_fixed_size: 0
    .kernarg_segment_align: 8
    .kernarg_segment_size: 280
    .language:       OpenCL C
    .language_version:
      - 2
      - 0
    .max_flat_workgroup_size: 1024
    .name:           _ZN5aiter18act_and_mul_kernelIffTnPFfRKT_EXadL_ZNS_11silu_kernelIfEEfS3_EELi16ELb1ELi0EEEvPT0_PS2_if
    .private_segment_fixed_size: 0
    .sgpr_count:     30
    .sgpr_spill_count: 0
    .symbol:         _ZN5aiter18act_and_mul_kernelIffTnPFfRKT_EXadL_ZNS_11silu_kernelIfEEfS3_EELi16ELb1ELi0EEEvPT0_PS2_if.kd
    .uniform_work_group_size: 1
    .uses_dynamic_stack: false
    .vgpr_count:     42
    .vgpr_spill_count: 0
    .wavefront_size: 64
  - .agpr_count:     0
    .args:
      - .actual_access:  write_only
        .address_space:  global
        .offset:         0
        .size:           8
        .value_kind:     global_buffer
      - .actual_access:  read_only
        .address_space:  global
        .offset:         8
        .size:           8
        .value_kind:     global_buffer
      - .offset:         16
        .size:           4
        .value_kind:     by_value
      - .offset:         20
        .size:           4
        .value_kind:     by_value
      - .offset:         24
        .size:           4
        .value_kind:     hidden_block_count_x
      - .offset:         28
        .size:           4
        .value_kind:     hidden_block_count_y
      - .offset:         32
        .size:           4
        .value_kind:     hidden_block_count_z
      - .offset:         36
        .size:           2
        .value_kind:     hidden_group_size_x
      - .offset:         38
        .size:           2
        .value_kind:     hidden_group_size_y
      - .offset:         40
        .size:           2
        .value_kind:     hidden_group_size_z
      - .offset:         42
        .size:           2
        .value_kind:     hidden_remainder_x
      - .offset:         44
        .size:           2
        .value_kind:     hidden_remainder_y
      - .offset:         46
        .size:           2
        .value_kind:     hidden_remainder_z
      - .offset:         64
        .size:           8
        .value_kind:     hidden_global_offset_x
      - .offset:         72
        .size:           8
        .value_kind:     hidden_global_offset_y
      - .offset:         80
        .size:           8
        .value_kind:     hidden_global_offset_z
      - .offset:         88
        .size:           2
        .value_kind:     hidden_grid_dims
    .group_segment_fixed_size: 0
    .kernarg_segment_align: 8
    .kernarg_segment_size: 280
    .language:       OpenCL C
    .language_version:
      - 2
      - 0
    .max_flat_workgroup_size: 1024
    .name:           _ZN5aiter18act_and_mul_kernelIffTnPFfRKT_EXadL_ZNS_11silu_kernelIfEEfS3_EELi8ELb1ELi0EEEvPT0_PS2_if
    .private_segment_fixed_size: 0
    .sgpr_count:     45
    .sgpr_spill_count: 0
    .symbol:         _ZN5aiter18act_and_mul_kernelIffTnPFfRKT_EXadL_ZNS_11silu_kernelIfEEfS3_EELi8ELb1ELi0EEEvPT0_PS2_if.kd
    .uniform_work_group_size: 1
    .uses_dynamic_stack: false
    .vgpr_count:     46
    .vgpr_spill_count: 0
    .wavefront_size: 64
  - .agpr_count:     0
    .args:
      - .actual_access:  write_only
        .address_space:  global
        .offset:         0
        .size:           8
        .value_kind:     global_buffer
      - .actual_access:  read_only
        .address_space:  global
        .offset:         8
        .size:           8
        .value_kind:     global_buffer
      - .offset:         16
        .size:           4
        .value_kind:     by_value
      - .offset:         20
        .size:           4
        .value_kind:     by_value
      - .offset:         24
        .size:           4
        .value_kind:     hidden_block_count_x
      - .offset:         28
        .size:           4
        .value_kind:     hidden_block_count_y
      - .offset:         32
        .size:           4
        .value_kind:     hidden_block_count_z
      - .offset:         36
        .size:           2
        .value_kind:     hidden_group_size_x
      - .offset:         38
        .size:           2
        .value_kind:     hidden_group_size_y
      - .offset:         40
        .size:           2
        .value_kind:     hidden_group_size_z
      - .offset:         42
        .size:           2
        .value_kind:     hidden_remainder_x
      - .offset:         44
        .size:           2
        .value_kind:     hidden_remainder_y
      - .offset:         46
        .size:           2
        .value_kind:     hidden_remainder_z
      - .offset:         64
        .size:           8
        .value_kind:     hidden_global_offset_x
      - .offset:         72
        .size:           8
        .value_kind:     hidden_global_offset_y
      - .offset:         80
        .size:           8
        .value_kind:     hidden_global_offset_z
      - .offset:         88
        .size:           2
        .value_kind:     hidden_grid_dims
    .group_segment_fixed_size: 0
    .kernarg_segment_align: 8
    .kernarg_segment_size: 280
    .language:       OpenCL C
    .language_version:
      - 2
      - 0
    .max_flat_workgroup_size: 1024
    .name:           _ZN5aiter18act_and_mul_kernelIffTnPFfRKT_EXadL_ZNS_11silu_kernelIfEEfS3_EELi4ELb1ELi0EEEvPT0_PS2_if
    .private_segment_fixed_size: 0
    .sgpr_count:     36
    .sgpr_spill_count: 0
    .symbol:         _ZN5aiter18act_and_mul_kernelIffTnPFfRKT_EXadL_ZNS_11silu_kernelIfEEfS3_EELi4ELb1ELi0EEEvPT0_PS2_if.kd
    .uniform_work_group_size: 1
    .uses_dynamic_stack: false
    .vgpr_count:     26
    .vgpr_spill_count: 0
    .wavefront_size: 64
  - .agpr_count:     0
    .args:
      - .actual_access:  write_only
        .address_space:  global
        .offset:         0
        .size:           8
        .value_kind:     global_buffer
      - .actual_access:  read_only
        .address_space:  global
        .offset:         8
        .size:           8
        .value_kind:     global_buffer
      - .offset:         16
        .size:           4
        .value_kind:     by_value
      - .offset:         20
        .size:           4
        .value_kind:     by_value
      - .offset:         24
        .size:           4
        .value_kind:     hidden_block_count_x
      - .offset:         28
        .size:           4
        .value_kind:     hidden_block_count_y
      - .offset:         32
        .size:           4
        .value_kind:     hidden_block_count_z
      - .offset:         36
        .size:           2
        .value_kind:     hidden_group_size_x
      - .offset:         38
        .size:           2
        .value_kind:     hidden_group_size_y
      - .offset:         40
        .size:           2
        .value_kind:     hidden_group_size_z
      - .offset:         42
        .size:           2
        .value_kind:     hidden_remainder_x
      - .offset:         44
        .size:           2
        .value_kind:     hidden_remainder_y
      - .offset:         46
        .size:           2
        .value_kind:     hidden_remainder_z
      - .offset:         64
        .size:           8
        .value_kind:     hidden_global_offset_x
      - .offset:         72
        .size:           8
        .value_kind:     hidden_global_offset_y
      - .offset:         80
        .size:           8
        .value_kind:     hidden_global_offset_z
      - .offset:         88
        .size:           2
        .value_kind:     hidden_grid_dims
    .group_segment_fixed_size: 0
    .kernarg_segment_align: 8
    .kernarg_segment_size: 280
    .language:       OpenCL C
    .language_version:
      - 2
      - 0
    .max_flat_workgroup_size: 1024
    .name:           _ZN5aiter18act_and_mul_kernelIffTnPFfRKT_EXadL_ZNS_11silu_kernelIfEEfS3_EELi2ELb1ELi0EEEvPT0_PS2_if
    .private_segment_fixed_size: 0
    .sgpr_count:     32
    .sgpr_spill_count: 0
    .symbol:         _ZN5aiter18act_and_mul_kernelIffTnPFfRKT_EXadL_ZNS_11silu_kernelIfEEfS3_EELi2ELb1ELi0EEEvPT0_PS2_if.kd
    .uniform_work_group_size: 1
    .uses_dynamic_stack: false
    .vgpr_count:     16
    .vgpr_spill_count: 0
    .wavefront_size: 64
  - .agpr_count:     0
    .args:
      - .actual_access:  write_only
        .address_space:  global
        .offset:         0
        .size:           8
        .value_kind:     global_buffer
      - .actual_access:  read_only
        .address_space:  global
        .offset:         8
        .size:           8
        .value_kind:     global_buffer
      - .offset:         16
        .size:           4
        .value_kind:     by_value
      - .offset:         20
        .size:           4
        .value_kind:     by_value
      - .offset:         24
        .size:           4
        .value_kind:     hidden_block_count_x
      - .offset:         28
        .size:           4
        .value_kind:     hidden_block_count_y
      - .offset:         32
        .size:           4
        .value_kind:     hidden_block_count_z
      - .offset:         36
        .size:           2
        .value_kind:     hidden_group_size_x
      - .offset:         38
        .size:           2
        .value_kind:     hidden_group_size_y
      - .offset:         40
        .size:           2
        .value_kind:     hidden_group_size_z
      - .offset:         42
        .size:           2
        .value_kind:     hidden_remainder_x
      - .offset:         44
        .size:           2
        .value_kind:     hidden_remainder_y
      - .offset:         46
        .size:           2
        .value_kind:     hidden_remainder_z
      - .offset:         64
        .size:           8
        .value_kind:     hidden_global_offset_x
      - .offset:         72
        .size:           8
        .value_kind:     hidden_global_offset_y
      - .offset:         80
        .size:           8
        .value_kind:     hidden_global_offset_z
      - .offset:         88
        .size:           2
        .value_kind:     hidden_grid_dims
    .group_segment_fixed_size: 0
    .kernarg_segment_align: 8
    .kernarg_segment_size: 280
    .language:       OpenCL C
    .language_version:
      - 2
      - 0
    .max_flat_workgroup_size: 1024
    .name:           _ZN5aiter18act_and_mul_kernelIffTnPFfRKT_EXadL_ZNS_11silu_kernelIfEEfS3_EELi1ELb1ELi0EEEvPT0_PS2_if
    .private_segment_fixed_size: 0
    .sgpr_count:     29
    .sgpr_spill_count: 0
    .symbol:         _ZN5aiter18act_and_mul_kernelIffTnPFfRKT_EXadL_ZNS_11silu_kernelIfEEfS3_EELi1ELb1ELi0EEEvPT0_PS2_if.kd
    .uniform_work_group_size: 1
    .uses_dynamic_stack: false
    .vgpr_count:     10
    .vgpr_spill_count: 0
    .wavefront_size: 64
  - .agpr_count:     0
    .args:
      - .actual_access:  write_only
        .address_space:  global
        .offset:         0
        .size:           8
        .value_kind:     global_buffer
      - .actual_access:  read_only
        .address_space:  global
        .offset:         8
        .size:           8
        .value_kind:     global_buffer
      - .offset:         16
        .size:           4
        .value_kind:     by_value
      - .offset:         20
        .size:           4
        .value_kind:     by_value
      - .offset:         24
        .size:           4
        .value_kind:     hidden_block_count_x
      - .offset:         28
        .size:           4
        .value_kind:     hidden_block_count_y
      - .offset:         32
        .size:           4
        .value_kind:     hidden_block_count_z
      - .offset:         36
        .size:           2
        .value_kind:     hidden_group_size_x
      - .offset:         38
        .size:           2
        .value_kind:     hidden_group_size_y
      - .offset:         40
        .size:           2
        .value_kind:     hidden_group_size_z
      - .offset:         42
        .size:           2
        .value_kind:     hidden_remainder_x
      - .offset:         44
        .size:           2
        .value_kind:     hidden_remainder_y
      - .offset:         46
        .size:           2
        .value_kind:     hidden_remainder_z
      - .offset:         64
        .size:           8
        .value_kind:     hidden_global_offset_x
      - .offset:         72
        .size:           8
        .value_kind:     hidden_global_offset_y
      - .offset:         80
        .size:           8
        .value_kind:     hidden_global_offset_z
      - .offset:         88
        .size:           2
        .value_kind:     hidden_grid_dims
    .group_segment_fixed_size: 0
    .kernarg_segment_align: 8
    .kernarg_segment_size: 280
    .language:       OpenCL C
    .language_version:
      - 2
      - 0
    .max_flat_workgroup_size: 1024
    .name:           _ZN5aiter18act_and_mul_kernelIDF16_DF16_TnPFfRKT_EXadL_ZNS_11silu_kernelIDF16_EEfS3_EELi32ELb1ELi3EEEvPT0_PS2_if
    .private_segment_fixed_size: 0
    .sgpr_count:     31
    .sgpr_spill_count: 0
    .symbol:         _ZN5aiter18act_and_mul_kernelIDF16_DF16_TnPFfRKT_EXadL_ZNS_11silu_kernelIDF16_EEfS3_EELi32ELb1ELi3EEEvPT0_PS2_if.kd
    .uniform_work_group_size: 1
    .uses_dynamic_stack: false
    .vgpr_count:     46
    .vgpr_spill_count: 0
    .wavefront_size: 64
  - .agpr_count:     0
    .args:
      - .actual_access:  write_only
        .address_space:  global
        .offset:         0
        .size:           8
        .value_kind:     global_buffer
      - .actual_access:  read_only
        .address_space:  global
        .offset:         8
        .size:           8
        .value_kind:     global_buffer
      - .offset:         16
        .size:           4
        .value_kind:     by_value
      - .offset:         20
        .size:           4
        .value_kind:     by_value
      - .offset:         24
        .size:           4
        .value_kind:     hidden_block_count_x
      - .offset:         28
        .size:           4
        .value_kind:     hidden_block_count_y
      - .offset:         32
        .size:           4
        .value_kind:     hidden_block_count_z
      - .offset:         36
        .size:           2
        .value_kind:     hidden_group_size_x
      - .offset:         38
        .size:           2
        .value_kind:     hidden_group_size_y
      - .offset:         40
        .size:           2
        .value_kind:     hidden_group_size_z
      - .offset:         42
        .size:           2
        .value_kind:     hidden_remainder_x
      - .offset:         44
        .size:           2
        .value_kind:     hidden_remainder_y
      - .offset:         46
        .size:           2
        .value_kind:     hidden_remainder_z
      - .offset:         64
        .size:           8
        .value_kind:     hidden_global_offset_x
      - .offset:         72
        .size:           8
        .value_kind:     hidden_global_offset_y
      - .offset:         80
        .size:           8
        .value_kind:     hidden_global_offset_z
      - .offset:         88
        .size:           2
        .value_kind:     hidden_grid_dims
    .group_segment_fixed_size: 0
    .kernarg_segment_align: 8
    .kernarg_segment_size: 280
    .language:       OpenCL C
    .language_version:
      - 2
      - 0
    .max_flat_workgroup_size: 1024
    .name:           _ZN5aiter18act_and_mul_kernelIDF16_DF16_TnPFfRKT_EXadL_ZNS_11silu_kernelIDF16_EEfS3_EELi16ELb1ELi3EEEvPT0_PS2_if
    .private_segment_fixed_size: 0
    .sgpr_count:     31
    .sgpr_spill_count: 0
    .symbol:         _ZN5aiter18act_and_mul_kernelIDF16_DF16_TnPFfRKT_EXadL_ZNS_11silu_kernelIDF16_EEfS3_EELi16ELb1ELi3EEEvPT0_PS2_if.kd
    .uniform_work_group_size: 1
    .uses_dynamic_stack: false
    .vgpr_count:     30
    .vgpr_spill_count: 0
    .wavefront_size: 64
  - .agpr_count:     0
    .args:
      - .actual_access:  write_only
        .address_space:  global
        .offset:         0
        .size:           8
        .value_kind:     global_buffer
      - .actual_access:  read_only
        .address_space:  global
        .offset:         8
        .size:           8
        .value_kind:     global_buffer
      - .offset:         16
        .size:           4
        .value_kind:     by_value
      - .offset:         20
        .size:           4
        .value_kind:     by_value
      - .offset:         24
        .size:           4
        .value_kind:     hidden_block_count_x
      - .offset:         28
        .size:           4
        .value_kind:     hidden_block_count_y
      - .offset:         32
        .size:           4
        .value_kind:     hidden_block_count_z
      - .offset:         36
        .size:           2
        .value_kind:     hidden_group_size_x
      - .offset:         38
        .size:           2
        .value_kind:     hidden_group_size_y
      - .offset:         40
        .size:           2
        .value_kind:     hidden_group_size_z
      - .offset:         42
        .size:           2
        .value_kind:     hidden_remainder_x
      - .offset:         44
        .size:           2
        .value_kind:     hidden_remainder_y
      - .offset:         46
        .size:           2
        .value_kind:     hidden_remainder_z
      - .offset:         64
        .size:           8
        .value_kind:     hidden_global_offset_x
      - .offset:         72
        .size:           8
        .value_kind:     hidden_global_offset_y
      - .offset:         80
        .size:           8
        .value_kind:     hidden_global_offset_z
      - .offset:         88
        .size:           2
        .value_kind:     hidden_grid_dims
    .group_segment_fixed_size: 0
    .kernarg_segment_align: 8
    .kernarg_segment_size: 280
    .language:       OpenCL C
    .language_version:
      - 2
      - 0
    .max_flat_workgroup_size: 1024
    .name:           _ZN5aiter18act_and_mul_kernelIDF16_DF16_TnPFfRKT_EXadL_ZNS_11silu_kernelIDF16_EEfS3_EELi8ELb1ELi3EEEvPT0_PS2_if
    .private_segment_fixed_size: 0
    .sgpr_count:     46
    .sgpr_spill_count: 0
    .symbol:         _ZN5aiter18act_and_mul_kernelIDF16_DF16_TnPFfRKT_EXadL_ZNS_11silu_kernelIDF16_EEfS3_EELi8ELb1ELi3EEEvPT0_PS2_if.kd
    .uniform_work_group_size: 1
    .uses_dynamic_stack: false
    .vgpr_count:     55
    .vgpr_spill_count: 0
    .wavefront_size: 64
  - .agpr_count:     0
    .args:
      - .actual_access:  write_only
        .address_space:  global
        .offset:         0
        .size:           8
        .value_kind:     global_buffer
      - .actual_access:  read_only
        .address_space:  global
        .offset:         8
        .size:           8
        .value_kind:     global_buffer
      - .offset:         16
        .size:           4
        .value_kind:     by_value
      - .offset:         20
        .size:           4
        .value_kind:     by_value
      - .offset:         24
        .size:           4
        .value_kind:     hidden_block_count_x
      - .offset:         28
        .size:           4
        .value_kind:     hidden_block_count_y
      - .offset:         32
        .size:           4
        .value_kind:     hidden_block_count_z
      - .offset:         36
        .size:           2
        .value_kind:     hidden_group_size_x
      - .offset:         38
        .size:           2
        .value_kind:     hidden_group_size_y
      - .offset:         40
        .size:           2
        .value_kind:     hidden_group_size_z
      - .offset:         42
        .size:           2
        .value_kind:     hidden_remainder_x
      - .offset:         44
        .size:           2
        .value_kind:     hidden_remainder_y
      - .offset:         46
        .size:           2
        .value_kind:     hidden_remainder_z
      - .offset:         64
        .size:           8
        .value_kind:     hidden_global_offset_x
      - .offset:         72
        .size:           8
        .value_kind:     hidden_global_offset_y
      - .offset:         80
        .size:           8
        .value_kind:     hidden_global_offset_z
      - .offset:         88
        .size:           2
        .value_kind:     hidden_grid_dims
    .group_segment_fixed_size: 0
    .kernarg_segment_align: 8
    .kernarg_segment_size: 280
    .language:       OpenCL C
    .language_version:
      - 2
      - 0
    .max_flat_workgroup_size: 1024
    .name:           _ZN5aiter18act_and_mul_kernelIDF16_DF16_TnPFfRKT_EXadL_ZNS_11silu_kernelIDF16_EEfS3_EELi4ELb1ELi3EEEvPT0_PS2_if
    .private_segment_fixed_size: 0
    .sgpr_count:     37
    .sgpr_spill_count: 0
    .symbol:         _ZN5aiter18act_and_mul_kernelIDF16_DF16_TnPFfRKT_EXadL_ZNS_11silu_kernelIDF16_EEfS3_EELi4ELb1ELi3EEEvPT0_PS2_if.kd
    .uniform_work_group_size: 1
    .uses_dynamic_stack: false
    .vgpr_count:     31
    .vgpr_spill_count: 0
    .wavefront_size: 64
  - .agpr_count:     0
    .args:
      - .actual_access:  write_only
        .address_space:  global
        .offset:         0
        .size:           8
        .value_kind:     global_buffer
      - .actual_access:  read_only
        .address_space:  global
        .offset:         8
        .size:           8
        .value_kind:     global_buffer
      - .offset:         16
        .size:           4
        .value_kind:     by_value
      - .offset:         20
        .size:           4
        .value_kind:     by_value
      - .offset:         24
        .size:           4
        .value_kind:     hidden_block_count_x
      - .offset:         28
        .size:           4
        .value_kind:     hidden_block_count_y
      - .offset:         32
        .size:           4
        .value_kind:     hidden_block_count_z
      - .offset:         36
        .size:           2
        .value_kind:     hidden_group_size_x
      - .offset:         38
        .size:           2
        .value_kind:     hidden_group_size_y
      - .offset:         40
        .size:           2
        .value_kind:     hidden_group_size_z
      - .offset:         42
        .size:           2
        .value_kind:     hidden_remainder_x
      - .offset:         44
        .size:           2
        .value_kind:     hidden_remainder_y
      - .offset:         46
        .size:           2
        .value_kind:     hidden_remainder_z
      - .offset:         64
        .size:           8
        .value_kind:     hidden_global_offset_x
      - .offset:         72
        .size:           8
        .value_kind:     hidden_global_offset_y
      - .offset:         80
        .size:           8
        .value_kind:     hidden_global_offset_z
      - .offset:         88
        .size:           2
        .value_kind:     hidden_grid_dims
    .group_segment_fixed_size: 0
    .kernarg_segment_align: 8
    .kernarg_segment_size: 280
    .language:       OpenCL C
    .language_version:
      - 2
      - 0
    .max_flat_workgroup_size: 1024
    .name:           _ZN5aiter18act_and_mul_kernelIDF16_DF16_TnPFfRKT_EXadL_ZNS_11silu_kernelIDF16_EEfS3_EELi2ELb1ELi3EEEvPT0_PS2_if
    .private_segment_fixed_size: 0
    .sgpr_count:     33
    .sgpr_spill_count: 0
    .symbol:         _ZN5aiter18act_and_mul_kernelIDF16_DF16_TnPFfRKT_EXadL_ZNS_11silu_kernelIDF16_EEfS3_EELi2ELb1ELi3EEEvPT0_PS2_if.kd
    .uniform_work_group_size: 1
    .uses_dynamic_stack: false
    .vgpr_count:     18
    .vgpr_spill_count: 0
    .wavefront_size: 64
  - .agpr_count:     0
    .args:
      - .actual_access:  write_only
        .address_space:  global
        .offset:         0
        .size:           8
        .value_kind:     global_buffer
      - .actual_access:  read_only
        .address_space:  global
        .offset:         8
        .size:           8
        .value_kind:     global_buffer
      - .offset:         16
        .size:           4
        .value_kind:     by_value
      - .offset:         20
        .size:           4
        .value_kind:     by_value
      - .offset:         24
        .size:           4
        .value_kind:     hidden_block_count_x
      - .offset:         28
        .size:           4
        .value_kind:     hidden_block_count_y
      - .offset:         32
        .size:           4
        .value_kind:     hidden_block_count_z
      - .offset:         36
        .size:           2
        .value_kind:     hidden_group_size_x
      - .offset:         38
        .size:           2
        .value_kind:     hidden_group_size_y
      - .offset:         40
        .size:           2
        .value_kind:     hidden_group_size_z
      - .offset:         42
        .size:           2
        .value_kind:     hidden_remainder_x
      - .offset:         44
        .size:           2
        .value_kind:     hidden_remainder_y
      - .offset:         46
        .size:           2
        .value_kind:     hidden_remainder_z
      - .offset:         64
        .size:           8
        .value_kind:     hidden_global_offset_x
      - .offset:         72
        .size:           8
        .value_kind:     hidden_global_offset_y
      - .offset:         80
        .size:           8
        .value_kind:     hidden_global_offset_z
      - .offset:         88
        .size:           2
        .value_kind:     hidden_grid_dims
    .group_segment_fixed_size: 0
    .kernarg_segment_align: 8
    .kernarg_segment_size: 280
    .language:       OpenCL C
    .language_version:
      - 2
      - 0
    .max_flat_workgroup_size: 1024
    .name:           _ZN5aiter18act_and_mul_kernelIDF16_DF16_TnPFfRKT_EXadL_ZNS_11silu_kernelIDF16_EEfS3_EELi1ELb1ELi3EEEvPT0_PS2_if
    .private_segment_fixed_size: 0
    .sgpr_count:     30
    .sgpr_spill_count: 0
    .symbol:         _ZN5aiter18act_and_mul_kernelIDF16_DF16_TnPFfRKT_EXadL_ZNS_11silu_kernelIDF16_EEfS3_EELi1ELb1ELi3EEEvPT0_PS2_if.kd
    .uniform_work_group_size: 1
    .uses_dynamic_stack: false
    .vgpr_count:     11
    .vgpr_spill_count: 0
    .wavefront_size: 64
  - .agpr_count:     0
    .args:
      - .actual_access:  write_only
        .address_space:  global
        .offset:         0
        .size:           8
        .value_kind:     global_buffer
      - .actual_access:  read_only
        .address_space:  global
        .offset:         8
        .size:           8
        .value_kind:     global_buffer
      - .offset:         16
        .size:           4
        .value_kind:     by_value
      - .offset:         20
        .size:           4
        .value_kind:     by_value
      - .offset:         24
        .size:           4
        .value_kind:     hidden_block_count_x
      - .offset:         28
        .size:           4
        .value_kind:     hidden_block_count_y
      - .offset:         32
        .size:           4
        .value_kind:     hidden_block_count_z
      - .offset:         36
        .size:           2
        .value_kind:     hidden_group_size_x
      - .offset:         38
        .size:           2
        .value_kind:     hidden_group_size_y
      - .offset:         40
        .size:           2
        .value_kind:     hidden_group_size_z
      - .offset:         42
        .size:           2
        .value_kind:     hidden_remainder_x
      - .offset:         44
        .size:           2
        .value_kind:     hidden_remainder_y
      - .offset:         46
        .size:           2
        .value_kind:     hidden_remainder_z
      - .offset:         64
        .size:           8
        .value_kind:     hidden_global_offset_x
      - .offset:         72
        .size:           8
        .value_kind:     hidden_global_offset_y
      - .offset:         80
        .size:           8
        .value_kind:     hidden_global_offset_z
      - .offset:         88
        .size:           2
        .value_kind:     hidden_grid_dims
    .group_segment_fixed_size: 0
    .kernarg_segment_align: 8
    .kernarg_segment_size: 280
    .language:       OpenCL C
    .language_version:
      - 2
      - 0
    .max_flat_workgroup_size: 1024
    .name:           _ZN5aiter18act_and_mul_kernelIttTnPFfRKT_EXadL_ZNS_11silu_kernelItEEfS3_EELi32ELb1ELi3EEEvPT0_PS2_if
    .private_segment_fixed_size: 0
    .sgpr_count:     31
    .sgpr_spill_count: 0
    .symbol:         _ZN5aiter18act_and_mul_kernelIttTnPFfRKT_EXadL_ZNS_11silu_kernelItEEfS3_EELi32ELb1ELi3EEEvPT0_PS2_if.kd
    .uniform_work_group_size: 1
    .uses_dynamic_stack: false
    .vgpr_count:     46
    .vgpr_spill_count: 0
    .wavefront_size: 64
  - .agpr_count:     0
    .args:
      - .actual_access:  write_only
        .address_space:  global
        .offset:         0
        .size:           8
        .value_kind:     global_buffer
      - .actual_access:  read_only
        .address_space:  global
        .offset:         8
        .size:           8
        .value_kind:     global_buffer
      - .offset:         16
        .size:           4
        .value_kind:     by_value
      - .offset:         20
        .size:           4
        .value_kind:     by_value
      - .offset:         24
        .size:           4
        .value_kind:     hidden_block_count_x
      - .offset:         28
        .size:           4
        .value_kind:     hidden_block_count_y
      - .offset:         32
        .size:           4
        .value_kind:     hidden_block_count_z
      - .offset:         36
        .size:           2
        .value_kind:     hidden_group_size_x
      - .offset:         38
        .size:           2
        .value_kind:     hidden_group_size_y
      - .offset:         40
        .size:           2
        .value_kind:     hidden_group_size_z
      - .offset:         42
        .size:           2
        .value_kind:     hidden_remainder_x
      - .offset:         44
        .size:           2
        .value_kind:     hidden_remainder_y
      - .offset:         46
        .size:           2
        .value_kind:     hidden_remainder_z
      - .offset:         64
        .size:           8
        .value_kind:     hidden_global_offset_x
      - .offset:         72
        .size:           8
        .value_kind:     hidden_global_offset_y
      - .offset:         80
        .size:           8
        .value_kind:     hidden_global_offset_z
      - .offset:         88
        .size:           2
        .value_kind:     hidden_grid_dims
    .group_segment_fixed_size: 0
    .kernarg_segment_align: 8
    .kernarg_segment_size: 280
    .language:       OpenCL C
    .language_version:
      - 2
      - 0
    .max_flat_workgroup_size: 1024
    .name:           _ZN5aiter18act_and_mul_kernelIttTnPFfRKT_EXadL_ZNS_11silu_kernelItEEfS3_EELi16ELb1ELi3EEEvPT0_PS2_if
    .private_segment_fixed_size: 0
    .sgpr_count:     31
    .sgpr_spill_count: 0
    .symbol:         _ZN5aiter18act_and_mul_kernelIttTnPFfRKT_EXadL_ZNS_11silu_kernelItEEfS3_EELi16ELb1ELi3EEEvPT0_PS2_if.kd
    .uniform_work_group_size: 1
    .uses_dynamic_stack: false
    .vgpr_count:     28
    .vgpr_spill_count: 0
    .wavefront_size: 64
  - .agpr_count:     0
    .args:
      - .actual_access:  write_only
        .address_space:  global
        .offset:         0
        .size:           8
        .value_kind:     global_buffer
      - .actual_access:  read_only
        .address_space:  global
        .offset:         8
        .size:           8
        .value_kind:     global_buffer
      - .offset:         16
        .size:           4
        .value_kind:     by_value
      - .offset:         20
        .size:           4
        .value_kind:     by_value
      - .offset:         24
        .size:           4
        .value_kind:     hidden_block_count_x
      - .offset:         28
        .size:           4
        .value_kind:     hidden_block_count_y
      - .offset:         32
        .size:           4
        .value_kind:     hidden_block_count_z
      - .offset:         36
        .size:           2
        .value_kind:     hidden_group_size_x
      - .offset:         38
        .size:           2
        .value_kind:     hidden_group_size_y
      - .offset:         40
        .size:           2
        .value_kind:     hidden_group_size_z
      - .offset:         42
        .size:           2
        .value_kind:     hidden_remainder_x
      - .offset:         44
        .size:           2
        .value_kind:     hidden_remainder_y
      - .offset:         46
        .size:           2
        .value_kind:     hidden_remainder_z
      - .offset:         64
        .size:           8
        .value_kind:     hidden_global_offset_x
      - .offset:         72
        .size:           8
        .value_kind:     hidden_global_offset_y
      - .offset:         80
        .size:           8
        .value_kind:     hidden_global_offset_z
      - .offset:         88
        .size:           2
        .value_kind:     hidden_grid_dims
    .group_segment_fixed_size: 0
    .kernarg_segment_align: 8
    .kernarg_segment_size: 280
    .language:       OpenCL C
    .language_version:
      - 2
      - 0
    .max_flat_workgroup_size: 1024
    .name:           _ZN5aiter18act_and_mul_kernelIttTnPFfRKT_EXadL_ZNS_11silu_kernelItEEfS3_EELi8ELb1ELi3EEEvPT0_PS2_if
    .private_segment_fixed_size: 0
    .sgpr_count:     46
    .sgpr_spill_count: 0
    .symbol:         _ZN5aiter18act_and_mul_kernelIttTnPFfRKT_EXadL_ZNS_11silu_kernelItEEfS3_EELi8ELb1ELi3EEEvPT0_PS2_if.kd
    .uniform_work_group_size: 1
    .uses_dynamic_stack: false
    .vgpr_count:     46
    .vgpr_spill_count: 0
    .wavefront_size: 64
  - .agpr_count:     0
    .args:
      - .actual_access:  write_only
        .address_space:  global
        .offset:         0
        .size:           8
        .value_kind:     global_buffer
      - .actual_access:  read_only
        .address_space:  global
        .offset:         8
        .size:           8
        .value_kind:     global_buffer
      - .offset:         16
        .size:           4
        .value_kind:     by_value
      - .offset:         20
        .size:           4
        .value_kind:     by_value
      - .offset:         24
        .size:           4
        .value_kind:     hidden_block_count_x
      - .offset:         28
        .size:           4
        .value_kind:     hidden_block_count_y
      - .offset:         32
        .size:           4
        .value_kind:     hidden_block_count_z
      - .offset:         36
        .size:           2
        .value_kind:     hidden_group_size_x
      - .offset:         38
        .size:           2
        .value_kind:     hidden_group_size_y
      - .offset:         40
        .size:           2
        .value_kind:     hidden_group_size_z
      - .offset:         42
        .size:           2
        .value_kind:     hidden_remainder_x
      - .offset:         44
        .size:           2
        .value_kind:     hidden_remainder_y
      - .offset:         46
        .size:           2
        .value_kind:     hidden_remainder_z
      - .offset:         64
        .size:           8
        .value_kind:     hidden_global_offset_x
      - .offset:         72
        .size:           8
        .value_kind:     hidden_global_offset_y
      - .offset:         80
        .size:           8
        .value_kind:     hidden_global_offset_z
      - .offset:         88
        .size:           2
        .value_kind:     hidden_grid_dims
    .group_segment_fixed_size: 0
    .kernarg_segment_align: 8
    .kernarg_segment_size: 280
    .language:       OpenCL C
    .language_version:
      - 2
      - 0
    .max_flat_workgroup_size: 1024
    .name:           _ZN5aiter18act_and_mul_kernelIttTnPFfRKT_EXadL_ZNS_11silu_kernelItEEfS3_EELi4ELb1ELi3EEEvPT0_PS2_if
    .private_segment_fixed_size: 0
    .sgpr_count:     37
    .sgpr_spill_count: 0
    .symbol:         _ZN5aiter18act_and_mul_kernelIttTnPFfRKT_EXadL_ZNS_11silu_kernelItEEfS3_EELi4ELb1ELi3EEEvPT0_PS2_if.kd
    .uniform_work_group_size: 1
    .uses_dynamic_stack: false
    .vgpr_count:     26
    .vgpr_spill_count: 0
    .wavefront_size: 64
  - .agpr_count:     0
    .args:
      - .actual_access:  write_only
        .address_space:  global
        .offset:         0
        .size:           8
        .value_kind:     global_buffer
      - .actual_access:  read_only
        .address_space:  global
        .offset:         8
        .size:           8
        .value_kind:     global_buffer
      - .offset:         16
        .size:           4
        .value_kind:     by_value
      - .offset:         20
        .size:           4
        .value_kind:     by_value
      - .offset:         24
        .size:           4
        .value_kind:     hidden_block_count_x
      - .offset:         28
        .size:           4
        .value_kind:     hidden_block_count_y
      - .offset:         32
        .size:           4
        .value_kind:     hidden_block_count_z
      - .offset:         36
        .size:           2
        .value_kind:     hidden_group_size_x
      - .offset:         38
        .size:           2
        .value_kind:     hidden_group_size_y
      - .offset:         40
        .size:           2
        .value_kind:     hidden_group_size_z
      - .offset:         42
        .size:           2
        .value_kind:     hidden_remainder_x
      - .offset:         44
        .size:           2
        .value_kind:     hidden_remainder_y
      - .offset:         46
        .size:           2
        .value_kind:     hidden_remainder_z
      - .offset:         64
        .size:           8
        .value_kind:     hidden_global_offset_x
      - .offset:         72
        .size:           8
        .value_kind:     hidden_global_offset_y
      - .offset:         80
        .size:           8
        .value_kind:     hidden_global_offset_z
      - .offset:         88
        .size:           2
        .value_kind:     hidden_grid_dims
    .group_segment_fixed_size: 0
    .kernarg_segment_align: 8
    .kernarg_segment_size: 280
    .language:       OpenCL C
    .language_version:
      - 2
      - 0
    .max_flat_workgroup_size: 1024
    .name:           _ZN5aiter18act_and_mul_kernelIttTnPFfRKT_EXadL_ZNS_11silu_kernelItEEfS3_EELi2ELb1ELi3EEEvPT0_PS2_if
    .private_segment_fixed_size: 0
    .sgpr_count:     33
    .sgpr_spill_count: 0
    .symbol:         _ZN5aiter18act_and_mul_kernelIttTnPFfRKT_EXadL_ZNS_11silu_kernelItEEfS3_EELi2ELb1ELi3EEEvPT0_PS2_if.kd
    .uniform_work_group_size: 1
    .uses_dynamic_stack: false
    .vgpr_count:     16
    .vgpr_spill_count: 0
    .wavefront_size: 64
  - .agpr_count:     0
    .args:
      - .actual_access:  write_only
        .address_space:  global
        .offset:         0
        .size:           8
        .value_kind:     global_buffer
      - .actual_access:  read_only
        .address_space:  global
        .offset:         8
        .size:           8
        .value_kind:     global_buffer
      - .offset:         16
        .size:           4
        .value_kind:     by_value
      - .offset:         20
        .size:           4
        .value_kind:     by_value
      - .offset:         24
        .size:           4
        .value_kind:     hidden_block_count_x
      - .offset:         28
        .size:           4
        .value_kind:     hidden_block_count_y
      - .offset:         32
        .size:           4
        .value_kind:     hidden_block_count_z
      - .offset:         36
        .size:           2
        .value_kind:     hidden_group_size_x
      - .offset:         38
        .size:           2
        .value_kind:     hidden_group_size_y
      - .offset:         40
        .size:           2
        .value_kind:     hidden_group_size_z
      - .offset:         42
        .size:           2
        .value_kind:     hidden_remainder_x
      - .offset:         44
        .size:           2
        .value_kind:     hidden_remainder_y
      - .offset:         46
        .size:           2
        .value_kind:     hidden_remainder_z
      - .offset:         64
        .size:           8
        .value_kind:     hidden_global_offset_x
      - .offset:         72
        .size:           8
        .value_kind:     hidden_global_offset_y
      - .offset:         80
        .size:           8
        .value_kind:     hidden_global_offset_z
      - .offset:         88
        .size:           2
        .value_kind:     hidden_grid_dims
    .group_segment_fixed_size: 0
    .kernarg_segment_align: 8
    .kernarg_segment_size: 280
    .language:       OpenCL C
    .language_version:
      - 2
      - 0
    .max_flat_workgroup_size: 1024
    .name:           _ZN5aiter18act_and_mul_kernelIttTnPFfRKT_EXadL_ZNS_11silu_kernelItEEfS3_EELi1ELb1ELi3EEEvPT0_PS2_if
    .private_segment_fixed_size: 0
    .sgpr_count:     31
    .sgpr_spill_count: 0
    .symbol:         _ZN5aiter18act_and_mul_kernelIttTnPFfRKT_EXadL_ZNS_11silu_kernelItEEfS3_EELi1ELb1ELi3EEEvPT0_PS2_if.kd
    .uniform_work_group_size: 1
    .uses_dynamic_stack: false
    .vgpr_count:     10
    .vgpr_spill_count: 0
    .wavefront_size: 64
  - .agpr_count:     0
    .args:
      - .actual_access:  write_only
        .address_space:  global
        .offset:         0
        .size:           8
        .value_kind:     global_buffer
      - .actual_access:  read_only
        .address_space:  global
        .offset:         8
        .size:           8
        .value_kind:     global_buffer
      - .offset:         16
        .size:           4
        .value_kind:     by_value
      - .offset:         20
        .size:           4
        .value_kind:     by_value
      - .offset:         24
        .size:           4
        .value_kind:     hidden_block_count_x
      - .offset:         28
        .size:           4
        .value_kind:     hidden_block_count_y
      - .offset:         32
        .size:           4
        .value_kind:     hidden_block_count_z
      - .offset:         36
        .size:           2
        .value_kind:     hidden_group_size_x
      - .offset:         38
        .size:           2
        .value_kind:     hidden_group_size_y
      - .offset:         40
        .size:           2
        .value_kind:     hidden_group_size_z
      - .offset:         42
        .size:           2
        .value_kind:     hidden_remainder_x
      - .offset:         44
        .size:           2
        .value_kind:     hidden_remainder_y
      - .offset:         46
        .size:           2
        .value_kind:     hidden_remainder_z
      - .offset:         64
        .size:           8
        .value_kind:     hidden_global_offset_x
      - .offset:         72
        .size:           8
        .value_kind:     hidden_global_offset_y
      - .offset:         80
        .size:           8
        .value_kind:     hidden_global_offset_z
      - .offset:         88
        .size:           2
        .value_kind:     hidden_grid_dims
    .group_segment_fixed_size: 0
    .kernarg_segment_align: 8
    .kernarg_segment_size: 280
    .language:       OpenCL C
    .language_version:
      - 2
      - 0
    .max_flat_workgroup_size: 1024
    .name:           _ZN5aiter18act_and_mul_kernelIftTnPFfRKT_EXadL_ZNS_11silu_kernelIfEEfS3_EELi16ELb0ELi0EEEvPT0_PS2_if
    .private_segment_fixed_size: 0
    .sgpr_count:     61
    .sgpr_spill_count: 0
    .symbol:         _ZN5aiter18act_and_mul_kernelIftTnPFfRKT_EXadL_ZNS_11silu_kernelIfEEfS3_EELi16ELb0ELi0EEEvPT0_PS2_if.kd
    .uniform_work_group_size: 1
    .uses_dynamic_stack: false
    .vgpr_count:     66
    .vgpr_spill_count: 0
    .wavefront_size: 64
  - .agpr_count:     0
    .args:
      - .actual_access:  write_only
        .address_space:  global
        .offset:         0
        .size:           8
        .value_kind:     global_buffer
      - .actual_access:  read_only
        .address_space:  global
        .offset:         8
        .size:           8
        .value_kind:     global_buffer
      - .offset:         16
        .size:           4
        .value_kind:     by_value
      - .offset:         20
        .size:           4
        .value_kind:     by_value
      - .offset:         24
        .size:           4
        .value_kind:     hidden_block_count_x
      - .offset:         28
        .size:           4
        .value_kind:     hidden_block_count_y
      - .offset:         32
        .size:           4
        .value_kind:     hidden_block_count_z
      - .offset:         36
        .size:           2
        .value_kind:     hidden_group_size_x
      - .offset:         38
        .size:           2
        .value_kind:     hidden_group_size_y
      - .offset:         40
        .size:           2
        .value_kind:     hidden_group_size_z
      - .offset:         42
        .size:           2
        .value_kind:     hidden_remainder_x
      - .offset:         44
        .size:           2
        .value_kind:     hidden_remainder_y
      - .offset:         46
        .size:           2
        .value_kind:     hidden_remainder_z
      - .offset:         64
        .size:           8
        .value_kind:     hidden_global_offset_x
      - .offset:         72
        .size:           8
        .value_kind:     hidden_global_offset_y
      - .offset:         80
        .size:           8
        .value_kind:     hidden_global_offset_z
      - .offset:         88
        .size:           2
        .value_kind:     hidden_grid_dims
    .group_segment_fixed_size: 0
    .kernarg_segment_align: 8
    .kernarg_segment_size: 280
    .language:       OpenCL C
    .language_version:
      - 2
      - 0
    .max_flat_workgroup_size: 1024
    .name:           _ZN5aiter18act_and_mul_kernelIftTnPFfRKT_EXadL_ZNS_11silu_kernelIfEEfS3_EELi8ELb0ELi0EEEvPT0_PS2_if
    .private_segment_fixed_size: 0
    .sgpr_count:     45
    .sgpr_spill_count: 0
    .symbol:         _ZN5aiter18act_and_mul_kernelIftTnPFfRKT_EXadL_ZNS_11silu_kernelIfEEfS3_EELi8ELb0ELi0EEEvPT0_PS2_if.kd
    .uniform_work_group_size: 1
    .uses_dynamic_stack: false
    .vgpr_count:     44
    .vgpr_spill_count: 0
    .wavefront_size: 64
  - .agpr_count:     0
    .args:
      - .actual_access:  write_only
        .address_space:  global
        .offset:         0
        .size:           8
        .value_kind:     global_buffer
      - .actual_access:  read_only
        .address_space:  global
        .offset:         8
        .size:           8
        .value_kind:     global_buffer
      - .offset:         16
        .size:           4
        .value_kind:     by_value
      - .offset:         20
        .size:           4
        .value_kind:     by_value
      - .offset:         24
        .size:           4
        .value_kind:     hidden_block_count_x
      - .offset:         28
        .size:           4
        .value_kind:     hidden_block_count_y
      - .offset:         32
        .size:           4
        .value_kind:     hidden_block_count_z
      - .offset:         36
        .size:           2
        .value_kind:     hidden_group_size_x
      - .offset:         38
        .size:           2
        .value_kind:     hidden_group_size_y
      - .offset:         40
        .size:           2
        .value_kind:     hidden_group_size_z
      - .offset:         42
        .size:           2
        .value_kind:     hidden_remainder_x
      - .offset:         44
        .size:           2
        .value_kind:     hidden_remainder_y
      - .offset:         46
        .size:           2
        .value_kind:     hidden_remainder_z
      - .offset:         64
        .size:           8
        .value_kind:     hidden_global_offset_x
      - .offset:         72
        .size:           8
        .value_kind:     hidden_global_offset_y
      - .offset:         80
        .size:           8
        .value_kind:     hidden_global_offset_z
      - .offset:         88
        .size:           2
        .value_kind:     hidden_grid_dims
    .group_segment_fixed_size: 0
    .kernarg_segment_align: 8
    .kernarg_segment_size: 280
    .language:       OpenCL C
    .language_version:
      - 2
      - 0
    .max_flat_workgroup_size: 1024
    .name:           _ZN5aiter18act_and_mul_kernelIftTnPFfRKT_EXadL_ZNS_11silu_kernelIfEEfS3_EELi4ELb0ELi0EEEvPT0_PS2_if
    .private_segment_fixed_size: 0
    .sgpr_count:     36
    .sgpr_spill_count: 0
    .symbol:         _ZN5aiter18act_and_mul_kernelIftTnPFfRKT_EXadL_ZNS_11silu_kernelIfEEfS3_EELi4ELb0ELi0EEEvPT0_PS2_if.kd
    .uniform_work_group_size: 1
    .uses_dynamic_stack: false
    .vgpr_count:     23
    .vgpr_spill_count: 0
    .wavefront_size: 64
  - .agpr_count:     0
    .args:
      - .actual_access:  write_only
        .address_space:  global
        .offset:         0
        .size:           8
        .value_kind:     global_buffer
      - .actual_access:  read_only
        .address_space:  global
        .offset:         8
        .size:           8
        .value_kind:     global_buffer
      - .offset:         16
        .size:           4
        .value_kind:     by_value
      - .offset:         20
        .size:           4
        .value_kind:     by_value
      - .offset:         24
        .size:           4
        .value_kind:     hidden_block_count_x
      - .offset:         28
        .size:           4
        .value_kind:     hidden_block_count_y
      - .offset:         32
        .size:           4
        .value_kind:     hidden_block_count_z
      - .offset:         36
        .size:           2
        .value_kind:     hidden_group_size_x
      - .offset:         38
        .size:           2
        .value_kind:     hidden_group_size_y
      - .offset:         40
        .size:           2
        .value_kind:     hidden_group_size_z
      - .offset:         42
        .size:           2
        .value_kind:     hidden_remainder_x
      - .offset:         44
        .size:           2
        .value_kind:     hidden_remainder_y
      - .offset:         46
        .size:           2
        .value_kind:     hidden_remainder_z
      - .offset:         64
        .size:           8
        .value_kind:     hidden_global_offset_x
      - .offset:         72
        .size:           8
        .value_kind:     hidden_global_offset_y
      - .offset:         80
        .size:           8
        .value_kind:     hidden_global_offset_z
      - .offset:         88
        .size:           2
        .value_kind:     hidden_grid_dims
    .group_segment_fixed_size: 0
    .kernarg_segment_align: 8
    .kernarg_segment_size: 280
    .language:       OpenCL C
    .language_version:
      - 2
      - 0
    .max_flat_workgroup_size: 1024
    .name:           _ZN5aiter18act_and_mul_kernelIftTnPFfRKT_EXadL_ZNS_11silu_kernelIfEEfS3_EELi2ELb0ELi0EEEvPT0_PS2_if
    .private_segment_fixed_size: 0
    .sgpr_count:     32
    .sgpr_spill_count: 0
    .symbol:         _ZN5aiter18act_and_mul_kernelIftTnPFfRKT_EXadL_ZNS_11silu_kernelIfEEfS3_EELi2ELb0ELi0EEEvPT0_PS2_if.kd
    .uniform_work_group_size: 1
    .uses_dynamic_stack: false
    .vgpr_count:     13
    .vgpr_spill_count: 0
    .wavefront_size: 64
  - .agpr_count:     0
    .args:
      - .actual_access:  write_only
        .address_space:  global
        .offset:         0
        .size:           8
        .value_kind:     global_buffer
      - .actual_access:  read_only
        .address_space:  global
        .offset:         8
        .size:           8
        .value_kind:     global_buffer
      - .offset:         16
        .size:           4
        .value_kind:     by_value
      - .offset:         20
        .size:           4
        .value_kind:     by_value
      - .offset:         24
        .size:           4
        .value_kind:     hidden_block_count_x
      - .offset:         28
        .size:           4
        .value_kind:     hidden_block_count_y
      - .offset:         32
        .size:           4
        .value_kind:     hidden_block_count_z
      - .offset:         36
        .size:           2
        .value_kind:     hidden_group_size_x
      - .offset:         38
        .size:           2
        .value_kind:     hidden_group_size_y
      - .offset:         40
        .size:           2
        .value_kind:     hidden_group_size_z
      - .offset:         42
        .size:           2
        .value_kind:     hidden_remainder_x
      - .offset:         44
        .size:           2
        .value_kind:     hidden_remainder_y
      - .offset:         46
        .size:           2
        .value_kind:     hidden_remainder_z
      - .offset:         64
        .size:           8
        .value_kind:     hidden_global_offset_x
      - .offset:         72
        .size:           8
        .value_kind:     hidden_global_offset_y
      - .offset:         80
        .size:           8
        .value_kind:     hidden_global_offset_z
      - .offset:         88
        .size:           2
        .value_kind:     hidden_grid_dims
    .group_segment_fixed_size: 0
    .kernarg_segment_align: 8
    .kernarg_segment_size: 280
    .language:       OpenCL C
    .language_version:
      - 2
      - 0
    .max_flat_workgroup_size: 1024
    .name:           _ZN5aiter18act_and_mul_kernelIftTnPFfRKT_EXadL_ZNS_11silu_kernelIfEEfS3_EELi1ELb0ELi0EEEvPT0_PS2_if
    .private_segment_fixed_size: 0
    .sgpr_count:     29
    .sgpr_spill_count: 0
    .symbol:         _ZN5aiter18act_and_mul_kernelIftTnPFfRKT_EXadL_ZNS_11silu_kernelIfEEfS3_EELi1ELb0ELi0EEEvPT0_PS2_if.kd
    .uniform_work_group_size: 1
    .uses_dynamic_stack: false
    .vgpr_count:     10
    .vgpr_spill_count: 0
    .wavefront_size: 64
  - .agpr_count:     0
    .args:
      - .actual_access:  write_only
        .address_space:  global
        .offset:         0
        .size:           8
        .value_kind:     global_buffer
      - .actual_access:  read_only
        .address_space:  global
        .offset:         8
        .size:           8
        .value_kind:     global_buffer
      - .offset:         16
        .size:           4
        .value_kind:     by_value
      - .offset:         20
        .size:           4
        .value_kind:     by_value
      - .offset:         24
        .size:           4
        .value_kind:     hidden_block_count_x
      - .offset:         28
        .size:           4
        .value_kind:     hidden_block_count_y
      - .offset:         32
        .size:           4
        .value_kind:     hidden_block_count_z
      - .offset:         36
        .size:           2
        .value_kind:     hidden_group_size_x
      - .offset:         38
        .size:           2
        .value_kind:     hidden_group_size_y
      - .offset:         40
        .size:           2
        .value_kind:     hidden_group_size_z
      - .offset:         42
        .size:           2
        .value_kind:     hidden_remainder_x
      - .offset:         44
        .size:           2
        .value_kind:     hidden_remainder_y
      - .offset:         46
        .size:           2
        .value_kind:     hidden_remainder_z
      - .offset:         64
        .size:           8
        .value_kind:     hidden_global_offset_x
      - .offset:         72
        .size:           8
        .value_kind:     hidden_global_offset_y
      - .offset:         80
        .size:           8
        .value_kind:     hidden_global_offset_z
      - .offset:         88
        .size:           2
        .value_kind:     hidden_grid_dims
    .group_segment_fixed_size: 0
    .kernarg_segment_align: 8
    .kernarg_segment_size: 280
    .language:       OpenCL C
    .language_version:
      - 2
      - 0
    .max_flat_workgroup_size: 1024
    .name:           _ZN5aiter18act_and_mul_kernelIfDF16_TnPFfRKT_EXadL_ZNS_11silu_kernelIfEEfS3_EELi16ELb0ELi0EEEvPT0_PS2_if
    .private_segment_fixed_size: 0
    .sgpr_count:     60
    .sgpr_spill_count: 0
    .symbol:         _ZN5aiter18act_and_mul_kernelIfDF16_TnPFfRKT_EXadL_ZNS_11silu_kernelIfEEfS3_EELi16ELb0ELi0EEEvPT0_PS2_if.kd
    .uniform_work_group_size: 1
    .uses_dynamic_stack: false
    .vgpr_count:     66
    .vgpr_spill_count: 0
    .wavefront_size: 64
  - .agpr_count:     0
    .args:
      - .actual_access:  write_only
        .address_space:  global
        .offset:         0
        .size:           8
        .value_kind:     global_buffer
      - .actual_access:  read_only
        .address_space:  global
        .offset:         8
        .size:           8
        .value_kind:     global_buffer
      - .offset:         16
        .size:           4
        .value_kind:     by_value
      - .offset:         20
        .size:           4
        .value_kind:     by_value
      - .offset:         24
        .size:           4
        .value_kind:     hidden_block_count_x
      - .offset:         28
        .size:           4
        .value_kind:     hidden_block_count_y
      - .offset:         32
        .size:           4
        .value_kind:     hidden_block_count_z
      - .offset:         36
        .size:           2
        .value_kind:     hidden_group_size_x
      - .offset:         38
        .size:           2
        .value_kind:     hidden_group_size_y
      - .offset:         40
        .size:           2
        .value_kind:     hidden_group_size_z
      - .offset:         42
        .size:           2
        .value_kind:     hidden_remainder_x
      - .offset:         44
        .size:           2
        .value_kind:     hidden_remainder_y
      - .offset:         46
        .size:           2
        .value_kind:     hidden_remainder_z
      - .offset:         64
        .size:           8
        .value_kind:     hidden_global_offset_x
      - .offset:         72
        .size:           8
        .value_kind:     hidden_global_offset_y
      - .offset:         80
        .size:           8
        .value_kind:     hidden_global_offset_z
      - .offset:         88
        .size:           2
        .value_kind:     hidden_grid_dims
    .group_segment_fixed_size: 0
    .kernarg_segment_align: 8
    .kernarg_segment_size: 280
    .language:       OpenCL C
    .language_version:
      - 2
      - 0
    .max_flat_workgroup_size: 1024
    .name:           _ZN5aiter18act_and_mul_kernelIfDF16_TnPFfRKT_EXadL_ZNS_11silu_kernelIfEEfS3_EELi8ELb0ELi0EEEvPT0_PS2_if
    .private_segment_fixed_size: 0
    .sgpr_count:     44
    .sgpr_spill_count: 0
    .symbol:         _ZN5aiter18act_and_mul_kernelIfDF16_TnPFfRKT_EXadL_ZNS_11silu_kernelIfEEfS3_EELi8ELb0ELi0EEEvPT0_PS2_if.kd
    .uniform_work_group_size: 1
    .uses_dynamic_stack: false
    .vgpr_count:     44
    .vgpr_spill_count: 0
    .wavefront_size: 64
  - .agpr_count:     0
    .args:
      - .actual_access:  write_only
        .address_space:  global
        .offset:         0
        .size:           8
        .value_kind:     global_buffer
      - .actual_access:  read_only
        .address_space:  global
        .offset:         8
        .size:           8
        .value_kind:     global_buffer
      - .offset:         16
        .size:           4
        .value_kind:     by_value
      - .offset:         20
        .size:           4
        .value_kind:     by_value
      - .offset:         24
        .size:           4
        .value_kind:     hidden_block_count_x
      - .offset:         28
        .size:           4
        .value_kind:     hidden_block_count_y
      - .offset:         32
        .size:           4
        .value_kind:     hidden_block_count_z
      - .offset:         36
        .size:           2
        .value_kind:     hidden_group_size_x
      - .offset:         38
        .size:           2
        .value_kind:     hidden_group_size_y
      - .offset:         40
        .size:           2
        .value_kind:     hidden_group_size_z
      - .offset:         42
        .size:           2
        .value_kind:     hidden_remainder_x
      - .offset:         44
        .size:           2
        .value_kind:     hidden_remainder_y
      - .offset:         46
        .size:           2
        .value_kind:     hidden_remainder_z
      - .offset:         64
        .size:           8
        .value_kind:     hidden_global_offset_x
      - .offset:         72
        .size:           8
        .value_kind:     hidden_global_offset_y
      - .offset:         80
        .size:           8
        .value_kind:     hidden_global_offset_z
      - .offset:         88
        .size:           2
        .value_kind:     hidden_grid_dims
    .group_segment_fixed_size: 0
    .kernarg_segment_align: 8
    .kernarg_segment_size: 280
    .language:       OpenCL C
    .language_version:
      - 2
      - 0
    .max_flat_workgroup_size: 1024
    .name:           _ZN5aiter18act_and_mul_kernelIfDF16_TnPFfRKT_EXadL_ZNS_11silu_kernelIfEEfS3_EELi4ELb0ELi0EEEvPT0_PS2_if
    .private_segment_fixed_size: 0
    .sgpr_count:     35
    .sgpr_spill_count: 0
    .symbol:         _ZN5aiter18act_and_mul_kernelIfDF16_TnPFfRKT_EXadL_ZNS_11silu_kernelIfEEfS3_EELi4ELb0ELi0EEEvPT0_PS2_if.kd
    .uniform_work_group_size: 1
    .uses_dynamic_stack: false
    .vgpr_count:     24
    .vgpr_spill_count: 0
    .wavefront_size: 64
  - .agpr_count:     0
    .args:
      - .actual_access:  write_only
        .address_space:  global
        .offset:         0
        .size:           8
        .value_kind:     global_buffer
      - .actual_access:  read_only
        .address_space:  global
        .offset:         8
        .size:           8
        .value_kind:     global_buffer
      - .offset:         16
        .size:           4
        .value_kind:     by_value
      - .offset:         20
        .size:           4
        .value_kind:     by_value
      - .offset:         24
        .size:           4
        .value_kind:     hidden_block_count_x
      - .offset:         28
        .size:           4
        .value_kind:     hidden_block_count_y
      - .offset:         32
        .size:           4
        .value_kind:     hidden_block_count_z
      - .offset:         36
        .size:           2
        .value_kind:     hidden_group_size_x
      - .offset:         38
        .size:           2
        .value_kind:     hidden_group_size_y
      - .offset:         40
        .size:           2
        .value_kind:     hidden_group_size_z
      - .offset:         42
        .size:           2
        .value_kind:     hidden_remainder_x
      - .offset:         44
        .size:           2
        .value_kind:     hidden_remainder_y
      - .offset:         46
        .size:           2
        .value_kind:     hidden_remainder_z
      - .offset:         64
        .size:           8
        .value_kind:     hidden_global_offset_x
      - .offset:         72
        .size:           8
        .value_kind:     hidden_global_offset_y
      - .offset:         80
        .size:           8
        .value_kind:     hidden_global_offset_z
      - .offset:         88
        .size:           2
        .value_kind:     hidden_grid_dims
    .group_segment_fixed_size: 0
    .kernarg_segment_align: 8
    .kernarg_segment_size: 280
    .language:       OpenCL C
    .language_version:
      - 2
      - 0
    .max_flat_workgroup_size: 1024
    .name:           _ZN5aiter18act_and_mul_kernelIfDF16_TnPFfRKT_EXadL_ZNS_11silu_kernelIfEEfS3_EELi2ELb0ELi0EEEvPT0_PS2_if
    .private_segment_fixed_size: 0
    .sgpr_count:     31
    .sgpr_spill_count: 0
    .symbol:         _ZN5aiter18act_and_mul_kernelIfDF16_TnPFfRKT_EXadL_ZNS_11silu_kernelIfEEfS3_EELi2ELb0ELi0EEEvPT0_PS2_if.kd
    .uniform_work_group_size: 1
    .uses_dynamic_stack: false
    .vgpr_count:     14
    .vgpr_spill_count: 0
    .wavefront_size: 64
  - .agpr_count:     0
    .args:
      - .actual_access:  write_only
        .address_space:  global
        .offset:         0
        .size:           8
        .value_kind:     global_buffer
      - .actual_access:  read_only
        .address_space:  global
        .offset:         8
        .size:           8
        .value_kind:     global_buffer
      - .offset:         16
        .size:           4
        .value_kind:     by_value
      - .offset:         20
        .size:           4
        .value_kind:     by_value
      - .offset:         24
        .size:           4
        .value_kind:     hidden_block_count_x
      - .offset:         28
        .size:           4
        .value_kind:     hidden_block_count_y
      - .offset:         32
        .size:           4
        .value_kind:     hidden_block_count_z
      - .offset:         36
        .size:           2
        .value_kind:     hidden_group_size_x
      - .offset:         38
        .size:           2
        .value_kind:     hidden_group_size_y
      - .offset:         40
        .size:           2
        .value_kind:     hidden_group_size_z
      - .offset:         42
        .size:           2
        .value_kind:     hidden_remainder_x
      - .offset:         44
        .size:           2
        .value_kind:     hidden_remainder_y
      - .offset:         46
        .size:           2
        .value_kind:     hidden_remainder_z
      - .offset:         64
        .size:           8
        .value_kind:     hidden_global_offset_x
      - .offset:         72
        .size:           8
        .value_kind:     hidden_global_offset_y
      - .offset:         80
        .size:           8
        .value_kind:     hidden_global_offset_z
      - .offset:         88
        .size:           2
        .value_kind:     hidden_grid_dims
    .group_segment_fixed_size: 0
    .kernarg_segment_align: 8
    .kernarg_segment_size: 280
    .language:       OpenCL C
    .language_version:
      - 2
      - 0
    .max_flat_workgroup_size: 1024
    .name:           _ZN5aiter18act_and_mul_kernelIfDF16_TnPFfRKT_EXadL_ZNS_11silu_kernelIfEEfS3_EELi1ELb0ELi0EEEvPT0_PS2_if
    .private_segment_fixed_size: 0
    .sgpr_count:     29
    .sgpr_spill_count: 0
    .symbol:         _ZN5aiter18act_and_mul_kernelIfDF16_TnPFfRKT_EXadL_ZNS_11silu_kernelIfEEfS3_EELi1ELb0ELi0EEEvPT0_PS2_if.kd
    .uniform_work_group_size: 1
    .uses_dynamic_stack: false
    .vgpr_count:     10
    .vgpr_spill_count: 0
    .wavefront_size: 64
  - .agpr_count:     0
    .args:
      - .actual_access:  write_only
        .address_space:  global
        .offset:         0
        .size:           8
        .value_kind:     global_buffer
      - .actual_access:  read_only
        .address_space:  global
        .offset:         8
        .size:           8
        .value_kind:     global_buffer
      - .offset:         16
        .size:           4
        .value_kind:     by_value
      - .offset:         20
        .size:           4
        .value_kind:     by_value
      - .offset:         24
        .size:           4
        .value_kind:     hidden_block_count_x
      - .offset:         28
        .size:           4
        .value_kind:     hidden_block_count_y
      - .offset:         32
        .size:           4
        .value_kind:     hidden_block_count_z
      - .offset:         36
        .size:           2
        .value_kind:     hidden_group_size_x
      - .offset:         38
        .size:           2
        .value_kind:     hidden_group_size_y
      - .offset:         40
        .size:           2
        .value_kind:     hidden_group_size_z
      - .offset:         42
        .size:           2
        .value_kind:     hidden_remainder_x
      - .offset:         44
        .size:           2
        .value_kind:     hidden_remainder_y
      - .offset:         46
        .size:           2
        .value_kind:     hidden_remainder_z
      - .offset:         64
        .size:           8
        .value_kind:     hidden_global_offset_x
      - .offset:         72
        .size:           8
        .value_kind:     hidden_global_offset_y
      - .offset:         80
        .size:           8
        .value_kind:     hidden_global_offset_z
      - .offset:         88
        .size:           2
        .value_kind:     hidden_grid_dims
    .group_segment_fixed_size: 0
    .kernarg_segment_align: 8
    .kernarg_segment_size: 280
    .language:       OpenCL C
    .language_version:
      - 2
      - 0
    .max_flat_workgroup_size: 1024
    .name:           _ZN5aiter18act_and_mul_kernelIffTnPFfRKT_EXadL_ZNS_11silu_kernelIfEEfS3_EELi16ELb0ELi0EEEvPT0_PS2_if
    .private_segment_fixed_size: 0
    .sgpr_count:     60
    .sgpr_spill_count: 0
    .symbol:         _ZN5aiter18act_and_mul_kernelIffTnPFfRKT_EXadL_ZNS_11silu_kernelIfEEfS3_EELi16ELb0ELi0EEEvPT0_PS2_if.kd
    .uniform_work_group_size: 1
    .uses_dynamic_stack: false
    .vgpr_count:     68
    .vgpr_spill_count: 0
    .wavefront_size: 64
  - .agpr_count:     0
    .args:
      - .actual_access:  write_only
        .address_space:  global
        .offset:         0
        .size:           8
        .value_kind:     global_buffer
      - .actual_access:  read_only
        .address_space:  global
        .offset:         8
        .size:           8
        .value_kind:     global_buffer
      - .offset:         16
        .size:           4
        .value_kind:     by_value
      - .offset:         20
        .size:           4
        .value_kind:     by_value
      - .offset:         24
        .size:           4
        .value_kind:     hidden_block_count_x
      - .offset:         28
        .size:           4
        .value_kind:     hidden_block_count_y
      - .offset:         32
        .size:           4
        .value_kind:     hidden_block_count_z
      - .offset:         36
        .size:           2
        .value_kind:     hidden_group_size_x
      - .offset:         38
        .size:           2
        .value_kind:     hidden_group_size_y
      - .offset:         40
        .size:           2
        .value_kind:     hidden_group_size_z
      - .offset:         42
        .size:           2
        .value_kind:     hidden_remainder_x
      - .offset:         44
        .size:           2
        .value_kind:     hidden_remainder_y
      - .offset:         46
        .size:           2
        .value_kind:     hidden_remainder_z
      - .offset:         64
        .size:           8
        .value_kind:     hidden_global_offset_x
      - .offset:         72
        .size:           8
        .value_kind:     hidden_global_offset_y
      - .offset:         80
        .size:           8
        .value_kind:     hidden_global_offset_z
      - .offset:         88
        .size:           2
        .value_kind:     hidden_grid_dims
    .group_segment_fixed_size: 0
    .kernarg_segment_align: 8
    .kernarg_segment_size: 280
    .language:       OpenCL C
    .language_version:
      - 2
      - 0
    .max_flat_workgroup_size: 1024
    .name:           _ZN5aiter18act_and_mul_kernelIffTnPFfRKT_EXadL_ZNS_11silu_kernelIfEEfS3_EELi8ELb0ELi0EEEvPT0_PS2_if
    .private_segment_fixed_size: 0
    .sgpr_count:     44
    .sgpr_spill_count: 0
    .symbol:         _ZN5aiter18act_and_mul_kernelIffTnPFfRKT_EXadL_ZNS_11silu_kernelIfEEfS3_EELi8ELb0ELi0EEEvPT0_PS2_if.kd
    .uniform_work_group_size: 1
    .uses_dynamic_stack: false
    .vgpr_count:     44
    .vgpr_spill_count: 0
    .wavefront_size: 64
  - .agpr_count:     0
    .args:
      - .actual_access:  write_only
        .address_space:  global
        .offset:         0
        .size:           8
        .value_kind:     global_buffer
      - .actual_access:  read_only
        .address_space:  global
        .offset:         8
        .size:           8
        .value_kind:     global_buffer
      - .offset:         16
        .size:           4
        .value_kind:     by_value
      - .offset:         20
        .size:           4
        .value_kind:     by_value
      - .offset:         24
        .size:           4
        .value_kind:     hidden_block_count_x
      - .offset:         28
        .size:           4
        .value_kind:     hidden_block_count_y
      - .offset:         32
        .size:           4
        .value_kind:     hidden_block_count_z
      - .offset:         36
        .size:           2
        .value_kind:     hidden_group_size_x
      - .offset:         38
        .size:           2
        .value_kind:     hidden_group_size_y
      - .offset:         40
        .size:           2
        .value_kind:     hidden_group_size_z
      - .offset:         42
        .size:           2
        .value_kind:     hidden_remainder_x
      - .offset:         44
        .size:           2
        .value_kind:     hidden_remainder_y
      - .offset:         46
        .size:           2
        .value_kind:     hidden_remainder_z
      - .offset:         64
        .size:           8
        .value_kind:     hidden_global_offset_x
      - .offset:         72
        .size:           8
        .value_kind:     hidden_global_offset_y
      - .offset:         80
        .size:           8
        .value_kind:     hidden_global_offset_z
      - .offset:         88
        .size:           2
        .value_kind:     hidden_grid_dims
    .group_segment_fixed_size: 0
    .kernarg_segment_align: 8
    .kernarg_segment_size: 280
    .language:       OpenCL C
    .language_version:
      - 2
      - 0
    .max_flat_workgroup_size: 1024
    .name:           _ZN5aiter18act_and_mul_kernelIffTnPFfRKT_EXadL_ZNS_11silu_kernelIfEEfS3_EELi4ELb0ELi0EEEvPT0_PS2_if
    .private_segment_fixed_size: 0
    .sgpr_count:     35
    .sgpr_spill_count: 0
    .symbol:         _ZN5aiter18act_and_mul_kernelIffTnPFfRKT_EXadL_ZNS_11silu_kernelIfEEfS3_EELi4ELb0ELi0EEEvPT0_PS2_if.kd
    .uniform_work_group_size: 1
    .uses_dynamic_stack: false
    .vgpr_count:     24
    .vgpr_spill_count: 0
    .wavefront_size: 64
  - .agpr_count:     0
    .args:
      - .actual_access:  write_only
        .address_space:  global
        .offset:         0
        .size:           8
        .value_kind:     global_buffer
      - .actual_access:  read_only
        .address_space:  global
        .offset:         8
        .size:           8
        .value_kind:     global_buffer
      - .offset:         16
        .size:           4
        .value_kind:     by_value
      - .offset:         20
        .size:           4
        .value_kind:     by_value
      - .offset:         24
        .size:           4
        .value_kind:     hidden_block_count_x
      - .offset:         28
        .size:           4
        .value_kind:     hidden_block_count_y
      - .offset:         32
        .size:           4
        .value_kind:     hidden_block_count_z
      - .offset:         36
        .size:           2
        .value_kind:     hidden_group_size_x
      - .offset:         38
        .size:           2
        .value_kind:     hidden_group_size_y
      - .offset:         40
        .size:           2
        .value_kind:     hidden_group_size_z
      - .offset:         42
        .size:           2
        .value_kind:     hidden_remainder_x
      - .offset:         44
        .size:           2
        .value_kind:     hidden_remainder_y
      - .offset:         46
        .size:           2
        .value_kind:     hidden_remainder_z
      - .offset:         64
        .size:           8
        .value_kind:     hidden_global_offset_x
      - .offset:         72
        .size:           8
        .value_kind:     hidden_global_offset_y
      - .offset:         80
        .size:           8
        .value_kind:     hidden_global_offset_z
      - .offset:         88
        .size:           2
        .value_kind:     hidden_grid_dims
    .group_segment_fixed_size: 0
    .kernarg_segment_align: 8
    .kernarg_segment_size: 280
    .language:       OpenCL C
    .language_version:
      - 2
      - 0
    .max_flat_workgroup_size: 1024
    .name:           _ZN5aiter18act_and_mul_kernelIffTnPFfRKT_EXadL_ZNS_11silu_kernelIfEEfS3_EELi2ELb0ELi0EEEvPT0_PS2_if
    .private_segment_fixed_size: 0
    .sgpr_count:     31
    .sgpr_spill_count: 0
    .symbol:         _ZN5aiter18act_and_mul_kernelIffTnPFfRKT_EXadL_ZNS_11silu_kernelIfEEfS3_EELi2ELb0ELi0EEEvPT0_PS2_if.kd
    .uniform_work_group_size: 1
    .uses_dynamic_stack: false
    .vgpr_count:     14
    .vgpr_spill_count: 0
    .wavefront_size: 64
  - .agpr_count:     0
    .args:
      - .actual_access:  write_only
        .address_space:  global
        .offset:         0
        .size:           8
        .value_kind:     global_buffer
      - .actual_access:  read_only
        .address_space:  global
        .offset:         8
        .size:           8
        .value_kind:     global_buffer
      - .offset:         16
        .size:           4
        .value_kind:     by_value
      - .offset:         20
        .size:           4
        .value_kind:     by_value
      - .offset:         24
        .size:           4
        .value_kind:     hidden_block_count_x
      - .offset:         28
        .size:           4
        .value_kind:     hidden_block_count_y
      - .offset:         32
        .size:           4
        .value_kind:     hidden_block_count_z
      - .offset:         36
        .size:           2
        .value_kind:     hidden_group_size_x
      - .offset:         38
        .size:           2
        .value_kind:     hidden_group_size_y
      - .offset:         40
        .size:           2
        .value_kind:     hidden_group_size_z
      - .offset:         42
        .size:           2
        .value_kind:     hidden_remainder_x
      - .offset:         44
        .size:           2
        .value_kind:     hidden_remainder_y
      - .offset:         46
        .size:           2
        .value_kind:     hidden_remainder_z
      - .offset:         64
        .size:           8
        .value_kind:     hidden_global_offset_x
      - .offset:         72
        .size:           8
        .value_kind:     hidden_global_offset_y
      - .offset:         80
        .size:           8
        .value_kind:     hidden_global_offset_z
      - .offset:         88
        .size:           2
        .value_kind:     hidden_grid_dims
    .group_segment_fixed_size: 0
    .kernarg_segment_align: 8
    .kernarg_segment_size: 280
    .language:       OpenCL C
    .language_version:
      - 2
      - 0
    .max_flat_workgroup_size: 1024
    .name:           _ZN5aiter18act_and_mul_kernelIffTnPFfRKT_EXadL_ZNS_11silu_kernelIfEEfS3_EELi1ELb0ELi0EEEvPT0_PS2_if
    .private_segment_fixed_size: 0
    .sgpr_count:     28
    .sgpr_spill_count: 0
    .symbol:         _ZN5aiter18act_and_mul_kernelIffTnPFfRKT_EXadL_ZNS_11silu_kernelIfEEfS3_EELi1ELb0ELi0EEEvPT0_PS2_if.kd
    .uniform_work_group_size: 1
    .uses_dynamic_stack: false
    .vgpr_count:     9
    .vgpr_spill_count: 0
    .wavefront_size: 64
  - .agpr_count:     0
    .args:
      - .actual_access:  write_only
        .address_space:  global
        .offset:         0
        .size:           8
        .value_kind:     global_buffer
      - .actual_access:  read_only
        .address_space:  global
        .offset:         8
        .size:           8
        .value_kind:     global_buffer
      - .offset:         16
        .size:           4
        .value_kind:     by_value
      - .offset:         20
        .size:           4
        .value_kind:     by_value
      - .offset:         24
        .size:           4
        .value_kind:     hidden_block_count_x
      - .offset:         28
        .size:           4
        .value_kind:     hidden_block_count_y
      - .offset:         32
        .size:           4
        .value_kind:     hidden_block_count_z
      - .offset:         36
        .size:           2
        .value_kind:     hidden_group_size_x
      - .offset:         38
        .size:           2
        .value_kind:     hidden_group_size_y
      - .offset:         40
        .size:           2
        .value_kind:     hidden_group_size_z
      - .offset:         42
        .size:           2
        .value_kind:     hidden_remainder_x
      - .offset:         44
        .size:           2
        .value_kind:     hidden_remainder_y
      - .offset:         46
        .size:           2
        .value_kind:     hidden_remainder_z
      - .offset:         64
        .size:           8
        .value_kind:     hidden_global_offset_x
      - .offset:         72
        .size:           8
        .value_kind:     hidden_global_offset_y
      - .offset:         80
        .size:           8
        .value_kind:     hidden_global_offset_z
      - .offset:         88
        .size:           2
        .value_kind:     hidden_grid_dims
    .group_segment_fixed_size: 0
    .kernarg_segment_align: 8
    .kernarg_segment_size: 280
    .language:       OpenCL C
    .language_version:
      - 2
      - 0
    .max_flat_workgroup_size: 1024
    .name:           _ZN5aiter18act_and_mul_kernelIDF16_DF16_TnPFfRKT_EXadL_ZNS_11silu_kernelIDF16_EEfS3_EELi32ELb0ELi3EEEvPT0_PS2_if
    .private_segment_fixed_size: 0
    .sgpr_count:     30
    .sgpr_spill_count: 0
    .symbol:         _ZN5aiter18act_and_mul_kernelIDF16_DF16_TnPFfRKT_EXadL_ZNS_11silu_kernelIDF16_EEfS3_EELi32ELb0ELi3EEEvPT0_PS2_if.kd
    .uniform_work_group_size: 1
    .uses_dynamic_stack: false
    .vgpr_count:     42
    .vgpr_spill_count: 0
    .wavefront_size: 64
  - .agpr_count:     0
    .args:
      - .actual_access:  write_only
        .address_space:  global
        .offset:         0
        .size:           8
        .value_kind:     global_buffer
      - .actual_access:  read_only
        .address_space:  global
        .offset:         8
        .size:           8
        .value_kind:     global_buffer
      - .offset:         16
        .size:           4
        .value_kind:     by_value
      - .offset:         20
        .size:           4
        .value_kind:     by_value
      - .offset:         24
        .size:           4
        .value_kind:     hidden_block_count_x
      - .offset:         28
        .size:           4
        .value_kind:     hidden_block_count_y
      - .offset:         32
        .size:           4
        .value_kind:     hidden_block_count_z
      - .offset:         36
        .size:           2
        .value_kind:     hidden_group_size_x
      - .offset:         38
        .size:           2
        .value_kind:     hidden_group_size_y
      - .offset:         40
        .size:           2
        .value_kind:     hidden_group_size_z
      - .offset:         42
        .size:           2
        .value_kind:     hidden_remainder_x
      - .offset:         44
        .size:           2
        .value_kind:     hidden_remainder_y
      - .offset:         46
        .size:           2
        .value_kind:     hidden_remainder_z
      - .offset:         64
        .size:           8
        .value_kind:     hidden_global_offset_x
      - .offset:         72
        .size:           8
        .value_kind:     hidden_global_offset_y
      - .offset:         80
        .size:           8
        .value_kind:     hidden_global_offset_z
      - .offset:         88
        .size:           2
        .value_kind:     hidden_grid_dims
    .group_segment_fixed_size: 0
    .kernarg_segment_align: 8
    .kernarg_segment_size: 280
    .language:       OpenCL C
    .language_version:
      - 2
      - 0
    .max_flat_workgroup_size: 1024
    .name:           _ZN5aiter18act_and_mul_kernelIDF16_DF16_TnPFfRKT_EXadL_ZNS_11silu_kernelIDF16_EEfS3_EELi16ELb0ELi3EEEvPT0_PS2_if
    .private_segment_fixed_size: 0
    .sgpr_count:     30
    .sgpr_spill_count: 0
    .symbol:         _ZN5aiter18act_and_mul_kernelIDF16_DF16_TnPFfRKT_EXadL_ZNS_11silu_kernelIDF16_EEfS3_EELi16ELb0ELi3EEEvPT0_PS2_if.kd
    .uniform_work_group_size: 1
    .uses_dynamic_stack: false
    .vgpr_count:     26
    .vgpr_spill_count: 0
    .wavefront_size: 64
  - .agpr_count:     0
    .args:
      - .actual_access:  write_only
        .address_space:  global
        .offset:         0
        .size:           8
        .value_kind:     global_buffer
      - .actual_access:  read_only
        .address_space:  global
        .offset:         8
        .size:           8
        .value_kind:     global_buffer
      - .offset:         16
        .size:           4
        .value_kind:     by_value
      - .offset:         20
        .size:           4
        .value_kind:     by_value
      - .offset:         24
        .size:           4
        .value_kind:     hidden_block_count_x
      - .offset:         28
        .size:           4
        .value_kind:     hidden_block_count_y
      - .offset:         32
        .size:           4
        .value_kind:     hidden_block_count_z
      - .offset:         36
        .size:           2
        .value_kind:     hidden_group_size_x
      - .offset:         38
        .size:           2
        .value_kind:     hidden_group_size_y
      - .offset:         40
        .size:           2
        .value_kind:     hidden_group_size_z
      - .offset:         42
        .size:           2
        .value_kind:     hidden_remainder_x
      - .offset:         44
        .size:           2
        .value_kind:     hidden_remainder_y
      - .offset:         46
        .size:           2
        .value_kind:     hidden_remainder_z
      - .offset:         64
        .size:           8
        .value_kind:     hidden_global_offset_x
      - .offset:         72
        .size:           8
        .value_kind:     hidden_global_offset_y
      - .offset:         80
        .size:           8
        .value_kind:     hidden_global_offset_z
      - .offset:         88
        .size:           2
        .value_kind:     hidden_grid_dims
    .group_segment_fixed_size: 0
    .kernarg_segment_align: 8
    .kernarg_segment_size: 280
    .language:       OpenCL C
    .language_version:
      - 2
      - 0
    .max_flat_workgroup_size: 1024
    .name:           _ZN5aiter18act_and_mul_kernelIDF16_DF16_TnPFfRKT_EXadL_ZNS_11silu_kernelIDF16_EEfS3_EELi8ELb0ELi3EEEvPT0_PS2_if
    .private_segment_fixed_size: 0
    .sgpr_count:     45
    .sgpr_spill_count: 0
    .symbol:         _ZN5aiter18act_and_mul_kernelIDF16_DF16_TnPFfRKT_EXadL_ZNS_11silu_kernelIDF16_EEfS3_EELi8ELb0ELi3EEEvPT0_PS2_if.kd
    .uniform_work_group_size: 1
    .uses_dynamic_stack: false
    .vgpr_count:     48
    .vgpr_spill_count: 0
    .wavefront_size: 64
  - .agpr_count:     0
    .args:
      - .actual_access:  write_only
        .address_space:  global
        .offset:         0
        .size:           8
        .value_kind:     global_buffer
      - .actual_access:  read_only
        .address_space:  global
        .offset:         8
        .size:           8
        .value_kind:     global_buffer
      - .offset:         16
        .size:           4
        .value_kind:     by_value
      - .offset:         20
        .size:           4
        .value_kind:     by_value
      - .offset:         24
        .size:           4
        .value_kind:     hidden_block_count_x
      - .offset:         28
        .size:           4
        .value_kind:     hidden_block_count_y
      - .offset:         32
        .size:           4
        .value_kind:     hidden_block_count_z
      - .offset:         36
        .size:           2
        .value_kind:     hidden_group_size_x
      - .offset:         38
        .size:           2
        .value_kind:     hidden_group_size_y
      - .offset:         40
        .size:           2
        .value_kind:     hidden_group_size_z
      - .offset:         42
        .size:           2
        .value_kind:     hidden_remainder_x
      - .offset:         44
        .size:           2
        .value_kind:     hidden_remainder_y
      - .offset:         46
        .size:           2
        .value_kind:     hidden_remainder_z
      - .offset:         64
        .size:           8
        .value_kind:     hidden_global_offset_x
      - .offset:         72
        .size:           8
        .value_kind:     hidden_global_offset_y
      - .offset:         80
        .size:           8
        .value_kind:     hidden_global_offset_z
      - .offset:         88
        .size:           2
        .value_kind:     hidden_grid_dims
    .group_segment_fixed_size: 0
    .kernarg_segment_align: 8
    .kernarg_segment_size: 280
    .language:       OpenCL C
    .language_version:
      - 2
      - 0
    .max_flat_workgroup_size: 1024
    .name:           _ZN5aiter18act_and_mul_kernelIDF16_DF16_TnPFfRKT_EXadL_ZNS_11silu_kernelIDF16_EEfS3_EELi4ELb0ELi3EEEvPT0_PS2_if
    .private_segment_fixed_size: 0
    .sgpr_count:     36
    .sgpr_spill_count: 0
    .symbol:         _ZN5aiter18act_and_mul_kernelIDF16_DF16_TnPFfRKT_EXadL_ZNS_11silu_kernelIDF16_EEfS3_EELi4ELb0ELi3EEEvPT0_PS2_if.kd
    .uniform_work_group_size: 1
    .uses_dynamic_stack: false
    .vgpr_count:     26
    .vgpr_spill_count: 0
    .wavefront_size: 64
  - .agpr_count:     0
    .args:
      - .actual_access:  write_only
        .address_space:  global
        .offset:         0
        .size:           8
        .value_kind:     global_buffer
      - .actual_access:  read_only
        .address_space:  global
        .offset:         8
        .size:           8
        .value_kind:     global_buffer
      - .offset:         16
        .size:           4
        .value_kind:     by_value
      - .offset:         20
        .size:           4
        .value_kind:     by_value
      - .offset:         24
        .size:           4
        .value_kind:     hidden_block_count_x
      - .offset:         28
        .size:           4
        .value_kind:     hidden_block_count_y
      - .offset:         32
        .size:           4
        .value_kind:     hidden_block_count_z
      - .offset:         36
        .size:           2
        .value_kind:     hidden_group_size_x
      - .offset:         38
        .size:           2
        .value_kind:     hidden_group_size_y
      - .offset:         40
        .size:           2
        .value_kind:     hidden_group_size_z
      - .offset:         42
        .size:           2
        .value_kind:     hidden_remainder_x
      - .offset:         44
        .size:           2
        .value_kind:     hidden_remainder_y
      - .offset:         46
        .size:           2
        .value_kind:     hidden_remainder_z
      - .offset:         64
        .size:           8
        .value_kind:     hidden_global_offset_x
      - .offset:         72
        .size:           8
        .value_kind:     hidden_global_offset_y
      - .offset:         80
        .size:           8
        .value_kind:     hidden_global_offset_z
      - .offset:         88
        .size:           2
        .value_kind:     hidden_grid_dims
    .group_segment_fixed_size: 0
    .kernarg_segment_align: 8
    .kernarg_segment_size: 280
    .language:       OpenCL C
    .language_version:
      - 2
      - 0
    .max_flat_workgroup_size: 1024
    .name:           _ZN5aiter18act_and_mul_kernelIDF16_DF16_TnPFfRKT_EXadL_ZNS_11silu_kernelIDF16_EEfS3_EELi2ELb0ELi3EEEvPT0_PS2_if
    .private_segment_fixed_size: 0
    .sgpr_count:     32
    .sgpr_spill_count: 0
    .symbol:         _ZN5aiter18act_and_mul_kernelIDF16_DF16_TnPFfRKT_EXadL_ZNS_11silu_kernelIDF16_EEfS3_EELi2ELb0ELi3EEEvPT0_PS2_if.kd
    .uniform_work_group_size: 1
    .uses_dynamic_stack: false
    .vgpr_count:     15
    .vgpr_spill_count: 0
    .wavefront_size: 64
  - .agpr_count:     0
    .args:
      - .actual_access:  write_only
        .address_space:  global
        .offset:         0
        .size:           8
        .value_kind:     global_buffer
      - .actual_access:  read_only
        .address_space:  global
        .offset:         8
        .size:           8
        .value_kind:     global_buffer
      - .offset:         16
        .size:           4
        .value_kind:     by_value
      - .offset:         20
        .size:           4
        .value_kind:     by_value
      - .offset:         24
        .size:           4
        .value_kind:     hidden_block_count_x
      - .offset:         28
        .size:           4
        .value_kind:     hidden_block_count_y
      - .offset:         32
        .size:           4
        .value_kind:     hidden_block_count_z
      - .offset:         36
        .size:           2
        .value_kind:     hidden_group_size_x
      - .offset:         38
        .size:           2
        .value_kind:     hidden_group_size_y
      - .offset:         40
        .size:           2
        .value_kind:     hidden_group_size_z
      - .offset:         42
        .size:           2
        .value_kind:     hidden_remainder_x
      - .offset:         44
        .size:           2
        .value_kind:     hidden_remainder_y
      - .offset:         46
        .size:           2
        .value_kind:     hidden_remainder_z
      - .offset:         64
        .size:           8
        .value_kind:     hidden_global_offset_x
      - .offset:         72
        .size:           8
        .value_kind:     hidden_global_offset_y
      - .offset:         80
        .size:           8
        .value_kind:     hidden_global_offset_z
      - .offset:         88
        .size:           2
        .value_kind:     hidden_grid_dims
    .group_segment_fixed_size: 0
    .kernarg_segment_align: 8
    .kernarg_segment_size: 280
    .language:       OpenCL C
    .language_version:
      - 2
      - 0
    .max_flat_workgroup_size: 1024
    .name:           _ZN5aiter18act_and_mul_kernelIDF16_DF16_TnPFfRKT_EXadL_ZNS_11silu_kernelIDF16_EEfS3_EELi1ELb0ELi3EEEvPT0_PS2_if
    .private_segment_fixed_size: 0
    .sgpr_count:     29
    .sgpr_spill_count: 0
    .symbol:         _ZN5aiter18act_and_mul_kernelIDF16_DF16_TnPFfRKT_EXadL_ZNS_11silu_kernelIDF16_EEfS3_EELi1ELb0ELi3EEEvPT0_PS2_if.kd
    .uniform_work_group_size: 1
    .uses_dynamic_stack: false
    .vgpr_count:     10
    .vgpr_spill_count: 0
    .wavefront_size: 64
  - .agpr_count:     0
    .args:
      - .actual_access:  write_only
        .address_space:  global
        .offset:         0
        .size:           8
        .value_kind:     global_buffer
      - .actual_access:  read_only
        .address_space:  global
        .offset:         8
        .size:           8
        .value_kind:     global_buffer
      - .offset:         16
        .size:           4
        .value_kind:     by_value
      - .offset:         20
        .size:           4
        .value_kind:     by_value
      - .offset:         24
        .size:           4
        .value_kind:     hidden_block_count_x
      - .offset:         28
        .size:           4
        .value_kind:     hidden_block_count_y
      - .offset:         32
        .size:           4
        .value_kind:     hidden_block_count_z
      - .offset:         36
        .size:           2
        .value_kind:     hidden_group_size_x
      - .offset:         38
        .size:           2
        .value_kind:     hidden_group_size_y
      - .offset:         40
        .size:           2
        .value_kind:     hidden_group_size_z
      - .offset:         42
        .size:           2
        .value_kind:     hidden_remainder_x
      - .offset:         44
        .size:           2
        .value_kind:     hidden_remainder_y
      - .offset:         46
        .size:           2
        .value_kind:     hidden_remainder_z
      - .offset:         64
        .size:           8
        .value_kind:     hidden_global_offset_x
      - .offset:         72
        .size:           8
        .value_kind:     hidden_global_offset_y
      - .offset:         80
        .size:           8
        .value_kind:     hidden_global_offset_z
      - .offset:         88
        .size:           2
        .value_kind:     hidden_grid_dims
    .group_segment_fixed_size: 0
    .kernarg_segment_align: 8
    .kernarg_segment_size: 280
    .language:       OpenCL C
    .language_version:
      - 2
      - 0
    .max_flat_workgroup_size: 1024
    .name:           _ZN5aiter18act_and_mul_kernelIttTnPFfRKT_EXadL_ZNS_11silu_kernelItEEfS3_EELi32ELb0ELi3EEEvPT0_PS2_if
    .private_segment_fixed_size: 0
    .sgpr_count:     30
    .sgpr_spill_count: 0
    .symbol:         _ZN5aiter18act_and_mul_kernelIttTnPFfRKT_EXadL_ZNS_11silu_kernelItEEfS3_EELi32ELb0ELi3EEEvPT0_PS2_if.kd
    .uniform_work_group_size: 1
    .uses_dynamic_stack: false
    .vgpr_count:     42
    .vgpr_spill_count: 0
    .wavefront_size: 64
  - .agpr_count:     0
    .args:
      - .actual_access:  write_only
        .address_space:  global
        .offset:         0
        .size:           8
        .value_kind:     global_buffer
      - .actual_access:  read_only
        .address_space:  global
        .offset:         8
        .size:           8
        .value_kind:     global_buffer
      - .offset:         16
        .size:           4
        .value_kind:     by_value
      - .offset:         20
        .size:           4
        .value_kind:     by_value
      - .offset:         24
        .size:           4
        .value_kind:     hidden_block_count_x
      - .offset:         28
        .size:           4
        .value_kind:     hidden_block_count_y
      - .offset:         32
        .size:           4
        .value_kind:     hidden_block_count_z
      - .offset:         36
        .size:           2
        .value_kind:     hidden_group_size_x
      - .offset:         38
        .size:           2
        .value_kind:     hidden_group_size_y
      - .offset:         40
        .size:           2
        .value_kind:     hidden_group_size_z
      - .offset:         42
        .size:           2
        .value_kind:     hidden_remainder_x
      - .offset:         44
        .size:           2
        .value_kind:     hidden_remainder_y
      - .offset:         46
        .size:           2
        .value_kind:     hidden_remainder_z
      - .offset:         64
        .size:           8
        .value_kind:     hidden_global_offset_x
      - .offset:         72
        .size:           8
        .value_kind:     hidden_global_offset_y
      - .offset:         80
        .size:           8
        .value_kind:     hidden_global_offset_z
      - .offset:         88
        .size:           2
        .value_kind:     hidden_grid_dims
    .group_segment_fixed_size: 0
    .kernarg_segment_align: 8
    .kernarg_segment_size: 280
    .language:       OpenCL C
    .language_version:
      - 2
      - 0
    .max_flat_workgroup_size: 1024
    .name:           _ZN5aiter18act_and_mul_kernelIttTnPFfRKT_EXadL_ZNS_11silu_kernelItEEfS3_EELi16ELb0ELi3EEEvPT0_PS2_if
    .private_segment_fixed_size: 0
    .sgpr_count:     30
    .sgpr_spill_count: 0
    .symbol:         _ZN5aiter18act_and_mul_kernelIttTnPFfRKT_EXadL_ZNS_11silu_kernelItEEfS3_EELi16ELb0ELi3EEEvPT0_PS2_if.kd
    .uniform_work_group_size: 1
    .uses_dynamic_stack: false
    .vgpr_count:     26
    .vgpr_spill_count: 0
    .wavefront_size: 64
  - .agpr_count:     0
    .args:
      - .actual_access:  write_only
        .address_space:  global
        .offset:         0
        .size:           8
        .value_kind:     global_buffer
      - .actual_access:  read_only
        .address_space:  global
        .offset:         8
        .size:           8
        .value_kind:     global_buffer
      - .offset:         16
        .size:           4
        .value_kind:     by_value
      - .offset:         20
        .size:           4
        .value_kind:     by_value
      - .offset:         24
        .size:           4
        .value_kind:     hidden_block_count_x
      - .offset:         28
        .size:           4
        .value_kind:     hidden_block_count_y
      - .offset:         32
        .size:           4
        .value_kind:     hidden_block_count_z
      - .offset:         36
        .size:           2
        .value_kind:     hidden_group_size_x
      - .offset:         38
        .size:           2
        .value_kind:     hidden_group_size_y
      - .offset:         40
        .size:           2
        .value_kind:     hidden_group_size_z
      - .offset:         42
        .size:           2
        .value_kind:     hidden_remainder_x
      - .offset:         44
        .size:           2
        .value_kind:     hidden_remainder_y
      - .offset:         46
        .size:           2
        .value_kind:     hidden_remainder_z
      - .offset:         64
        .size:           8
        .value_kind:     hidden_global_offset_x
      - .offset:         72
        .size:           8
        .value_kind:     hidden_global_offset_y
      - .offset:         80
        .size:           8
        .value_kind:     hidden_global_offset_z
      - .offset:         88
        .size:           2
        .value_kind:     hidden_grid_dims
    .group_segment_fixed_size: 0
    .kernarg_segment_align: 8
    .kernarg_segment_size: 280
    .language:       OpenCL C
    .language_version:
      - 2
      - 0
    .max_flat_workgroup_size: 1024
    .name:           _ZN5aiter18act_and_mul_kernelIttTnPFfRKT_EXadL_ZNS_11silu_kernelItEEfS3_EELi8ELb0ELi3EEEvPT0_PS2_if
    .private_segment_fixed_size: 0
    .sgpr_count:     45
    .sgpr_spill_count: 0
    .symbol:         _ZN5aiter18act_and_mul_kernelIttTnPFfRKT_EXadL_ZNS_11silu_kernelItEEfS3_EELi8ELb0ELi3EEEvPT0_PS2_if.kd
    .uniform_work_group_size: 1
    .uses_dynamic_stack: false
    .vgpr_count:     44
    .vgpr_spill_count: 0
    .wavefront_size: 64
  - .agpr_count:     0
    .args:
      - .actual_access:  write_only
        .address_space:  global
        .offset:         0
        .size:           8
        .value_kind:     global_buffer
      - .actual_access:  read_only
        .address_space:  global
        .offset:         8
        .size:           8
        .value_kind:     global_buffer
      - .offset:         16
        .size:           4
        .value_kind:     by_value
      - .offset:         20
        .size:           4
        .value_kind:     by_value
      - .offset:         24
        .size:           4
        .value_kind:     hidden_block_count_x
      - .offset:         28
        .size:           4
        .value_kind:     hidden_block_count_y
      - .offset:         32
        .size:           4
        .value_kind:     hidden_block_count_z
      - .offset:         36
        .size:           2
        .value_kind:     hidden_group_size_x
      - .offset:         38
        .size:           2
        .value_kind:     hidden_group_size_y
      - .offset:         40
        .size:           2
        .value_kind:     hidden_group_size_z
      - .offset:         42
        .size:           2
        .value_kind:     hidden_remainder_x
      - .offset:         44
        .size:           2
        .value_kind:     hidden_remainder_y
      - .offset:         46
        .size:           2
        .value_kind:     hidden_remainder_z
      - .offset:         64
        .size:           8
        .value_kind:     hidden_global_offset_x
      - .offset:         72
        .size:           8
        .value_kind:     hidden_global_offset_y
      - .offset:         80
        .size:           8
        .value_kind:     hidden_global_offset_z
      - .offset:         88
        .size:           2
        .value_kind:     hidden_grid_dims
    .group_segment_fixed_size: 0
    .kernarg_segment_align: 8
    .kernarg_segment_size: 280
    .language:       OpenCL C
    .language_version:
      - 2
      - 0
    .max_flat_workgroup_size: 1024
    .name:           _ZN5aiter18act_and_mul_kernelIttTnPFfRKT_EXadL_ZNS_11silu_kernelItEEfS3_EELi4ELb0ELi3EEEvPT0_PS2_if
    .private_segment_fixed_size: 0
    .sgpr_count:     36
    .sgpr_spill_count: 0
    .symbol:         _ZN5aiter18act_and_mul_kernelIttTnPFfRKT_EXadL_ZNS_11silu_kernelItEEfS3_EELi4ELb0ELi3EEEvPT0_PS2_if.kd
    .uniform_work_group_size: 1
    .uses_dynamic_stack: false
    .vgpr_count:     24
    .vgpr_spill_count: 0
    .wavefront_size: 64
  - .agpr_count:     0
    .args:
      - .actual_access:  write_only
        .address_space:  global
        .offset:         0
        .size:           8
        .value_kind:     global_buffer
      - .actual_access:  read_only
        .address_space:  global
        .offset:         8
        .size:           8
        .value_kind:     global_buffer
      - .offset:         16
        .size:           4
        .value_kind:     by_value
      - .offset:         20
        .size:           4
        .value_kind:     by_value
      - .offset:         24
        .size:           4
        .value_kind:     hidden_block_count_x
      - .offset:         28
        .size:           4
        .value_kind:     hidden_block_count_y
      - .offset:         32
        .size:           4
        .value_kind:     hidden_block_count_z
      - .offset:         36
        .size:           2
        .value_kind:     hidden_group_size_x
      - .offset:         38
        .size:           2
        .value_kind:     hidden_group_size_y
      - .offset:         40
        .size:           2
        .value_kind:     hidden_group_size_z
      - .offset:         42
        .size:           2
        .value_kind:     hidden_remainder_x
      - .offset:         44
        .size:           2
        .value_kind:     hidden_remainder_y
      - .offset:         46
        .size:           2
        .value_kind:     hidden_remainder_z
      - .offset:         64
        .size:           8
        .value_kind:     hidden_global_offset_x
      - .offset:         72
        .size:           8
        .value_kind:     hidden_global_offset_y
      - .offset:         80
        .size:           8
        .value_kind:     hidden_global_offset_z
      - .offset:         88
        .size:           2
        .value_kind:     hidden_grid_dims
    .group_segment_fixed_size: 0
    .kernarg_segment_align: 8
    .kernarg_segment_size: 280
    .language:       OpenCL C
    .language_version:
      - 2
      - 0
    .max_flat_workgroup_size: 1024
    .name:           _ZN5aiter18act_and_mul_kernelIttTnPFfRKT_EXadL_ZNS_11silu_kernelItEEfS3_EELi2ELb0ELi3EEEvPT0_PS2_if
    .private_segment_fixed_size: 0
    .sgpr_count:     32
    .sgpr_spill_count: 0
    .symbol:         _ZN5aiter18act_and_mul_kernelIttTnPFfRKT_EXadL_ZNS_11silu_kernelItEEfS3_EELi2ELb0ELi3EEEvPT0_PS2_if.kd
    .uniform_work_group_size: 1
    .uses_dynamic_stack: false
    .vgpr_count:     13
    .vgpr_spill_count: 0
    .wavefront_size: 64
  - .agpr_count:     0
    .args:
      - .actual_access:  write_only
        .address_space:  global
        .offset:         0
        .size:           8
        .value_kind:     global_buffer
      - .actual_access:  read_only
        .address_space:  global
        .offset:         8
        .size:           8
        .value_kind:     global_buffer
      - .offset:         16
        .size:           4
        .value_kind:     by_value
      - .offset:         20
        .size:           4
        .value_kind:     by_value
      - .offset:         24
        .size:           4
        .value_kind:     hidden_block_count_x
      - .offset:         28
        .size:           4
        .value_kind:     hidden_block_count_y
      - .offset:         32
        .size:           4
        .value_kind:     hidden_block_count_z
      - .offset:         36
        .size:           2
        .value_kind:     hidden_group_size_x
      - .offset:         38
        .size:           2
        .value_kind:     hidden_group_size_y
      - .offset:         40
        .size:           2
        .value_kind:     hidden_group_size_z
      - .offset:         42
        .size:           2
        .value_kind:     hidden_remainder_x
      - .offset:         44
        .size:           2
        .value_kind:     hidden_remainder_y
      - .offset:         46
        .size:           2
        .value_kind:     hidden_remainder_z
      - .offset:         64
        .size:           8
        .value_kind:     hidden_global_offset_x
      - .offset:         72
        .size:           8
        .value_kind:     hidden_global_offset_y
      - .offset:         80
        .size:           8
        .value_kind:     hidden_global_offset_z
      - .offset:         88
        .size:           2
        .value_kind:     hidden_grid_dims
    .group_segment_fixed_size: 0
    .kernarg_segment_align: 8
    .kernarg_segment_size: 280
    .language:       OpenCL C
    .language_version:
      - 2
      - 0
    .max_flat_workgroup_size: 1024
    .name:           _ZN5aiter18act_and_mul_kernelIttTnPFfRKT_EXadL_ZNS_11silu_kernelItEEfS3_EELi1ELb0ELi3EEEvPT0_PS2_if
    .private_segment_fixed_size: 0
    .sgpr_count:     28
    .sgpr_spill_count: 0
    .symbol:         _ZN5aiter18act_and_mul_kernelIttTnPFfRKT_EXadL_ZNS_11silu_kernelItEEfS3_EELi1ELb0ELi3EEEvPT0_PS2_if.kd
    .uniform_work_group_size: 1
    .uses_dynamic_stack: false
    .vgpr_count:     9
    .vgpr_spill_count: 0
    .wavefront_size: 64
  - .agpr_count:     0
    .args:
      - .actual_access:  write_only
        .address_space:  global
        .offset:         0
        .size:           8
        .value_kind:     global_buffer
      - .actual_access:  read_only
        .address_space:  global
        .offset:         8
        .size:           8
        .value_kind:     global_buffer
      - .offset:         16
        .size:           4
        .value_kind:     by_value
      - .offset:         24
        .size:           4
        .value_kind:     hidden_block_count_x
      - .offset:         28
        .size:           4
        .value_kind:     hidden_block_count_y
      - .offset:         32
        .size:           4
        .value_kind:     hidden_block_count_z
      - .offset:         36
        .size:           2
        .value_kind:     hidden_group_size_x
      - .offset:         38
        .size:           2
        .value_kind:     hidden_group_size_y
      - .offset:         40
        .size:           2
        .value_kind:     hidden_group_size_z
      - .offset:         42
        .size:           2
        .value_kind:     hidden_remainder_x
      - .offset:         44
        .size:           2
        .value_kind:     hidden_remainder_y
      - .offset:         46
        .size:           2
        .value_kind:     hidden_remainder_z
      - .offset:         64
        .size:           8
        .value_kind:     hidden_global_offset_x
      - .offset:         72
        .size:           8
        .value_kind:     hidden_global_offset_y
      - .offset:         80
        .size:           8
        .value_kind:     hidden_global_offset_z
      - .offset:         88
        .size:           2
        .value_kind:     hidden_grid_dims
    .group_segment_fixed_size: 0
    .kernarg_segment_align: 8
    .kernarg_segment_size: 280
    .language:       OpenCL C
    .language_version:
      - 2
      - 0
    .max_flat_workgroup_size: 1024
    .name:           _ZN5aiter25swiglu_act_and_mul_kernelIftLi16EEEvPT0_PKT_i
    .private_segment_fixed_size: 0
    .sgpr_count:     31
    .sgpr_spill_count: 0
    .symbol:         _ZN5aiter25swiglu_act_and_mul_kernelIftLi16EEEvPT0_PKT_i.kd
    .uniform_work_group_size: 1
    .uses_dynamic_stack: false
    .vgpr_count:     57
    .vgpr_spill_count: 0
    .wavefront_size: 64
  - .agpr_count:     0
    .args:
      - .actual_access:  write_only
        .address_space:  global
        .offset:         0
        .size:           8
        .value_kind:     global_buffer
      - .actual_access:  read_only
        .address_space:  global
        .offset:         8
        .size:           8
        .value_kind:     global_buffer
      - .offset:         16
        .size:           4
        .value_kind:     by_value
      - .offset:         24
        .size:           4
        .value_kind:     hidden_block_count_x
      - .offset:         28
        .size:           4
        .value_kind:     hidden_block_count_y
      - .offset:         32
        .size:           4
        .value_kind:     hidden_block_count_z
      - .offset:         36
        .size:           2
        .value_kind:     hidden_group_size_x
      - .offset:         38
        .size:           2
        .value_kind:     hidden_group_size_y
      - .offset:         40
        .size:           2
        .value_kind:     hidden_group_size_z
      - .offset:         42
        .size:           2
        .value_kind:     hidden_remainder_x
      - .offset:         44
        .size:           2
        .value_kind:     hidden_remainder_y
      - .offset:         46
        .size:           2
        .value_kind:     hidden_remainder_z
      - .offset:         64
        .size:           8
        .value_kind:     hidden_global_offset_x
      - .offset:         72
        .size:           8
        .value_kind:     hidden_global_offset_y
      - .offset:         80
        .size:           8
        .value_kind:     hidden_global_offset_z
      - .offset:         88
        .size:           2
        .value_kind:     hidden_grid_dims
    .group_segment_fixed_size: 0
    .kernarg_segment_align: 8
    .kernarg_segment_size: 280
    .language:       OpenCL C
    .language_version:
      - 2
      - 0
    .max_flat_workgroup_size: 1024
    .name:           _ZN5aiter25swiglu_act_and_mul_kernelIftLi8EEEvPT0_PKT_i
    .private_segment_fixed_size: 0
    .sgpr_count:     46
    .sgpr_spill_count: 0
    .symbol:         _ZN5aiter25swiglu_act_and_mul_kernelIftLi8EEEvPT0_PKT_i.kd
    .uniform_work_group_size: 1
    .uses_dynamic_stack: false
    .vgpr_count:     54
    .vgpr_spill_count: 0
    .wavefront_size: 64
  - .agpr_count:     0
    .args:
      - .actual_access:  write_only
        .address_space:  global
        .offset:         0
        .size:           8
        .value_kind:     global_buffer
      - .actual_access:  read_only
        .address_space:  global
        .offset:         8
        .size:           8
        .value_kind:     global_buffer
      - .offset:         16
        .size:           4
        .value_kind:     by_value
      - .offset:         24
        .size:           4
        .value_kind:     hidden_block_count_x
      - .offset:         28
        .size:           4
        .value_kind:     hidden_block_count_y
      - .offset:         32
        .size:           4
        .value_kind:     hidden_block_count_z
      - .offset:         36
        .size:           2
        .value_kind:     hidden_group_size_x
      - .offset:         38
        .size:           2
        .value_kind:     hidden_group_size_y
      - .offset:         40
        .size:           2
        .value_kind:     hidden_group_size_z
      - .offset:         42
        .size:           2
        .value_kind:     hidden_remainder_x
      - .offset:         44
        .size:           2
        .value_kind:     hidden_remainder_y
      - .offset:         46
        .size:           2
        .value_kind:     hidden_remainder_z
      - .offset:         64
        .size:           8
        .value_kind:     hidden_global_offset_x
      - .offset:         72
        .size:           8
        .value_kind:     hidden_global_offset_y
      - .offset:         80
        .size:           8
        .value_kind:     hidden_global_offset_z
      - .offset:         88
        .size:           2
        .value_kind:     hidden_grid_dims
    .group_segment_fixed_size: 0
    .kernarg_segment_align: 8
    .kernarg_segment_size: 280
    .language:       OpenCL C
    .language_version:
      - 2
      - 0
    .max_flat_workgroup_size: 1024
    .name:           _ZN5aiter25swiglu_act_and_mul_kernelIftLi4EEEvPT0_PKT_i
    .private_segment_fixed_size: 0
    .sgpr_count:     37
    .sgpr_spill_count: 0
    .symbol:         _ZN5aiter25swiglu_act_and_mul_kernelIftLi4EEEvPT0_PKT_i.kd
    .uniform_work_group_size: 1
    .uses_dynamic_stack: false
    .vgpr_count:     30
    .vgpr_spill_count: 0
    .wavefront_size: 64
  - .agpr_count:     0
    .args:
      - .actual_access:  write_only
        .address_space:  global
        .offset:         0
        .size:           8
        .value_kind:     global_buffer
      - .actual_access:  read_only
        .address_space:  global
        .offset:         8
        .size:           8
        .value_kind:     global_buffer
      - .offset:         16
        .size:           4
        .value_kind:     by_value
      - .offset:         24
        .size:           4
        .value_kind:     hidden_block_count_x
      - .offset:         28
        .size:           4
        .value_kind:     hidden_block_count_y
      - .offset:         32
        .size:           4
        .value_kind:     hidden_block_count_z
      - .offset:         36
        .size:           2
        .value_kind:     hidden_group_size_x
      - .offset:         38
        .size:           2
        .value_kind:     hidden_group_size_y
      - .offset:         40
        .size:           2
        .value_kind:     hidden_group_size_z
      - .offset:         42
        .size:           2
        .value_kind:     hidden_remainder_x
      - .offset:         44
        .size:           2
        .value_kind:     hidden_remainder_y
      - .offset:         46
        .size:           2
        .value_kind:     hidden_remainder_z
      - .offset:         64
        .size:           8
        .value_kind:     hidden_global_offset_x
      - .offset:         72
        .size:           8
        .value_kind:     hidden_global_offset_y
      - .offset:         80
        .size:           8
        .value_kind:     hidden_global_offset_z
      - .offset:         88
        .size:           2
        .value_kind:     hidden_grid_dims
    .group_segment_fixed_size: 0
    .kernarg_segment_align: 8
    .kernarg_segment_size: 280
    .language:       OpenCL C
    .language_version:
      - 2
      - 0
    .max_flat_workgroup_size: 1024
    .name:           _ZN5aiter25swiglu_act_and_mul_kernelIftLi2EEEvPT0_PKT_i
    .private_segment_fixed_size: 0
    .sgpr_count:     33
    .sgpr_spill_count: 0
    .symbol:         _ZN5aiter25swiglu_act_and_mul_kernelIftLi2EEEvPT0_PKT_i.kd
    .uniform_work_group_size: 1
    .uses_dynamic_stack: false
    .vgpr_count:     18
    .vgpr_spill_count: 0
    .wavefront_size: 64
  - .agpr_count:     0
    .args:
      - .actual_access:  write_only
        .address_space:  global
        .offset:         0
        .size:           8
        .value_kind:     global_buffer
      - .actual_access:  read_only
        .address_space:  global
        .offset:         8
        .size:           8
        .value_kind:     global_buffer
      - .offset:         16
        .size:           4
        .value_kind:     by_value
      - .offset:         24
        .size:           4
        .value_kind:     hidden_block_count_x
      - .offset:         28
        .size:           4
        .value_kind:     hidden_block_count_y
      - .offset:         32
        .size:           4
        .value_kind:     hidden_block_count_z
      - .offset:         36
        .size:           2
        .value_kind:     hidden_group_size_x
      - .offset:         38
        .size:           2
        .value_kind:     hidden_group_size_y
      - .offset:         40
        .size:           2
        .value_kind:     hidden_group_size_z
      - .offset:         42
        .size:           2
        .value_kind:     hidden_remainder_x
      - .offset:         44
        .size:           2
        .value_kind:     hidden_remainder_y
      - .offset:         46
        .size:           2
        .value_kind:     hidden_remainder_z
      - .offset:         64
        .size:           8
        .value_kind:     hidden_global_offset_x
      - .offset:         72
        .size:           8
        .value_kind:     hidden_global_offset_y
      - .offset:         80
        .size:           8
        .value_kind:     hidden_global_offset_z
      - .offset:         88
        .size:           2
        .value_kind:     hidden_grid_dims
    .group_segment_fixed_size: 0
    .kernarg_segment_align: 8
    .kernarg_segment_size: 280
    .language:       OpenCL C
    .language_version:
      - 2
      - 0
    .max_flat_workgroup_size: 1024
    .name:           _ZN5aiter25swiglu_act_and_mul_kernelIftLi1EEEvPT0_PKT_i
    .private_segment_fixed_size: 0
    .sgpr_count:     29
    .sgpr_spill_count: 0
    .symbol:         _ZN5aiter25swiglu_act_and_mul_kernelIftLi1EEEvPT0_PKT_i.kd
    .uniform_work_group_size: 1
    .uses_dynamic_stack: false
    .vgpr_count:     11
    .vgpr_spill_count: 0
    .wavefront_size: 64
  - .agpr_count:     0
    .args:
      - .actual_access:  write_only
        .address_space:  global
        .offset:         0
        .size:           8
        .value_kind:     global_buffer
      - .actual_access:  read_only
        .address_space:  global
        .offset:         8
        .size:           8
        .value_kind:     global_buffer
      - .offset:         16
        .size:           4
        .value_kind:     by_value
      - .offset:         24
        .size:           4
        .value_kind:     hidden_block_count_x
      - .offset:         28
        .size:           4
        .value_kind:     hidden_block_count_y
      - .offset:         32
        .size:           4
        .value_kind:     hidden_block_count_z
      - .offset:         36
        .size:           2
        .value_kind:     hidden_group_size_x
      - .offset:         38
        .size:           2
        .value_kind:     hidden_group_size_y
      - .offset:         40
        .size:           2
        .value_kind:     hidden_group_size_z
      - .offset:         42
        .size:           2
        .value_kind:     hidden_remainder_x
      - .offset:         44
        .size:           2
        .value_kind:     hidden_remainder_y
      - .offset:         46
        .size:           2
        .value_kind:     hidden_remainder_z
      - .offset:         64
        .size:           8
        .value_kind:     hidden_global_offset_x
      - .offset:         72
        .size:           8
        .value_kind:     hidden_global_offset_y
      - .offset:         80
        .size:           8
        .value_kind:     hidden_global_offset_z
      - .offset:         88
        .size:           2
        .value_kind:     hidden_grid_dims
    .group_segment_fixed_size: 0
    .kernarg_segment_align: 8
    .kernarg_segment_size: 280
    .language:       OpenCL C
    .language_version:
      - 2
      - 0
    .max_flat_workgroup_size: 1024
    .name:           _ZN5aiter25swiglu_act_and_mul_kernelIfDF16_Li16EEEvPT0_PKT_i
    .private_segment_fixed_size: 0
    .sgpr_count:     30
    .sgpr_spill_count: 0
    .symbol:         _ZN5aiter25swiglu_act_and_mul_kernelIfDF16_Li16EEEvPT0_PKT_i.kd
    .uniform_work_group_size: 1
    .uses_dynamic_stack: false
    .vgpr_count:     43
    .vgpr_spill_count: 0
    .wavefront_size: 64
  - .agpr_count:     0
    .args:
      - .actual_access:  write_only
        .address_space:  global
        .offset:         0
        .size:           8
        .value_kind:     global_buffer
      - .actual_access:  read_only
        .address_space:  global
        .offset:         8
        .size:           8
        .value_kind:     global_buffer
      - .offset:         16
        .size:           4
        .value_kind:     by_value
      - .offset:         24
        .size:           4
        .value_kind:     hidden_block_count_x
      - .offset:         28
        .size:           4
        .value_kind:     hidden_block_count_y
      - .offset:         32
        .size:           4
        .value_kind:     hidden_block_count_z
      - .offset:         36
        .size:           2
        .value_kind:     hidden_group_size_x
      - .offset:         38
        .size:           2
        .value_kind:     hidden_group_size_y
      - .offset:         40
        .size:           2
        .value_kind:     hidden_group_size_z
      - .offset:         42
        .size:           2
        .value_kind:     hidden_remainder_x
      - .offset:         44
        .size:           2
        .value_kind:     hidden_remainder_y
      - .offset:         46
        .size:           2
        .value_kind:     hidden_remainder_z
      - .offset:         64
        .size:           8
        .value_kind:     hidden_global_offset_x
      - .offset:         72
        .size:           8
        .value_kind:     hidden_global_offset_y
      - .offset:         80
        .size:           8
        .value_kind:     hidden_global_offset_z
      - .offset:         88
        .size:           2
        .value_kind:     hidden_grid_dims
    .group_segment_fixed_size: 0
    .kernarg_segment_align: 8
    .kernarg_segment_size: 280
    .language:       OpenCL C
    .language_version:
      - 2
      - 0
    .max_flat_workgroup_size: 1024
    .name:           _ZN5aiter25swiglu_act_and_mul_kernelIfDF16_Li8EEEvPT0_PKT_i
    .private_segment_fixed_size: 0
    .sgpr_count:     45
    .sgpr_spill_count: 0
    .symbol:         _ZN5aiter25swiglu_act_and_mul_kernelIfDF16_Li8EEEvPT0_PKT_i.kd
    .uniform_work_group_size: 1
    .uses_dynamic_stack: false
    .vgpr_count:     54
    .vgpr_spill_count: 0
    .wavefront_size: 64
  - .agpr_count:     0
    .args:
      - .actual_access:  write_only
        .address_space:  global
        .offset:         0
        .size:           8
        .value_kind:     global_buffer
      - .actual_access:  read_only
        .address_space:  global
        .offset:         8
        .size:           8
        .value_kind:     global_buffer
      - .offset:         16
        .size:           4
        .value_kind:     by_value
      - .offset:         24
        .size:           4
        .value_kind:     hidden_block_count_x
      - .offset:         28
        .size:           4
        .value_kind:     hidden_block_count_y
      - .offset:         32
        .size:           4
        .value_kind:     hidden_block_count_z
      - .offset:         36
        .size:           2
        .value_kind:     hidden_group_size_x
      - .offset:         38
        .size:           2
        .value_kind:     hidden_group_size_y
      - .offset:         40
        .size:           2
        .value_kind:     hidden_group_size_z
      - .offset:         42
        .size:           2
        .value_kind:     hidden_remainder_x
      - .offset:         44
        .size:           2
        .value_kind:     hidden_remainder_y
      - .offset:         46
        .size:           2
        .value_kind:     hidden_remainder_z
      - .offset:         64
        .size:           8
        .value_kind:     hidden_global_offset_x
      - .offset:         72
        .size:           8
        .value_kind:     hidden_global_offset_y
      - .offset:         80
        .size:           8
        .value_kind:     hidden_global_offset_z
      - .offset:         88
        .size:           2
        .value_kind:     hidden_grid_dims
    .group_segment_fixed_size: 0
    .kernarg_segment_align: 8
    .kernarg_segment_size: 280
    .language:       OpenCL C
    .language_version:
      - 2
      - 0
    .max_flat_workgroup_size: 1024
    .name:           _ZN5aiter25swiglu_act_and_mul_kernelIfDF16_Li4EEEvPT0_PKT_i
    .private_segment_fixed_size: 0
    .sgpr_count:     38
    .sgpr_spill_count: 0
    .symbol:         _ZN5aiter25swiglu_act_and_mul_kernelIfDF16_Li4EEEvPT0_PKT_i.kd
    .uniform_work_group_size: 1
    .uses_dynamic_stack: false
    .vgpr_count:     30
    .vgpr_spill_count: 0
    .wavefront_size: 64
  - .agpr_count:     0
    .args:
      - .actual_access:  write_only
        .address_space:  global
        .offset:         0
        .size:           8
        .value_kind:     global_buffer
      - .actual_access:  read_only
        .address_space:  global
        .offset:         8
        .size:           8
        .value_kind:     global_buffer
      - .offset:         16
        .size:           4
        .value_kind:     by_value
      - .offset:         24
        .size:           4
        .value_kind:     hidden_block_count_x
      - .offset:         28
        .size:           4
        .value_kind:     hidden_block_count_y
      - .offset:         32
        .size:           4
        .value_kind:     hidden_block_count_z
      - .offset:         36
        .size:           2
        .value_kind:     hidden_group_size_x
      - .offset:         38
        .size:           2
        .value_kind:     hidden_group_size_y
      - .offset:         40
        .size:           2
        .value_kind:     hidden_group_size_z
      - .offset:         42
        .size:           2
        .value_kind:     hidden_remainder_x
      - .offset:         44
        .size:           2
        .value_kind:     hidden_remainder_y
      - .offset:         46
        .size:           2
        .value_kind:     hidden_remainder_z
      - .offset:         64
        .size:           8
        .value_kind:     hidden_global_offset_x
      - .offset:         72
        .size:           8
        .value_kind:     hidden_global_offset_y
      - .offset:         80
        .size:           8
        .value_kind:     hidden_global_offset_z
      - .offset:         88
        .size:           2
        .value_kind:     hidden_grid_dims
    .group_segment_fixed_size: 0
    .kernarg_segment_align: 8
    .kernarg_segment_size: 280
    .language:       OpenCL C
    .language_version:
      - 2
      - 0
    .max_flat_workgroup_size: 1024
    .name:           _ZN5aiter25swiglu_act_and_mul_kernelIfDF16_Li2EEEvPT0_PKT_i
    .private_segment_fixed_size: 0
    .sgpr_count:     32
    .sgpr_spill_count: 0
    .symbol:         _ZN5aiter25swiglu_act_and_mul_kernelIfDF16_Li2EEEvPT0_PKT_i.kd
    .uniform_work_group_size: 1
    .uses_dynamic_stack: false
    .vgpr_count:     18
    .vgpr_spill_count: 0
    .wavefront_size: 64
  - .agpr_count:     0
    .args:
      - .actual_access:  write_only
        .address_space:  global
        .offset:         0
        .size:           8
        .value_kind:     global_buffer
      - .actual_access:  read_only
        .address_space:  global
        .offset:         8
        .size:           8
        .value_kind:     global_buffer
      - .offset:         16
        .size:           4
        .value_kind:     by_value
      - .offset:         24
        .size:           4
        .value_kind:     hidden_block_count_x
      - .offset:         28
        .size:           4
        .value_kind:     hidden_block_count_y
      - .offset:         32
        .size:           4
        .value_kind:     hidden_block_count_z
      - .offset:         36
        .size:           2
        .value_kind:     hidden_group_size_x
      - .offset:         38
        .size:           2
        .value_kind:     hidden_group_size_y
      - .offset:         40
        .size:           2
        .value_kind:     hidden_group_size_z
      - .offset:         42
        .size:           2
        .value_kind:     hidden_remainder_x
      - .offset:         44
        .size:           2
        .value_kind:     hidden_remainder_y
      - .offset:         46
        .size:           2
        .value_kind:     hidden_remainder_z
      - .offset:         64
        .size:           8
        .value_kind:     hidden_global_offset_x
      - .offset:         72
        .size:           8
        .value_kind:     hidden_global_offset_y
      - .offset:         80
        .size:           8
        .value_kind:     hidden_global_offset_z
      - .offset:         88
        .size:           2
        .value_kind:     hidden_grid_dims
    .group_segment_fixed_size: 0
    .kernarg_segment_align: 8
    .kernarg_segment_size: 280
    .language:       OpenCL C
    .language_version:
      - 2
      - 0
    .max_flat_workgroup_size: 1024
    .name:           _ZN5aiter25swiglu_act_and_mul_kernelIfDF16_Li1EEEvPT0_PKT_i
    .private_segment_fixed_size: 0
    .sgpr_count:     29
    .sgpr_spill_count: 0
    .symbol:         _ZN5aiter25swiglu_act_and_mul_kernelIfDF16_Li1EEEvPT0_PKT_i.kd
    .uniform_work_group_size: 1
    .uses_dynamic_stack: false
    .vgpr_count:     11
    .vgpr_spill_count: 0
    .wavefront_size: 64
  - .agpr_count:     0
    .args:
      - .actual_access:  write_only
        .address_space:  global
        .offset:         0
        .size:           8
        .value_kind:     global_buffer
      - .actual_access:  read_only
        .address_space:  global
        .offset:         8
        .size:           8
        .value_kind:     global_buffer
      - .offset:         16
        .size:           4
        .value_kind:     by_value
      - .offset:         24
        .size:           4
        .value_kind:     hidden_block_count_x
      - .offset:         28
        .size:           4
        .value_kind:     hidden_block_count_y
      - .offset:         32
        .size:           4
        .value_kind:     hidden_block_count_z
      - .offset:         36
        .size:           2
        .value_kind:     hidden_group_size_x
      - .offset:         38
        .size:           2
        .value_kind:     hidden_group_size_y
      - .offset:         40
        .size:           2
        .value_kind:     hidden_group_size_z
      - .offset:         42
        .size:           2
        .value_kind:     hidden_remainder_x
      - .offset:         44
        .size:           2
        .value_kind:     hidden_remainder_y
      - .offset:         46
        .size:           2
        .value_kind:     hidden_remainder_z
      - .offset:         64
        .size:           8
        .value_kind:     hidden_global_offset_x
      - .offset:         72
        .size:           8
        .value_kind:     hidden_global_offset_y
      - .offset:         80
        .size:           8
        .value_kind:     hidden_global_offset_z
      - .offset:         88
        .size:           2
        .value_kind:     hidden_grid_dims
    .group_segment_fixed_size: 0
    .kernarg_segment_align: 8
    .kernarg_segment_size: 280
    .language:       OpenCL C
    .language_version:
      - 2
      - 0
    .max_flat_workgroup_size: 1024
    .name:           _ZN5aiter25swiglu_act_and_mul_kernelIffLi16EEEvPT0_PKT_i
    .private_segment_fixed_size: 0
    .sgpr_count:     29
    .sgpr_spill_count: 0
    .symbol:         _ZN5aiter25swiglu_act_and_mul_kernelIffLi16EEEvPT0_PKT_i.kd
    .uniform_work_group_size: 1
    .uses_dynamic_stack: false
    .vgpr_count:     57
    .vgpr_spill_count: 0
    .wavefront_size: 64
  - .agpr_count:     0
    .args:
      - .actual_access:  write_only
        .address_space:  global
        .offset:         0
        .size:           8
        .value_kind:     global_buffer
      - .actual_access:  read_only
        .address_space:  global
        .offset:         8
        .size:           8
        .value_kind:     global_buffer
      - .offset:         16
        .size:           4
        .value_kind:     by_value
      - .offset:         24
        .size:           4
        .value_kind:     hidden_block_count_x
      - .offset:         28
        .size:           4
        .value_kind:     hidden_block_count_y
      - .offset:         32
        .size:           4
        .value_kind:     hidden_block_count_z
      - .offset:         36
        .size:           2
        .value_kind:     hidden_group_size_x
      - .offset:         38
        .size:           2
        .value_kind:     hidden_group_size_y
      - .offset:         40
        .size:           2
        .value_kind:     hidden_group_size_z
      - .offset:         42
        .size:           2
        .value_kind:     hidden_remainder_x
      - .offset:         44
        .size:           2
        .value_kind:     hidden_remainder_y
      - .offset:         46
        .size:           2
        .value_kind:     hidden_remainder_z
      - .offset:         64
        .size:           8
        .value_kind:     hidden_global_offset_x
      - .offset:         72
        .size:           8
        .value_kind:     hidden_global_offset_y
      - .offset:         80
        .size:           8
        .value_kind:     hidden_global_offset_z
      - .offset:         88
        .size:           2
        .value_kind:     hidden_grid_dims
    .group_segment_fixed_size: 0
    .kernarg_segment_align: 8
    .kernarg_segment_size: 280
    .language:       OpenCL C
    .language_version:
      - 2
      - 0
    .max_flat_workgroup_size: 1024
    .name:           _ZN5aiter25swiglu_act_and_mul_kernelIffLi8EEEvPT0_PKT_i
    .private_segment_fixed_size: 0
    .sgpr_count:     29
    .sgpr_spill_count: 0
    .symbol:         _ZN5aiter25swiglu_act_and_mul_kernelIffLi8EEEvPT0_PKT_i.kd
    .uniform_work_group_size: 1
    .uses_dynamic_stack: false
    .vgpr_count:     41
    .vgpr_spill_count: 0
    .wavefront_size: 64
  - .agpr_count:     0
    .args:
      - .actual_access:  write_only
        .address_space:  global
        .offset:         0
        .size:           8
        .value_kind:     global_buffer
      - .actual_access:  read_only
        .address_space:  global
        .offset:         8
        .size:           8
        .value_kind:     global_buffer
      - .offset:         16
        .size:           4
        .value_kind:     by_value
      - .offset:         24
        .size:           4
        .value_kind:     hidden_block_count_x
      - .offset:         28
        .size:           4
        .value_kind:     hidden_block_count_y
      - .offset:         32
        .size:           4
        .value_kind:     hidden_block_count_z
      - .offset:         36
        .size:           2
        .value_kind:     hidden_group_size_x
      - .offset:         38
        .size:           2
        .value_kind:     hidden_group_size_y
      - .offset:         40
        .size:           2
        .value_kind:     hidden_group_size_z
      - .offset:         42
        .size:           2
        .value_kind:     hidden_remainder_x
      - .offset:         44
        .size:           2
        .value_kind:     hidden_remainder_y
      - .offset:         46
        .size:           2
        .value_kind:     hidden_remainder_z
      - .offset:         64
        .size:           8
        .value_kind:     hidden_global_offset_x
      - .offset:         72
        .size:           8
        .value_kind:     hidden_global_offset_y
      - .offset:         80
        .size:           8
        .value_kind:     hidden_global_offset_z
      - .offset:         88
        .size:           2
        .value_kind:     hidden_grid_dims
    .group_segment_fixed_size: 0
    .kernarg_segment_align: 8
    .kernarg_segment_size: 280
    .language:       OpenCL C
    .language_version:
      - 2
      - 0
    .max_flat_workgroup_size: 1024
    .name:           _ZN5aiter25swiglu_act_and_mul_kernelIffLi4EEEvPT0_PKT_i
    .private_segment_fixed_size: 0
    .sgpr_count:     29
    .sgpr_spill_count: 0
    .symbol:         _ZN5aiter25swiglu_act_and_mul_kernelIffLi4EEEvPT0_PKT_i.kd
    .uniform_work_group_size: 1
    .uses_dynamic_stack: false
    .vgpr_count:     29
    .vgpr_spill_count: 0
    .wavefront_size: 64
  - .agpr_count:     0
    .args:
      - .actual_access:  write_only
        .address_space:  global
        .offset:         0
        .size:           8
        .value_kind:     global_buffer
      - .actual_access:  read_only
        .address_space:  global
        .offset:         8
        .size:           8
        .value_kind:     global_buffer
      - .offset:         16
        .size:           4
        .value_kind:     by_value
      - .offset:         24
        .size:           4
        .value_kind:     hidden_block_count_x
      - .offset:         28
        .size:           4
        .value_kind:     hidden_block_count_y
      - .offset:         32
        .size:           4
        .value_kind:     hidden_block_count_z
      - .offset:         36
        .size:           2
        .value_kind:     hidden_group_size_x
      - .offset:         38
        .size:           2
        .value_kind:     hidden_group_size_y
      - .offset:         40
        .size:           2
        .value_kind:     hidden_group_size_z
      - .offset:         42
        .size:           2
        .value_kind:     hidden_remainder_x
      - .offset:         44
        .size:           2
        .value_kind:     hidden_remainder_y
      - .offset:         46
        .size:           2
        .value_kind:     hidden_remainder_z
      - .offset:         64
        .size:           8
        .value_kind:     hidden_global_offset_x
      - .offset:         72
        .size:           8
        .value_kind:     hidden_global_offset_y
      - .offset:         80
        .size:           8
        .value_kind:     hidden_global_offset_z
      - .offset:         88
        .size:           2
        .value_kind:     hidden_grid_dims
    .group_segment_fixed_size: 0
    .kernarg_segment_align: 8
    .kernarg_segment_size: 280
    .language:       OpenCL C
    .language_version:
      - 2
      - 0
    .max_flat_workgroup_size: 1024
    .name:           _ZN5aiter25swiglu_act_and_mul_kernelIffLi2EEEvPT0_PKT_i
    .private_segment_fixed_size: 0
    .sgpr_count:     29
    .sgpr_spill_count: 0
    .symbol:         _ZN5aiter25swiglu_act_and_mul_kernelIffLi2EEEvPT0_PKT_i.kd
    .uniform_work_group_size: 1
    .uses_dynamic_stack: false
    .vgpr_count:     17
    .vgpr_spill_count: 0
    .wavefront_size: 64
  - .agpr_count:     0
    .args:
      - .actual_access:  write_only
        .address_space:  global
        .offset:         0
        .size:           8
        .value_kind:     global_buffer
      - .actual_access:  read_only
        .address_space:  global
        .offset:         8
        .size:           8
        .value_kind:     global_buffer
      - .offset:         16
        .size:           4
        .value_kind:     by_value
      - .offset:         24
        .size:           4
        .value_kind:     hidden_block_count_x
      - .offset:         28
        .size:           4
        .value_kind:     hidden_block_count_y
      - .offset:         32
        .size:           4
        .value_kind:     hidden_block_count_z
      - .offset:         36
        .size:           2
        .value_kind:     hidden_group_size_x
      - .offset:         38
        .size:           2
        .value_kind:     hidden_group_size_y
      - .offset:         40
        .size:           2
        .value_kind:     hidden_group_size_z
      - .offset:         42
        .size:           2
        .value_kind:     hidden_remainder_x
      - .offset:         44
        .size:           2
        .value_kind:     hidden_remainder_y
      - .offset:         46
        .size:           2
        .value_kind:     hidden_remainder_z
      - .offset:         64
        .size:           8
        .value_kind:     hidden_global_offset_x
      - .offset:         72
        .size:           8
        .value_kind:     hidden_global_offset_y
      - .offset:         80
        .size:           8
        .value_kind:     hidden_global_offset_z
      - .offset:         88
        .size:           2
        .value_kind:     hidden_grid_dims
    .group_segment_fixed_size: 0
    .kernarg_segment_align: 8
    .kernarg_segment_size: 280
    .language:       OpenCL C
    .language_version:
      - 2
      - 0
    .max_flat_workgroup_size: 1024
    .name:           _ZN5aiter25swiglu_act_and_mul_kernelIffLi1EEEvPT0_PKT_i
    .private_segment_fixed_size: 0
    .sgpr_count:     28
    .sgpr_spill_count: 0
    .symbol:         _ZN5aiter25swiglu_act_and_mul_kernelIffLi1EEEvPT0_PKT_i.kd
    .uniform_work_group_size: 1
    .uses_dynamic_stack: false
    .vgpr_count:     10
    .vgpr_spill_count: 0
    .wavefront_size: 64
  - .agpr_count:     0
    .args:
      - .actual_access:  write_only
        .address_space:  global
        .offset:         0
        .size:           8
        .value_kind:     global_buffer
      - .actual_access:  read_only
        .address_space:  global
        .offset:         8
        .size:           8
        .value_kind:     global_buffer
      - .offset:         16
        .size:           4
        .value_kind:     by_value
      - .offset:         24
        .size:           4
        .value_kind:     hidden_block_count_x
      - .offset:         28
        .size:           4
        .value_kind:     hidden_block_count_y
      - .offset:         32
        .size:           4
        .value_kind:     hidden_block_count_z
      - .offset:         36
        .size:           2
        .value_kind:     hidden_group_size_x
      - .offset:         38
        .size:           2
        .value_kind:     hidden_group_size_y
      - .offset:         40
        .size:           2
        .value_kind:     hidden_group_size_z
      - .offset:         42
        .size:           2
        .value_kind:     hidden_remainder_x
      - .offset:         44
        .size:           2
        .value_kind:     hidden_remainder_y
      - .offset:         46
        .size:           2
        .value_kind:     hidden_remainder_z
      - .offset:         64
        .size:           8
        .value_kind:     hidden_global_offset_x
      - .offset:         72
        .size:           8
        .value_kind:     hidden_global_offset_y
      - .offset:         80
        .size:           8
        .value_kind:     hidden_global_offset_z
      - .offset:         88
        .size:           2
        .value_kind:     hidden_grid_dims
    .group_segment_fixed_size: 0
    .kernarg_segment_align: 8
    .kernarg_segment_size: 280
    .language:       OpenCL C
    .language_version:
      - 2
      - 0
    .max_flat_workgroup_size: 1024
    .name:           _ZN5aiter25swiglu_act_and_mul_kernelIDF16_DF16_Li32EEEvPT0_PKT_i
    .private_segment_fixed_size: 0
    .sgpr_count:     29
    .sgpr_spill_count: 0
    .symbol:         _ZN5aiter25swiglu_act_and_mul_kernelIDF16_DF16_Li32EEEvPT0_PKT_i.kd
    .uniform_work_group_size: 1
    .uses_dynamic_stack: false
    .vgpr_count:     55
    .vgpr_spill_count: 0
    .wavefront_size: 64
  - .agpr_count:     0
    .args:
      - .actual_access:  write_only
        .address_space:  global
        .offset:         0
        .size:           8
        .value_kind:     global_buffer
      - .actual_access:  read_only
        .address_space:  global
        .offset:         8
        .size:           8
        .value_kind:     global_buffer
      - .offset:         16
        .size:           4
        .value_kind:     by_value
      - .offset:         24
        .size:           4
        .value_kind:     hidden_block_count_x
      - .offset:         28
        .size:           4
        .value_kind:     hidden_block_count_y
      - .offset:         32
        .size:           4
        .value_kind:     hidden_block_count_z
      - .offset:         36
        .size:           2
        .value_kind:     hidden_group_size_x
      - .offset:         38
        .size:           2
        .value_kind:     hidden_group_size_y
      - .offset:         40
        .size:           2
        .value_kind:     hidden_group_size_z
      - .offset:         42
        .size:           2
        .value_kind:     hidden_remainder_x
      - .offset:         44
        .size:           2
        .value_kind:     hidden_remainder_y
      - .offset:         46
        .size:           2
        .value_kind:     hidden_remainder_z
      - .offset:         64
        .size:           8
        .value_kind:     hidden_global_offset_x
      - .offset:         72
        .size:           8
        .value_kind:     hidden_global_offset_y
      - .offset:         80
        .size:           8
        .value_kind:     hidden_global_offset_z
      - .offset:         88
        .size:           2
        .value_kind:     hidden_grid_dims
    .group_segment_fixed_size: 0
    .kernarg_segment_align: 8
    .kernarg_segment_size: 280
    .language:       OpenCL C
    .language_version:
      - 2
      - 0
    .max_flat_workgroup_size: 1024
    .name:           _ZN5aiter25swiglu_act_and_mul_kernelIDF16_DF16_Li16EEEvPT0_PKT_i
    .private_segment_fixed_size: 0
    .sgpr_count:     29
    .sgpr_spill_count: 0
    .symbol:         _ZN5aiter25swiglu_act_and_mul_kernelIDF16_DF16_Li16EEEvPT0_PKT_i.kd
    .uniform_work_group_size: 1
    .uses_dynamic_stack: false
    .vgpr_count:     46
    .vgpr_spill_count: 0
    .wavefront_size: 64
  - .agpr_count:     0
    .args:
      - .actual_access:  write_only
        .address_space:  global
        .offset:         0
        .size:           8
        .value_kind:     global_buffer
      - .actual_access:  read_only
        .address_space:  global
        .offset:         8
        .size:           8
        .value_kind:     global_buffer
      - .offset:         16
        .size:           4
        .value_kind:     by_value
      - .offset:         24
        .size:           4
        .value_kind:     hidden_block_count_x
      - .offset:         28
        .size:           4
        .value_kind:     hidden_block_count_y
      - .offset:         32
        .size:           4
        .value_kind:     hidden_block_count_z
      - .offset:         36
        .size:           2
        .value_kind:     hidden_group_size_x
      - .offset:         38
        .size:           2
        .value_kind:     hidden_group_size_y
      - .offset:         40
        .size:           2
        .value_kind:     hidden_group_size_z
      - .offset:         42
        .size:           2
        .value_kind:     hidden_remainder_x
      - .offset:         44
        .size:           2
        .value_kind:     hidden_remainder_y
      - .offset:         46
        .size:           2
        .value_kind:     hidden_remainder_z
      - .offset:         64
        .size:           8
        .value_kind:     hidden_global_offset_x
      - .offset:         72
        .size:           8
        .value_kind:     hidden_global_offset_y
      - .offset:         80
        .size:           8
        .value_kind:     hidden_global_offset_z
      - .offset:         88
        .size:           2
        .value_kind:     hidden_grid_dims
    .group_segment_fixed_size: 0
    .kernarg_segment_align: 8
    .kernarg_segment_size: 280
    .language:       OpenCL C
    .language_version:
      - 2
      - 0
    .max_flat_workgroup_size: 1024
    .name:           _ZN5aiter25swiglu_act_and_mul_kernelIDF16_DF16_Li8EEEvPT0_PKT_i
    .private_segment_fixed_size: 0
    .sgpr_count:     29
    .sgpr_spill_count: 0
    .symbol:         _ZN5aiter25swiglu_act_and_mul_kernelIDF16_DF16_Li8EEEvPT0_PKT_i.kd
    .uniform_work_group_size: 1
    .uses_dynamic_stack: false
    .vgpr_count:     38
    .vgpr_spill_count: 0
    .wavefront_size: 64
  - .agpr_count:     0
    .args:
      - .actual_access:  write_only
        .address_space:  global
        .offset:         0
        .size:           8
        .value_kind:     global_buffer
      - .actual_access:  read_only
        .address_space:  global
        .offset:         8
        .size:           8
        .value_kind:     global_buffer
      - .offset:         16
        .size:           4
        .value_kind:     by_value
      - .offset:         24
        .size:           4
        .value_kind:     hidden_block_count_x
      - .offset:         28
        .size:           4
        .value_kind:     hidden_block_count_y
      - .offset:         32
        .size:           4
        .value_kind:     hidden_block_count_z
      - .offset:         36
        .size:           2
        .value_kind:     hidden_group_size_x
      - .offset:         38
        .size:           2
        .value_kind:     hidden_group_size_y
      - .offset:         40
        .size:           2
        .value_kind:     hidden_group_size_z
      - .offset:         42
        .size:           2
        .value_kind:     hidden_remainder_x
      - .offset:         44
        .size:           2
        .value_kind:     hidden_remainder_y
      - .offset:         46
        .size:           2
        .value_kind:     hidden_remainder_z
      - .offset:         64
        .size:           8
        .value_kind:     hidden_global_offset_x
      - .offset:         72
        .size:           8
        .value_kind:     hidden_global_offset_y
      - .offset:         80
        .size:           8
        .value_kind:     hidden_global_offset_z
      - .offset:         88
        .size:           2
        .value_kind:     hidden_grid_dims
    .group_segment_fixed_size: 0
    .kernarg_segment_align: 8
    .kernarg_segment_size: 280
    .language:       OpenCL C
    .language_version:
      - 2
      - 0
    .max_flat_workgroup_size: 1024
    .name:           _ZN5aiter25swiglu_act_and_mul_kernelIDF16_DF16_Li4EEEvPT0_PKT_i
    .private_segment_fixed_size: 0
    .sgpr_count:     29
    .sgpr_spill_count: 0
    .symbol:         _ZN5aiter25swiglu_act_and_mul_kernelIDF16_DF16_Li4EEEvPT0_PKT_i.kd
    .uniform_work_group_size: 1
    .uses_dynamic_stack: false
    .vgpr_count:     29
    .vgpr_spill_count: 0
    .wavefront_size: 64
  - .agpr_count:     0
    .args:
      - .actual_access:  write_only
        .address_space:  global
        .offset:         0
        .size:           8
        .value_kind:     global_buffer
      - .actual_access:  read_only
        .address_space:  global
        .offset:         8
        .size:           8
        .value_kind:     global_buffer
      - .offset:         16
        .size:           4
        .value_kind:     by_value
      - .offset:         24
        .size:           4
        .value_kind:     hidden_block_count_x
      - .offset:         28
        .size:           4
        .value_kind:     hidden_block_count_y
      - .offset:         32
        .size:           4
        .value_kind:     hidden_block_count_z
      - .offset:         36
        .size:           2
        .value_kind:     hidden_group_size_x
      - .offset:         38
        .size:           2
        .value_kind:     hidden_group_size_y
      - .offset:         40
        .size:           2
        .value_kind:     hidden_group_size_z
      - .offset:         42
        .size:           2
        .value_kind:     hidden_remainder_x
      - .offset:         44
        .size:           2
        .value_kind:     hidden_remainder_y
      - .offset:         46
        .size:           2
        .value_kind:     hidden_remainder_z
      - .offset:         64
        .size:           8
        .value_kind:     hidden_global_offset_x
      - .offset:         72
        .size:           8
        .value_kind:     hidden_global_offset_y
      - .offset:         80
        .size:           8
        .value_kind:     hidden_global_offset_z
      - .offset:         88
        .size:           2
        .value_kind:     hidden_grid_dims
    .group_segment_fixed_size: 0
    .kernarg_segment_align: 8
    .kernarg_segment_size: 280
    .language:       OpenCL C
    .language_version:
      - 2
      - 0
    .max_flat_workgroup_size: 1024
    .name:           _ZN5aiter25swiglu_act_and_mul_kernelIDF16_DF16_Li2EEEvPT0_PKT_i
    .private_segment_fixed_size: 0
    .sgpr_count:     29
    .sgpr_spill_count: 0
    .symbol:         _ZN5aiter25swiglu_act_and_mul_kernelIDF16_DF16_Li2EEEvPT0_PKT_i.kd
    .uniform_work_group_size: 1
    .uses_dynamic_stack: false
    .vgpr_count:     16
    .vgpr_spill_count: 0
    .wavefront_size: 64
  - .agpr_count:     0
    .args:
      - .actual_access:  write_only
        .address_space:  global
        .offset:         0
        .size:           8
        .value_kind:     global_buffer
      - .actual_access:  read_only
        .address_space:  global
        .offset:         8
        .size:           8
        .value_kind:     global_buffer
      - .offset:         16
        .size:           4
        .value_kind:     by_value
      - .offset:         24
        .size:           4
        .value_kind:     hidden_block_count_x
      - .offset:         28
        .size:           4
        .value_kind:     hidden_block_count_y
      - .offset:         32
        .size:           4
        .value_kind:     hidden_block_count_z
      - .offset:         36
        .size:           2
        .value_kind:     hidden_group_size_x
      - .offset:         38
        .size:           2
        .value_kind:     hidden_group_size_y
      - .offset:         40
        .size:           2
        .value_kind:     hidden_group_size_z
      - .offset:         42
        .size:           2
        .value_kind:     hidden_remainder_x
      - .offset:         44
        .size:           2
        .value_kind:     hidden_remainder_y
      - .offset:         46
        .size:           2
        .value_kind:     hidden_remainder_z
      - .offset:         64
        .size:           8
        .value_kind:     hidden_global_offset_x
      - .offset:         72
        .size:           8
        .value_kind:     hidden_global_offset_y
      - .offset:         80
        .size:           8
        .value_kind:     hidden_global_offset_z
      - .offset:         88
        .size:           2
        .value_kind:     hidden_grid_dims
    .group_segment_fixed_size: 0
    .kernarg_segment_align: 8
    .kernarg_segment_size: 280
    .language:       OpenCL C
    .language_version:
      - 2
      - 0
    .max_flat_workgroup_size: 1024
    .name:           _ZN5aiter25swiglu_act_and_mul_kernelIDF16_DF16_Li1EEEvPT0_PKT_i
    .private_segment_fixed_size: 0
    .sgpr_count:     28
    .sgpr_spill_count: 0
    .symbol:         _ZN5aiter25swiglu_act_and_mul_kernelIDF16_DF16_Li1EEEvPT0_PKT_i.kd
    .uniform_work_group_size: 1
    .uses_dynamic_stack: false
    .vgpr_count:     10
    .vgpr_spill_count: 0
    .wavefront_size: 64
  - .agpr_count:     0
    .args:
      - .actual_access:  write_only
        .address_space:  global
        .offset:         0
        .size:           8
        .value_kind:     global_buffer
      - .actual_access:  read_only
        .address_space:  global
        .offset:         8
        .size:           8
        .value_kind:     global_buffer
      - .offset:         16
        .size:           4
        .value_kind:     by_value
      - .offset:         24
        .size:           4
        .value_kind:     hidden_block_count_x
      - .offset:         28
        .size:           4
        .value_kind:     hidden_block_count_y
      - .offset:         32
        .size:           4
        .value_kind:     hidden_block_count_z
      - .offset:         36
        .size:           2
        .value_kind:     hidden_group_size_x
      - .offset:         38
        .size:           2
        .value_kind:     hidden_group_size_y
      - .offset:         40
        .size:           2
        .value_kind:     hidden_group_size_z
      - .offset:         42
        .size:           2
        .value_kind:     hidden_remainder_x
      - .offset:         44
        .size:           2
        .value_kind:     hidden_remainder_y
      - .offset:         46
        .size:           2
        .value_kind:     hidden_remainder_z
      - .offset:         64
        .size:           8
        .value_kind:     hidden_global_offset_x
      - .offset:         72
        .size:           8
        .value_kind:     hidden_global_offset_y
      - .offset:         80
        .size:           8
        .value_kind:     hidden_global_offset_z
      - .offset:         88
        .size:           2
        .value_kind:     hidden_grid_dims
    .group_segment_fixed_size: 0
    .kernarg_segment_align: 8
    .kernarg_segment_size: 280
    .language:       OpenCL C
    .language_version:
      - 2
      - 0
    .max_flat_workgroup_size: 1024
    .name:           _ZN5aiter25swiglu_act_and_mul_kernelIttLi32EEEvPT0_PKT_i
    .private_segment_fixed_size: 0
    .sgpr_count:     30
    .sgpr_spill_count: 0
    .symbol:         _ZN5aiter25swiglu_act_and_mul_kernelIttLi32EEEvPT0_PKT_i.kd
    .uniform_work_group_size: 1
    .uses_dynamic_stack: false
    .vgpr_count:     71
    .vgpr_spill_count: 0
    .wavefront_size: 64
  - .agpr_count:     0
    .args:
      - .actual_access:  write_only
        .address_space:  global
        .offset:         0
        .size:           8
        .value_kind:     global_buffer
      - .actual_access:  read_only
        .address_space:  global
        .offset:         8
        .size:           8
        .value_kind:     global_buffer
      - .offset:         16
        .size:           4
        .value_kind:     by_value
      - .offset:         24
        .size:           4
        .value_kind:     hidden_block_count_x
      - .offset:         28
        .size:           4
        .value_kind:     hidden_block_count_y
      - .offset:         32
        .size:           4
        .value_kind:     hidden_block_count_z
      - .offset:         36
        .size:           2
        .value_kind:     hidden_group_size_x
      - .offset:         38
        .size:           2
        .value_kind:     hidden_group_size_y
      - .offset:         40
        .size:           2
        .value_kind:     hidden_group_size_z
      - .offset:         42
        .size:           2
        .value_kind:     hidden_remainder_x
      - .offset:         44
        .size:           2
        .value_kind:     hidden_remainder_y
      - .offset:         46
        .size:           2
        .value_kind:     hidden_remainder_z
      - .offset:         64
        .size:           8
        .value_kind:     hidden_global_offset_x
      - .offset:         72
        .size:           8
        .value_kind:     hidden_global_offset_y
      - .offset:         80
        .size:           8
        .value_kind:     hidden_global_offset_z
      - .offset:         88
        .size:           2
        .value_kind:     hidden_grid_dims
    .group_segment_fixed_size: 0
    .kernarg_segment_align: 8
    .kernarg_segment_size: 280
    .language:       OpenCL C
    .language_version:
      - 2
      - 0
    .max_flat_workgroup_size: 1024
    .name:           _ZN5aiter25swiglu_act_and_mul_kernelIttLi16EEEvPT0_PKT_i
    .private_segment_fixed_size: 0
    .sgpr_count:     30
    .sgpr_spill_count: 0
    .symbol:         _ZN5aiter25swiglu_act_and_mul_kernelIttLi16EEEvPT0_PKT_i.kd
    .uniform_work_group_size: 1
    .uses_dynamic_stack: false
    .vgpr_count:     51
    .vgpr_spill_count: 0
    .wavefront_size: 64
  - .agpr_count:     0
    .args:
      - .actual_access:  write_only
        .address_space:  global
        .offset:         0
        .size:           8
        .value_kind:     global_buffer
      - .actual_access:  read_only
        .address_space:  global
        .offset:         8
        .size:           8
        .value_kind:     global_buffer
      - .offset:         16
        .size:           4
        .value_kind:     by_value
      - .offset:         24
        .size:           4
        .value_kind:     hidden_block_count_x
      - .offset:         28
        .size:           4
        .value_kind:     hidden_block_count_y
      - .offset:         32
        .size:           4
        .value_kind:     hidden_block_count_z
      - .offset:         36
        .size:           2
        .value_kind:     hidden_group_size_x
      - .offset:         38
        .size:           2
        .value_kind:     hidden_group_size_y
      - .offset:         40
        .size:           2
        .value_kind:     hidden_group_size_z
      - .offset:         42
        .size:           2
        .value_kind:     hidden_remainder_x
      - .offset:         44
        .size:           2
        .value_kind:     hidden_remainder_y
      - .offset:         46
        .size:           2
        .value_kind:     hidden_remainder_z
      - .offset:         64
        .size:           8
        .value_kind:     hidden_global_offset_x
      - .offset:         72
        .size:           8
        .value_kind:     hidden_global_offset_y
      - .offset:         80
        .size:           8
        .value_kind:     hidden_global_offset_z
      - .offset:         88
        .size:           2
        .value_kind:     hidden_grid_dims
    .group_segment_fixed_size: 0
    .kernarg_segment_align: 8
    .kernarg_segment_size: 280
    .language:       OpenCL C
    .language_version:
      - 2
      - 0
    .max_flat_workgroup_size: 1024
    .name:           _ZN5aiter25swiglu_act_and_mul_kernelIttLi8EEEvPT0_PKT_i
    .private_segment_fixed_size: 0
    .sgpr_count:     30
    .sgpr_spill_count: 0
    .symbol:         _ZN5aiter25swiglu_act_and_mul_kernelIttLi8EEEvPT0_PKT_i.kd
    .uniform_work_group_size: 1
    .uses_dynamic_stack: false
    .vgpr_count:     37
    .vgpr_spill_count: 0
    .wavefront_size: 64
  - .agpr_count:     0
    .args:
      - .actual_access:  write_only
        .address_space:  global
        .offset:         0
        .size:           8
        .value_kind:     global_buffer
      - .actual_access:  read_only
        .address_space:  global
        .offset:         8
        .size:           8
        .value_kind:     global_buffer
      - .offset:         16
        .size:           4
        .value_kind:     by_value
      - .offset:         24
        .size:           4
        .value_kind:     hidden_block_count_x
      - .offset:         28
        .size:           4
        .value_kind:     hidden_block_count_y
      - .offset:         32
        .size:           4
        .value_kind:     hidden_block_count_z
      - .offset:         36
        .size:           2
        .value_kind:     hidden_group_size_x
      - .offset:         38
        .size:           2
        .value_kind:     hidden_group_size_y
      - .offset:         40
        .size:           2
        .value_kind:     hidden_group_size_z
      - .offset:         42
        .size:           2
        .value_kind:     hidden_remainder_x
      - .offset:         44
        .size:           2
        .value_kind:     hidden_remainder_y
      - .offset:         46
        .size:           2
        .value_kind:     hidden_remainder_z
      - .offset:         64
        .size:           8
        .value_kind:     hidden_global_offset_x
      - .offset:         72
        .size:           8
        .value_kind:     hidden_global_offset_y
      - .offset:         80
        .size:           8
        .value_kind:     hidden_global_offset_z
      - .offset:         88
        .size:           2
        .value_kind:     hidden_grid_dims
    .group_segment_fixed_size: 0
    .kernarg_segment_align: 8
    .kernarg_segment_size: 280
    .language:       OpenCL C
    .language_version:
      - 2
      - 0
    .max_flat_workgroup_size: 1024
    .name:           _ZN5aiter25swiglu_act_and_mul_kernelIttLi4EEEvPT0_PKT_i
    .private_segment_fixed_size: 0
    .sgpr_count:     30
    .sgpr_spill_count: 0
    .symbol:         _ZN5aiter25swiglu_act_and_mul_kernelIttLi4EEEvPT0_PKT_i.kd
    .uniform_work_group_size: 1
    .uses_dynamic_stack: false
    .vgpr_count:     29
    .vgpr_spill_count: 0
    .wavefront_size: 64
  - .agpr_count:     0
    .args:
      - .actual_access:  write_only
        .address_space:  global
        .offset:         0
        .size:           8
        .value_kind:     global_buffer
      - .actual_access:  read_only
        .address_space:  global
        .offset:         8
        .size:           8
        .value_kind:     global_buffer
      - .offset:         16
        .size:           4
        .value_kind:     by_value
      - .offset:         24
        .size:           4
        .value_kind:     hidden_block_count_x
      - .offset:         28
        .size:           4
        .value_kind:     hidden_block_count_y
      - .offset:         32
        .size:           4
        .value_kind:     hidden_block_count_z
      - .offset:         36
        .size:           2
        .value_kind:     hidden_group_size_x
      - .offset:         38
        .size:           2
        .value_kind:     hidden_group_size_y
      - .offset:         40
        .size:           2
        .value_kind:     hidden_group_size_z
      - .offset:         42
        .size:           2
        .value_kind:     hidden_remainder_x
      - .offset:         44
        .size:           2
        .value_kind:     hidden_remainder_y
      - .offset:         46
        .size:           2
        .value_kind:     hidden_remainder_z
      - .offset:         64
        .size:           8
        .value_kind:     hidden_global_offset_x
      - .offset:         72
        .size:           8
        .value_kind:     hidden_global_offset_y
      - .offset:         80
        .size:           8
        .value_kind:     hidden_global_offset_z
      - .offset:         88
        .size:           2
        .value_kind:     hidden_grid_dims
    .group_segment_fixed_size: 0
    .kernarg_segment_align: 8
    .kernarg_segment_size: 280
    .language:       OpenCL C
    .language_version:
      - 2
      - 0
    .max_flat_workgroup_size: 1024
    .name:           _ZN5aiter25swiglu_act_and_mul_kernelIttLi2EEEvPT0_PKT_i
    .private_segment_fixed_size: 0
    .sgpr_count:     30
    .sgpr_spill_count: 0
    .symbol:         _ZN5aiter25swiglu_act_and_mul_kernelIttLi2EEEvPT0_PKT_i.kd
    .uniform_work_group_size: 1
    .uses_dynamic_stack: false
    .vgpr_count:     17
    .vgpr_spill_count: 0
    .wavefront_size: 64
  - .agpr_count:     0
    .args:
      - .actual_access:  write_only
        .address_space:  global
        .offset:         0
        .size:           8
        .value_kind:     global_buffer
      - .actual_access:  read_only
        .address_space:  global
        .offset:         8
        .size:           8
        .value_kind:     global_buffer
      - .offset:         16
        .size:           4
        .value_kind:     by_value
      - .offset:         24
        .size:           4
        .value_kind:     hidden_block_count_x
      - .offset:         28
        .size:           4
        .value_kind:     hidden_block_count_y
      - .offset:         32
        .size:           4
        .value_kind:     hidden_block_count_z
      - .offset:         36
        .size:           2
        .value_kind:     hidden_group_size_x
      - .offset:         38
        .size:           2
        .value_kind:     hidden_group_size_y
      - .offset:         40
        .size:           2
        .value_kind:     hidden_group_size_z
      - .offset:         42
        .size:           2
        .value_kind:     hidden_remainder_x
      - .offset:         44
        .size:           2
        .value_kind:     hidden_remainder_y
      - .offset:         46
        .size:           2
        .value_kind:     hidden_remainder_z
      - .offset:         64
        .size:           8
        .value_kind:     hidden_global_offset_x
      - .offset:         72
        .size:           8
        .value_kind:     hidden_global_offset_y
      - .offset:         80
        .size:           8
        .value_kind:     hidden_global_offset_z
      - .offset:         88
        .size:           2
        .value_kind:     hidden_grid_dims
    .group_segment_fixed_size: 0
    .kernarg_segment_align: 8
    .kernarg_segment_size: 280
    .language:       OpenCL C
    .language_version:
      - 2
      - 0
    .max_flat_workgroup_size: 1024
    .name:           _ZN5aiter25swiglu_act_and_mul_kernelIttLi1EEEvPT0_PKT_i
    .private_segment_fixed_size: 0
    .sgpr_count:     28
    .sgpr_spill_count: 0
    .symbol:         _ZN5aiter25swiglu_act_and_mul_kernelIttLi1EEEvPT0_PKT_i.kd
    .uniform_work_group_size: 1
    .uses_dynamic_stack: false
    .vgpr_count:     10
    .vgpr_spill_count: 0
    .wavefront_size: 64
  - .agpr_count:     0
    .args:
      - .actual_access:  write_only
        .address_space:  global
        .offset:         0
        .size:           8
        .value_kind:     global_buffer
      - .actual_access:  read_only
        .address_space:  global
        .offset:         8
        .size:           8
        .value_kind:     global_buffer
      - .actual_access:  read_only
        .address_space:  global
        .offset:         16
        .size:           8
        .value_kind:     global_buffer
      - .actual_access:  read_only
        .address_space:  global
        .offset:         24
        .size:           8
        .value_kind:     global_buffer
      - .offset:         32
        .size:           4
        .value_kind:     by_value
      - .offset:         40
        .size:           8
        .value_kind:     by_value
      - .offset:         48
        .size:           4
        .value_kind:     hidden_block_count_x
      - .offset:         52
        .size:           4
        .value_kind:     hidden_block_count_y
      - .offset:         56
        .size:           4
        .value_kind:     hidden_block_count_z
      - .offset:         60
        .size:           2
        .value_kind:     hidden_group_size_x
      - .offset:         62
        .size:           2
        .value_kind:     hidden_group_size_y
      - .offset:         64
        .size:           2
        .value_kind:     hidden_group_size_z
      - .offset:         66
        .size:           2
        .value_kind:     hidden_remainder_x
      - .offset:         68
        .size:           2
        .value_kind:     hidden_remainder_y
      - .offset:         70
        .size:           2
        .value_kind:     hidden_remainder_z
      - .offset:         88
        .size:           8
        .value_kind:     hidden_global_offset_x
      - .offset:         96
        .size:           8
        .value_kind:     hidden_global_offset_y
      - .offset:         104
        .size:           8
        .value_kind:     hidden_global_offset_z
      - .offset:         112
        .size:           2
        .value_kind:     hidden_grid_dims
    .group_segment_fixed_size: 0
    .kernarg_segment_align: 8
    .kernarg_segment_size: 304
    .language:       OpenCL C
    .language_version:
      - 2
      - 0
    .max_flat_workgroup_size: 1024
    .name:           _ZN5aiter23act_and_mul_bias_kernelIfthfTnPFfRKT2_EXadL_ZNS_11silu_kernelIfEEfRKT_EELi16EEEvPT0_PS8_PKT1_PS2_il
    .private_segment_fixed_size: 0
    .sgpr_count:     69
    .sgpr_spill_count: 0
    .symbol:         _ZN5aiter23act_and_mul_bias_kernelIfthfTnPFfRKT2_EXadL_ZNS_11silu_kernelIfEEfRKT_EELi16EEEvPT0_PS8_PKT1_PS2_il.kd
    .uniform_work_group_size: 1
    .uses_dynamic_stack: false
    .vgpr_count:     68
    .vgpr_spill_count: 0
    .wavefront_size: 64
  - .agpr_count:     0
    .args:
      - .actual_access:  write_only
        .address_space:  global
        .offset:         0
        .size:           8
        .value_kind:     global_buffer
      - .actual_access:  read_only
        .address_space:  global
        .offset:         8
        .size:           8
        .value_kind:     global_buffer
      - .actual_access:  read_only
        .address_space:  global
        .offset:         16
        .size:           8
        .value_kind:     global_buffer
      - .actual_access:  read_only
        .address_space:  global
        .offset:         24
        .size:           8
        .value_kind:     global_buffer
      - .offset:         32
        .size:           4
        .value_kind:     by_value
      - .offset:         40
        .size:           8
        .value_kind:     by_value
      - .offset:         48
        .size:           4
        .value_kind:     hidden_block_count_x
      - .offset:         52
        .size:           4
        .value_kind:     hidden_block_count_y
      - .offset:         56
        .size:           4
        .value_kind:     hidden_block_count_z
      - .offset:         60
        .size:           2
        .value_kind:     hidden_group_size_x
      - .offset:         62
        .size:           2
        .value_kind:     hidden_group_size_y
      - .offset:         64
        .size:           2
        .value_kind:     hidden_group_size_z
      - .offset:         66
        .size:           2
        .value_kind:     hidden_remainder_x
      - .offset:         68
        .size:           2
        .value_kind:     hidden_remainder_y
      - .offset:         70
        .size:           2
        .value_kind:     hidden_remainder_z
      - .offset:         88
        .size:           8
        .value_kind:     hidden_global_offset_x
      - .offset:         96
        .size:           8
        .value_kind:     hidden_global_offset_y
      - .offset:         104
        .size:           8
        .value_kind:     hidden_global_offset_z
      - .offset:         112
        .size:           2
        .value_kind:     hidden_grid_dims
    .group_segment_fixed_size: 0
    .kernarg_segment_align: 8
    .kernarg_segment_size: 304
    .language:       OpenCL C
    .language_version:
      - 2
      - 0
    .max_flat_workgroup_size: 1024
    .name:           _ZN5aiter23act_and_mul_bias_kernelIfthfTnPFfRKT2_EXadL_ZNS_11silu_kernelIfEEfRKT_EELi8EEEvPT0_PS8_PKT1_PS2_il
    .private_segment_fixed_size: 0
    .sgpr_count:     53
    .sgpr_spill_count: 0
    .symbol:         _ZN5aiter23act_and_mul_bias_kernelIfthfTnPFfRKT2_EXadL_ZNS_11silu_kernelIfEEfRKT_EELi8EEEvPT0_PS8_PKT1_PS2_il.kd
    .uniform_work_group_size: 1
    .uses_dynamic_stack: false
    .vgpr_count:     44
    .vgpr_spill_count: 0
    .wavefront_size: 64
  - .agpr_count:     0
    .args:
      - .actual_access:  write_only
        .address_space:  global
        .offset:         0
        .size:           8
        .value_kind:     global_buffer
      - .actual_access:  read_only
        .address_space:  global
        .offset:         8
        .size:           8
        .value_kind:     global_buffer
      - .actual_access:  read_only
        .address_space:  global
        .offset:         16
        .size:           8
        .value_kind:     global_buffer
      - .actual_access:  read_only
        .address_space:  global
        .offset:         24
        .size:           8
        .value_kind:     global_buffer
      - .offset:         32
        .size:           4
        .value_kind:     by_value
      - .offset:         40
        .size:           8
        .value_kind:     by_value
      - .offset:         48
        .size:           4
        .value_kind:     hidden_block_count_x
      - .offset:         52
        .size:           4
        .value_kind:     hidden_block_count_y
      - .offset:         56
        .size:           4
        .value_kind:     hidden_block_count_z
      - .offset:         60
        .size:           2
        .value_kind:     hidden_group_size_x
      - .offset:         62
        .size:           2
        .value_kind:     hidden_group_size_y
      - .offset:         64
        .size:           2
        .value_kind:     hidden_group_size_z
      - .offset:         66
        .size:           2
        .value_kind:     hidden_remainder_x
      - .offset:         68
        .size:           2
        .value_kind:     hidden_remainder_y
      - .offset:         70
        .size:           2
        .value_kind:     hidden_remainder_z
      - .offset:         88
        .size:           8
        .value_kind:     hidden_global_offset_x
      - .offset:         96
        .size:           8
        .value_kind:     hidden_global_offset_y
      - .offset:         104
        .size:           8
        .value_kind:     hidden_global_offset_z
      - .offset:         112
        .size:           2
        .value_kind:     hidden_grid_dims
    .group_segment_fixed_size: 0
    .kernarg_segment_align: 8
    .kernarg_segment_size: 304
    .language:       OpenCL C
    .language_version:
      - 2
      - 0
    .max_flat_workgroup_size: 1024
    .name:           _ZN5aiter23act_and_mul_bias_kernelIfthfTnPFfRKT2_EXadL_ZNS_11silu_kernelIfEEfRKT_EELi4EEEvPT0_PS8_PKT1_PS2_il
    .private_segment_fixed_size: 0
    .sgpr_count:     45
    .sgpr_spill_count: 0
    .symbol:         _ZN5aiter23act_and_mul_bias_kernelIfthfTnPFfRKT2_EXadL_ZNS_11silu_kernelIfEEfRKT_EELi4EEEvPT0_PS8_PKT1_PS2_il.kd
    .uniform_work_group_size: 1
    .uses_dynamic_stack: false
    .vgpr_count:     23
    .vgpr_spill_count: 0
    .wavefront_size: 64
  - .agpr_count:     0
    .args:
      - .actual_access:  write_only
        .address_space:  global
        .offset:         0
        .size:           8
        .value_kind:     global_buffer
      - .actual_access:  read_only
        .address_space:  global
        .offset:         8
        .size:           8
        .value_kind:     global_buffer
      - .actual_access:  read_only
        .address_space:  global
        .offset:         16
        .size:           8
        .value_kind:     global_buffer
      - .actual_access:  read_only
        .address_space:  global
        .offset:         24
        .size:           8
        .value_kind:     global_buffer
      - .offset:         32
        .size:           4
        .value_kind:     by_value
      - .offset:         40
        .size:           8
        .value_kind:     by_value
      - .offset:         48
        .size:           4
        .value_kind:     hidden_block_count_x
      - .offset:         52
        .size:           4
        .value_kind:     hidden_block_count_y
      - .offset:         56
        .size:           4
        .value_kind:     hidden_block_count_z
      - .offset:         60
        .size:           2
        .value_kind:     hidden_group_size_x
      - .offset:         62
        .size:           2
        .value_kind:     hidden_group_size_y
      - .offset:         64
        .size:           2
        .value_kind:     hidden_group_size_z
      - .offset:         66
        .size:           2
        .value_kind:     hidden_remainder_x
      - .offset:         68
        .size:           2
        .value_kind:     hidden_remainder_y
      - .offset:         70
        .size:           2
        .value_kind:     hidden_remainder_z
      - .offset:         88
        .size:           8
        .value_kind:     hidden_global_offset_x
      - .offset:         96
        .size:           8
        .value_kind:     hidden_global_offset_y
      - .offset:         104
        .size:           8
        .value_kind:     hidden_global_offset_z
      - .offset:         112
        .size:           2
        .value_kind:     hidden_grid_dims
    .group_segment_fixed_size: 0
    .kernarg_segment_align: 8
    .kernarg_segment_size: 304
    .language:       OpenCL C
    .language_version:
      - 2
      - 0
    .max_flat_workgroup_size: 1024
    .name:           _ZN5aiter23act_and_mul_bias_kernelIfthfTnPFfRKT2_EXadL_ZNS_11silu_kernelIfEEfRKT_EELi2EEEvPT0_PS8_PKT1_PS2_il
    .private_segment_fixed_size: 0
    .sgpr_count:     41
    .sgpr_spill_count: 0
    .symbol:         _ZN5aiter23act_and_mul_bias_kernelIfthfTnPFfRKT2_EXadL_ZNS_11silu_kernelIfEEfRKT_EELi2EEEvPT0_PS8_PKT1_PS2_il.kd
    .uniform_work_group_size: 1
    .uses_dynamic_stack: false
    .vgpr_count:     15
    .vgpr_spill_count: 0
    .wavefront_size: 64
  - .agpr_count:     0
    .args:
      - .actual_access:  write_only
        .address_space:  global
        .offset:         0
        .size:           8
        .value_kind:     global_buffer
      - .actual_access:  read_only
        .address_space:  global
        .offset:         8
        .size:           8
        .value_kind:     global_buffer
      - .actual_access:  read_only
        .address_space:  global
        .offset:         16
        .size:           8
        .value_kind:     global_buffer
      - .actual_access:  read_only
        .address_space:  global
        .offset:         24
        .size:           8
        .value_kind:     global_buffer
      - .offset:         32
        .size:           4
        .value_kind:     by_value
      - .offset:         40
        .size:           8
        .value_kind:     by_value
      - .offset:         48
        .size:           4
        .value_kind:     hidden_block_count_x
      - .offset:         52
        .size:           4
        .value_kind:     hidden_block_count_y
      - .offset:         56
        .size:           4
        .value_kind:     hidden_block_count_z
      - .offset:         60
        .size:           2
        .value_kind:     hidden_group_size_x
      - .offset:         62
        .size:           2
        .value_kind:     hidden_group_size_y
      - .offset:         64
        .size:           2
        .value_kind:     hidden_group_size_z
      - .offset:         66
        .size:           2
        .value_kind:     hidden_remainder_x
      - .offset:         68
        .size:           2
        .value_kind:     hidden_remainder_y
      - .offset:         70
        .size:           2
        .value_kind:     hidden_remainder_z
      - .offset:         88
        .size:           8
        .value_kind:     hidden_global_offset_x
      - .offset:         96
        .size:           8
        .value_kind:     hidden_global_offset_y
      - .offset:         104
        .size:           8
        .value_kind:     hidden_global_offset_z
      - .offset:         112
        .size:           2
        .value_kind:     hidden_grid_dims
    .group_segment_fixed_size: 0
    .kernarg_segment_align: 8
    .kernarg_segment_size: 304
    .language:       OpenCL C
    .language_version:
      - 2
      - 0
    .max_flat_workgroup_size: 1024
    .name:           _ZN5aiter23act_and_mul_bias_kernelIfthfTnPFfRKT2_EXadL_ZNS_11silu_kernelIfEEfRKT_EELi1EEEvPT0_PS8_PKT1_PS2_il
    .private_segment_fixed_size: 0
    .sgpr_count:     37
    .sgpr_spill_count: 0
    .symbol:         _ZN5aiter23act_and_mul_bias_kernelIfthfTnPFfRKT2_EXadL_ZNS_11silu_kernelIfEEfRKT_EELi1EEEvPT0_PS8_PKT1_PS2_il.kd
    .uniform_work_group_size: 1
    .uses_dynamic_stack: false
    .vgpr_count:     10
    .vgpr_spill_count: 0
    .wavefront_size: 64
  - .agpr_count:     0
    .args:
      - .actual_access:  write_only
        .address_space:  global
        .offset:         0
        .size:           8
        .value_kind:     global_buffer
      - .actual_access:  read_only
        .address_space:  global
        .offset:         8
        .size:           8
        .value_kind:     global_buffer
      - .actual_access:  read_only
        .address_space:  global
        .offset:         16
        .size:           8
        .value_kind:     global_buffer
      - .actual_access:  read_only
        .address_space:  global
        .offset:         24
        .size:           8
        .value_kind:     global_buffer
      - .offset:         32
        .size:           4
        .value_kind:     by_value
      - .offset:         40
        .size:           8
        .value_kind:     by_value
      - .offset:         48
        .size:           4
        .value_kind:     hidden_block_count_x
      - .offset:         52
        .size:           4
        .value_kind:     hidden_block_count_y
      - .offset:         56
        .size:           4
        .value_kind:     hidden_block_count_z
      - .offset:         60
        .size:           2
        .value_kind:     hidden_group_size_x
      - .offset:         62
        .size:           2
        .value_kind:     hidden_group_size_y
      - .offset:         64
        .size:           2
        .value_kind:     hidden_group_size_z
      - .offset:         66
        .size:           2
        .value_kind:     hidden_remainder_x
      - .offset:         68
        .size:           2
        .value_kind:     hidden_remainder_y
      - .offset:         70
        .size:           2
        .value_kind:     hidden_remainder_z
      - .offset:         88
        .size:           8
        .value_kind:     hidden_global_offset_x
      - .offset:         96
        .size:           8
        .value_kind:     hidden_global_offset_y
      - .offset:         104
        .size:           8
        .value_kind:     hidden_global_offset_z
      - .offset:         112
        .size:           2
        .value_kind:     hidden_grid_dims
    .group_segment_fixed_size: 0
    .kernarg_segment_align: 8
    .kernarg_segment_size: 304
    .language:       OpenCL C
    .language_version:
      - 2
      - 0
    .max_flat_workgroup_size: 1024
    .name:           _ZN5aiter23act_and_mul_bias_kernelIfDF16_hfTnPFfRKT2_EXadL_ZNS_11silu_kernelIfEEfRKT_EELi16EEEvPT0_PS8_PKT1_PS2_il
    .private_segment_fixed_size: 0
    .sgpr_count:     68
    .sgpr_spill_count: 0
    .symbol:         _ZN5aiter23act_and_mul_bias_kernelIfDF16_hfTnPFfRKT2_EXadL_ZNS_11silu_kernelIfEEfRKT_EELi16EEEvPT0_PS8_PKT1_PS2_il.kd
    .uniform_work_group_size: 1
    .uses_dynamic_stack: false
    .vgpr_count:     69
    .vgpr_spill_count: 0
    .wavefront_size: 64
  - .agpr_count:     0
    .args:
      - .actual_access:  write_only
        .address_space:  global
        .offset:         0
        .size:           8
        .value_kind:     global_buffer
      - .actual_access:  read_only
        .address_space:  global
        .offset:         8
        .size:           8
        .value_kind:     global_buffer
      - .actual_access:  read_only
        .address_space:  global
        .offset:         16
        .size:           8
        .value_kind:     global_buffer
      - .actual_access:  read_only
        .address_space:  global
        .offset:         24
        .size:           8
        .value_kind:     global_buffer
      - .offset:         32
        .size:           4
        .value_kind:     by_value
      - .offset:         40
        .size:           8
        .value_kind:     by_value
      - .offset:         48
        .size:           4
        .value_kind:     hidden_block_count_x
      - .offset:         52
        .size:           4
        .value_kind:     hidden_block_count_y
      - .offset:         56
        .size:           4
        .value_kind:     hidden_block_count_z
      - .offset:         60
        .size:           2
        .value_kind:     hidden_group_size_x
      - .offset:         62
        .size:           2
        .value_kind:     hidden_group_size_y
      - .offset:         64
        .size:           2
        .value_kind:     hidden_group_size_z
      - .offset:         66
        .size:           2
        .value_kind:     hidden_remainder_x
      - .offset:         68
        .size:           2
        .value_kind:     hidden_remainder_y
      - .offset:         70
        .size:           2
        .value_kind:     hidden_remainder_z
      - .offset:         88
        .size:           8
        .value_kind:     hidden_global_offset_x
      - .offset:         96
        .size:           8
        .value_kind:     hidden_global_offset_y
      - .offset:         104
        .size:           8
        .value_kind:     hidden_global_offset_z
      - .offset:         112
        .size:           2
        .value_kind:     hidden_grid_dims
    .group_segment_fixed_size: 0
    .kernarg_segment_align: 8
    .kernarg_segment_size: 304
    .language:       OpenCL C
    .language_version:
      - 2
      - 0
    .max_flat_workgroup_size: 1024
    .name:           _ZN5aiter23act_and_mul_bias_kernelIfDF16_hfTnPFfRKT2_EXadL_ZNS_11silu_kernelIfEEfRKT_EELi8EEEvPT0_PS8_PKT1_PS2_il
    .private_segment_fixed_size: 0
    .sgpr_count:     52
    .sgpr_spill_count: 0
    .symbol:         _ZN5aiter23act_and_mul_bias_kernelIfDF16_hfTnPFfRKT2_EXadL_ZNS_11silu_kernelIfEEfRKT_EELi8EEEvPT0_PS8_PKT1_PS2_il.kd
    .uniform_work_group_size: 1
    .uses_dynamic_stack: false
    .vgpr_count:     44
    .vgpr_spill_count: 0
    .wavefront_size: 64
  - .agpr_count:     0
    .args:
      - .actual_access:  write_only
        .address_space:  global
        .offset:         0
        .size:           8
        .value_kind:     global_buffer
      - .actual_access:  read_only
        .address_space:  global
        .offset:         8
        .size:           8
        .value_kind:     global_buffer
      - .actual_access:  read_only
        .address_space:  global
        .offset:         16
        .size:           8
        .value_kind:     global_buffer
      - .actual_access:  read_only
        .address_space:  global
        .offset:         24
        .size:           8
        .value_kind:     global_buffer
      - .offset:         32
        .size:           4
        .value_kind:     by_value
      - .offset:         40
        .size:           8
        .value_kind:     by_value
      - .offset:         48
        .size:           4
        .value_kind:     hidden_block_count_x
      - .offset:         52
        .size:           4
        .value_kind:     hidden_block_count_y
      - .offset:         56
        .size:           4
        .value_kind:     hidden_block_count_z
      - .offset:         60
        .size:           2
        .value_kind:     hidden_group_size_x
      - .offset:         62
        .size:           2
        .value_kind:     hidden_group_size_y
      - .offset:         64
        .size:           2
        .value_kind:     hidden_group_size_z
      - .offset:         66
        .size:           2
        .value_kind:     hidden_remainder_x
      - .offset:         68
        .size:           2
        .value_kind:     hidden_remainder_y
      - .offset:         70
        .size:           2
        .value_kind:     hidden_remainder_z
      - .offset:         88
        .size:           8
        .value_kind:     hidden_global_offset_x
      - .offset:         96
        .size:           8
        .value_kind:     hidden_global_offset_y
      - .offset:         104
        .size:           8
        .value_kind:     hidden_global_offset_z
      - .offset:         112
        .size:           2
        .value_kind:     hidden_grid_dims
    .group_segment_fixed_size: 0
    .kernarg_segment_align: 8
    .kernarg_segment_size: 304
    .language:       OpenCL C
    .language_version:
      - 2
      - 0
    .max_flat_workgroup_size: 1024
    .name:           _ZN5aiter23act_and_mul_bias_kernelIfDF16_hfTnPFfRKT2_EXadL_ZNS_11silu_kernelIfEEfRKT_EELi4EEEvPT0_PS8_PKT1_PS2_il
    .private_segment_fixed_size: 0
    .sgpr_count:     44
    .sgpr_spill_count: 0
    .symbol:         _ZN5aiter23act_and_mul_bias_kernelIfDF16_hfTnPFfRKT2_EXadL_ZNS_11silu_kernelIfEEfRKT_EELi4EEEvPT0_PS8_PKT1_PS2_il.kd
    .uniform_work_group_size: 1
    .uses_dynamic_stack: false
    .vgpr_count:     24
    .vgpr_spill_count: 0
    .wavefront_size: 64
  - .agpr_count:     0
    .args:
      - .actual_access:  write_only
        .address_space:  global
        .offset:         0
        .size:           8
        .value_kind:     global_buffer
      - .actual_access:  read_only
        .address_space:  global
        .offset:         8
        .size:           8
        .value_kind:     global_buffer
      - .actual_access:  read_only
        .address_space:  global
        .offset:         16
        .size:           8
        .value_kind:     global_buffer
      - .actual_access:  read_only
        .address_space:  global
        .offset:         24
        .size:           8
        .value_kind:     global_buffer
      - .offset:         32
        .size:           4
        .value_kind:     by_value
      - .offset:         40
        .size:           8
        .value_kind:     by_value
      - .offset:         48
        .size:           4
        .value_kind:     hidden_block_count_x
      - .offset:         52
        .size:           4
        .value_kind:     hidden_block_count_y
      - .offset:         56
        .size:           4
        .value_kind:     hidden_block_count_z
      - .offset:         60
        .size:           2
        .value_kind:     hidden_group_size_x
      - .offset:         62
        .size:           2
        .value_kind:     hidden_group_size_y
      - .offset:         64
        .size:           2
        .value_kind:     hidden_group_size_z
      - .offset:         66
        .size:           2
        .value_kind:     hidden_remainder_x
      - .offset:         68
        .size:           2
        .value_kind:     hidden_remainder_y
      - .offset:         70
        .size:           2
        .value_kind:     hidden_remainder_z
      - .offset:         88
        .size:           8
        .value_kind:     hidden_global_offset_x
      - .offset:         96
        .size:           8
        .value_kind:     hidden_global_offset_y
      - .offset:         104
        .size:           8
        .value_kind:     hidden_global_offset_z
      - .offset:         112
        .size:           2
        .value_kind:     hidden_grid_dims
    .group_segment_fixed_size: 0
    .kernarg_segment_align: 8
    .kernarg_segment_size: 304
    .language:       OpenCL C
    .language_version:
      - 2
      - 0
    .max_flat_workgroup_size: 1024
    .name:           _ZN5aiter23act_and_mul_bias_kernelIfDF16_hfTnPFfRKT2_EXadL_ZNS_11silu_kernelIfEEfRKT_EELi2EEEvPT0_PS8_PKT1_PS2_il
    .private_segment_fixed_size: 0
    .sgpr_count:     40
    .sgpr_spill_count: 0
    .symbol:         _ZN5aiter23act_and_mul_bias_kernelIfDF16_hfTnPFfRKT2_EXadL_ZNS_11silu_kernelIfEEfRKT_EELi2EEEvPT0_PS8_PKT1_PS2_il.kd
    .uniform_work_group_size: 1
    .uses_dynamic_stack: false
    .vgpr_count:     14
    .vgpr_spill_count: 0
    .wavefront_size: 64
  - .agpr_count:     0
    .args:
      - .actual_access:  write_only
        .address_space:  global
        .offset:         0
        .size:           8
        .value_kind:     global_buffer
      - .actual_access:  read_only
        .address_space:  global
        .offset:         8
        .size:           8
        .value_kind:     global_buffer
      - .actual_access:  read_only
        .address_space:  global
        .offset:         16
        .size:           8
        .value_kind:     global_buffer
      - .actual_access:  read_only
        .address_space:  global
        .offset:         24
        .size:           8
        .value_kind:     global_buffer
      - .offset:         32
        .size:           4
        .value_kind:     by_value
      - .offset:         40
        .size:           8
        .value_kind:     by_value
      - .offset:         48
        .size:           4
        .value_kind:     hidden_block_count_x
      - .offset:         52
        .size:           4
        .value_kind:     hidden_block_count_y
      - .offset:         56
        .size:           4
        .value_kind:     hidden_block_count_z
      - .offset:         60
        .size:           2
        .value_kind:     hidden_group_size_x
      - .offset:         62
        .size:           2
        .value_kind:     hidden_group_size_y
      - .offset:         64
        .size:           2
        .value_kind:     hidden_group_size_z
      - .offset:         66
        .size:           2
        .value_kind:     hidden_remainder_x
      - .offset:         68
        .size:           2
        .value_kind:     hidden_remainder_y
      - .offset:         70
        .size:           2
        .value_kind:     hidden_remainder_z
      - .offset:         88
        .size:           8
        .value_kind:     hidden_global_offset_x
      - .offset:         96
        .size:           8
        .value_kind:     hidden_global_offset_y
      - .offset:         104
        .size:           8
        .value_kind:     hidden_global_offset_z
      - .offset:         112
        .size:           2
        .value_kind:     hidden_grid_dims
    .group_segment_fixed_size: 0
    .kernarg_segment_align: 8
    .kernarg_segment_size: 304
    .language:       OpenCL C
    .language_version:
      - 2
      - 0
    .max_flat_workgroup_size: 1024
    .name:           _ZN5aiter23act_and_mul_bias_kernelIfDF16_hfTnPFfRKT2_EXadL_ZNS_11silu_kernelIfEEfRKT_EELi1EEEvPT0_PS8_PKT1_PS2_il
    .private_segment_fixed_size: 0
    .sgpr_count:     37
    .sgpr_spill_count: 0
    .symbol:         _ZN5aiter23act_and_mul_bias_kernelIfDF16_hfTnPFfRKT2_EXadL_ZNS_11silu_kernelIfEEfRKT_EELi1EEEvPT0_PS8_PKT1_PS2_il.kd
    .uniform_work_group_size: 1
    .uses_dynamic_stack: false
    .vgpr_count:     10
    .vgpr_spill_count: 0
    .wavefront_size: 64
  - .agpr_count:     0
    .args:
      - .actual_access:  write_only
        .address_space:  global
        .offset:         0
        .size:           8
        .value_kind:     global_buffer
      - .actual_access:  read_only
        .address_space:  global
        .offset:         8
        .size:           8
        .value_kind:     global_buffer
      - .actual_access:  read_only
        .address_space:  global
        .offset:         16
        .size:           8
        .value_kind:     global_buffer
      - .actual_access:  read_only
        .address_space:  global
        .offset:         24
        .size:           8
        .value_kind:     global_buffer
      - .offset:         32
        .size:           4
        .value_kind:     by_value
      - .offset:         40
        .size:           8
        .value_kind:     by_value
      - .offset:         48
        .size:           4
        .value_kind:     hidden_block_count_x
      - .offset:         52
        .size:           4
        .value_kind:     hidden_block_count_y
      - .offset:         56
        .size:           4
        .value_kind:     hidden_block_count_z
      - .offset:         60
        .size:           2
        .value_kind:     hidden_group_size_x
      - .offset:         62
        .size:           2
        .value_kind:     hidden_group_size_y
      - .offset:         64
        .size:           2
        .value_kind:     hidden_group_size_z
      - .offset:         66
        .size:           2
        .value_kind:     hidden_remainder_x
      - .offset:         68
        .size:           2
        .value_kind:     hidden_remainder_y
      - .offset:         70
        .size:           2
        .value_kind:     hidden_remainder_z
      - .offset:         88
        .size:           8
        .value_kind:     hidden_global_offset_x
      - .offset:         96
        .size:           8
        .value_kind:     hidden_global_offset_y
      - .offset:         104
        .size:           8
        .value_kind:     hidden_global_offset_z
      - .offset:         112
        .size:           2
        .value_kind:     hidden_grid_dims
    .group_segment_fixed_size: 0
    .kernarg_segment_align: 8
    .kernarg_segment_size: 304
    .language:       OpenCL C
    .language_version:
      - 2
      - 0
    .max_flat_workgroup_size: 1024
    .name:           _ZN5aiter23act_and_mul_bias_kernelIffhfTnPFfRKT2_EXadL_ZNS_11silu_kernelIfEEfRKT_EELi16EEEvPT0_PS8_PKT1_PS2_il
    .private_segment_fixed_size: 0
    .sgpr_count:     68
    .sgpr_spill_count: 0
    .symbol:         _ZN5aiter23act_and_mul_bias_kernelIffhfTnPFfRKT2_EXadL_ZNS_11silu_kernelIfEEfRKT_EELi16EEEvPT0_PS8_PKT1_PS2_il.kd
    .uniform_work_group_size: 1
    .uses_dynamic_stack: false
    .vgpr_count:     69
    .vgpr_spill_count: 0
    .wavefront_size: 64
  - .agpr_count:     0
    .args:
      - .actual_access:  write_only
        .address_space:  global
        .offset:         0
        .size:           8
        .value_kind:     global_buffer
      - .actual_access:  read_only
        .address_space:  global
        .offset:         8
        .size:           8
        .value_kind:     global_buffer
      - .actual_access:  read_only
        .address_space:  global
        .offset:         16
        .size:           8
        .value_kind:     global_buffer
      - .actual_access:  read_only
        .address_space:  global
        .offset:         24
        .size:           8
        .value_kind:     global_buffer
      - .offset:         32
        .size:           4
        .value_kind:     by_value
      - .offset:         40
        .size:           8
        .value_kind:     by_value
      - .offset:         48
        .size:           4
        .value_kind:     hidden_block_count_x
      - .offset:         52
        .size:           4
        .value_kind:     hidden_block_count_y
      - .offset:         56
        .size:           4
        .value_kind:     hidden_block_count_z
      - .offset:         60
        .size:           2
        .value_kind:     hidden_group_size_x
      - .offset:         62
        .size:           2
        .value_kind:     hidden_group_size_y
      - .offset:         64
        .size:           2
        .value_kind:     hidden_group_size_z
      - .offset:         66
        .size:           2
        .value_kind:     hidden_remainder_x
      - .offset:         68
        .size:           2
        .value_kind:     hidden_remainder_y
      - .offset:         70
        .size:           2
        .value_kind:     hidden_remainder_z
      - .offset:         88
        .size:           8
        .value_kind:     hidden_global_offset_x
      - .offset:         96
        .size:           8
        .value_kind:     hidden_global_offset_y
      - .offset:         104
        .size:           8
        .value_kind:     hidden_global_offset_z
      - .offset:         112
        .size:           2
        .value_kind:     hidden_grid_dims
    .group_segment_fixed_size: 0
    .kernarg_segment_align: 8
    .kernarg_segment_size: 304
    .language:       OpenCL C
    .language_version:
      - 2
      - 0
    .max_flat_workgroup_size: 1024
    .name:           _ZN5aiter23act_and_mul_bias_kernelIffhfTnPFfRKT2_EXadL_ZNS_11silu_kernelIfEEfRKT_EELi8EEEvPT0_PS8_PKT1_PS2_il
    .private_segment_fixed_size: 0
    .sgpr_count:     52
    .sgpr_spill_count: 0
    .symbol:         _ZN5aiter23act_and_mul_bias_kernelIffhfTnPFfRKT2_EXadL_ZNS_11silu_kernelIfEEfRKT_EELi8EEEvPT0_PS8_PKT1_PS2_il.kd
    .uniform_work_group_size: 1
    .uses_dynamic_stack: false
    .vgpr_count:     44
    .vgpr_spill_count: 0
    .wavefront_size: 64
  - .agpr_count:     0
    .args:
      - .actual_access:  write_only
        .address_space:  global
        .offset:         0
        .size:           8
        .value_kind:     global_buffer
      - .actual_access:  read_only
        .address_space:  global
        .offset:         8
        .size:           8
        .value_kind:     global_buffer
      - .actual_access:  read_only
        .address_space:  global
        .offset:         16
        .size:           8
        .value_kind:     global_buffer
      - .actual_access:  read_only
        .address_space:  global
        .offset:         24
        .size:           8
        .value_kind:     global_buffer
      - .offset:         32
        .size:           4
        .value_kind:     by_value
      - .offset:         40
        .size:           8
        .value_kind:     by_value
      - .offset:         48
        .size:           4
        .value_kind:     hidden_block_count_x
      - .offset:         52
        .size:           4
        .value_kind:     hidden_block_count_y
      - .offset:         56
        .size:           4
        .value_kind:     hidden_block_count_z
      - .offset:         60
        .size:           2
        .value_kind:     hidden_group_size_x
      - .offset:         62
        .size:           2
        .value_kind:     hidden_group_size_y
      - .offset:         64
        .size:           2
        .value_kind:     hidden_group_size_z
      - .offset:         66
        .size:           2
        .value_kind:     hidden_remainder_x
      - .offset:         68
        .size:           2
        .value_kind:     hidden_remainder_y
      - .offset:         70
        .size:           2
        .value_kind:     hidden_remainder_z
      - .offset:         88
        .size:           8
        .value_kind:     hidden_global_offset_x
      - .offset:         96
        .size:           8
        .value_kind:     hidden_global_offset_y
      - .offset:         104
        .size:           8
        .value_kind:     hidden_global_offset_z
      - .offset:         112
        .size:           2
        .value_kind:     hidden_grid_dims
    .group_segment_fixed_size: 0
    .kernarg_segment_align: 8
    .kernarg_segment_size: 304
    .language:       OpenCL C
    .language_version:
      - 2
      - 0
    .max_flat_workgroup_size: 1024
    .name:           _ZN5aiter23act_and_mul_bias_kernelIffhfTnPFfRKT2_EXadL_ZNS_11silu_kernelIfEEfRKT_EELi4EEEvPT0_PS8_PKT1_PS2_il
    .private_segment_fixed_size: 0
    .sgpr_count:     44
    .sgpr_spill_count: 0
    .symbol:         _ZN5aiter23act_and_mul_bias_kernelIffhfTnPFfRKT2_EXadL_ZNS_11silu_kernelIfEEfRKT_EELi4EEEvPT0_PS8_PKT1_PS2_il.kd
    .uniform_work_group_size: 1
    .uses_dynamic_stack: false
    .vgpr_count:     24
    .vgpr_spill_count: 0
    .wavefront_size: 64
  - .agpr_count:     0
    .args:
      - .actual_access:  write_only
        .address_space:  global
        .offset:         0
        .size:           8
        .value_kind:     global_buffer
      - .actual_access:  read_only
        .address_space:  global
        .offset:         8
        .size:           8
        .value_kind:     global_buffer
      - .actual_access:  read_only
        .address_space:  global
        .offset:         16
        .size:           8
        .value_kind:     global_buffer
      - .actual_access:  read_only
        .address_space:  global
        .offset:         24
        .size:           8
        .value_kind:     global_buffer
      - .offset:         32
        .size:           4
        .value_kind:     by_value
      - .offset:         40
        .size:           8
        .value_kind:     by_value
      - .offset:         48
        .size:           4
        .value_kind:     hidden_block_count_x
      - .offset:         52
        .size:           4
        .value_kind:     hidden_block_count_y
      - .offset:         56
        .size:           4
        .value_kind:     hidden_block_count_z
      - .offset:         60
        .size:           2
        .value_kind:     hidden_group_size_x
      - .offset:         62
        .size:           2
        .value_kind:     hidden_group_size_y
      - .offset:         64
        .size:           2
        .value_kind:     hidden_group_size_z
      - .offset:         66
        .size:           2
        .value_kind:     hidden_remainder_x
      - .offset:         68
        .size:           2
        .value_kind:     hidden_remainder_y
      - .offset:         70
        .size:           2
        .value_kind:     hidden_remainder_z
      - .offset:         88
        .size:           8
        .value_kind:     hidden_global_offset_x
      - .offset:         96
        .size:           8
        .value_kind:     hidden_global_offset_y
      - .offset:         104
        .size:           8
        .value_kind:     hidden_global_offset_z
      - .offset:         112
        .size:           2
        .value_kind:     hidden_grid_dims
    .group_segment_fixed_size: 0
    .kernarg_segment_align: 8
    .kernarg_segment_size: 304
    .language:       OpenCL C
    .language_version:
      - 2
      - 0
    .max_flat_workgroup_size: 1024
    .name:           _ZN5aiter23act_and_mul_bias_kernelIffhfTnPFfRKT2_EXadL_ZNS_11silu_kernelIfEEfRKT_EELi2EEEvPT0_PS8_PKT1_PS2_il
    .private_segment_fixed_size: 0
    .sgpr_count:     40
    .sgpr_spill_count: 0
    .symbol:         _ZN5aiter23act_and_mul_bias_kernelIffhfTnPFfRKT2_EXadL_ZNS_11silu_kernelIfEEfRKT_EELi2EEEvPT0_PS8_PKT1_PS2_il.kd
    .uniform_work_group_size: 1
    .uses_dynamic_stack: false
    .vgpr_count:     16
    .vgpr_spill_count: 0
    .wavefront_size: 64
  - .agpr_count:     0
    .args:
      - .actual_access:  write_only
        .address_space:  global
        .offset:         0
        .size:           8
        .value_kind:     global_buffer
      - .actual_access:  read_only
        .address_space:  global
        .offset:         8
        .size:           8
        .value_kind:     global_buffer
      - .actual_access:  read_only
        .address_space:  global
        .offset:         16
        .size:           8
        .value_kind:     global_buffer
      - .actual_access:  read_only
        .address_space:  global
        .offset:         24
        .size:           8
        .value_kind:     global_buffer
      - .offset:         32
        .size:           4
        .value_kind:     by_value
      - .offset:         40
        .size:           8
        .value_kind:     by_value
      - .offset:         48
        .size:           4
        .value_kind:     hidden_block_count_x
      - .offset:         52
        .size:           4
        .value_kind:     hidden_block_count_y
      - .offset:         56
        .size:           4
        .value_kind:     hidden_block_count_z
      - .offset:         60
        .size:           2
        .value_kind:     hidden_group_size_x
      - .offset:         62
        .size:           2
        .value_kind:     hidden_group_size_y
      - .offset:         64
        .size:           2
        .value_kind:     hidden_group_size_z
      - .offset:         66
        .size:           2
        .value_kind:     hidden_remainder_x
      - .offset:         68
        .size:           2
        .value_kind:     hidden_remainder_y
      - .offset:         70
        .size:           2
        .value_kind:     hidden_remainder_z
      - .offset:         88
        .size:           8
        .value_kind:     hidden_global_offset_x
      - .offset:         96
        .size:           8
        .value_kind:     hidden_global_offset_y
      - .offset:         104
        .size:           8
        .value_kind:     hidden_global_offset_z
      - .offset:         112
        .size:           2
        .value_kind:     hidden_grid_dims
    .group_segment_fixed_size: 0
    .kernarg_segment_align: 8
    .kernarg_segment_size: 304
    .language:       OpenCL C
    .language_version:
      - 2
      - 0
    .max_flat_workgroup_size: 1024
    .name:           _ZN5aiter23act_and_mul_bias_kernelIffhfTnPFfRKT2_EXadL_ZNS_11silu_kernelIfEEfRKT_EELi1EEEvPT0_PS8_PKT1_PS2_il
    .private_segment_fixed_size: 0
    .sgpr_count:     36
    .sgpr_spill_count: 0
    .symbol:         _ZN5aiter23act_and_mul_bias_kernelIffhfTnPFfRKT2_EXadL_ZNS_11silu_kernelIfEEfRKT_EELi1EEEvPT0_PS8_PKT1_PS2_il.kd
    .uniform_work_group_size: 1
    .uses_dynamic_stack: false
    .vgpr_count:     9
    .vgpr_spill_count: 0
    .wavefront_size: 64
  - .agpr_count:     0
    .args:
      - .actual_access:  write_only
        .address_space:  global
        .offset:         0
        .size:           8
        .value_kind:     global_buffer
      - .actual_access:  read_only
        .address_space:  global
        .offset:         8
        .size:           8
        .value_kind:     global_buffer
      - .actual_access:  read_only
        .address_space:  global
        .offset:         16
        .size:           8
        .value_kind:     global_buffer
      - .actual_access:  read_only
        .address_space:  global
        .offset:         24
        .size:           8
        .value_kind:     global_buffer
      - .offset:         32
        .size:           4
        .value_kind:     by_value
      - .offset:         40
        .size:           8
        .value_kind:     by_value
      - .offset:         48
        .size:           4
        .value_kind:     hidden_block_count_x
      - .offset:         52
        .size:           4
        .value_kind:     hidden_block_count_y
      - .offset:         56
        .size:           4
        .value_kind:     hidden_block_count_z
      - .offset:         60
        .size:           2
        .value_kind:     hidden_group_size_x
      - .offset:         62
        .size:           2
        .value_kind:     hidden_group_size_y
      - .offset:         64
        .size:           2
        .value_kind:     hidden_group_size_z
      - .offset:         66
        .size:           2
        .value_kind:     hidden_remainder_x
      - .offset:         68
        .size:           2
        .value_kind:     hidden_remainder_y
      - .offset:         70
        .size:           2
        .value_kind:     hidden_remainder_z
      - .offset:         88
        .size:           8
        .value_kind:     hidden_global_offset_x
      - .offset:         96
        .size:           8
        .value_kind:     hidden_global_offset_y
      - .offset:         104
        .size:           8
        .value_kind:     hidden_global_offset_z
      - .offset:         112
        .size:           2
        .value_kind:     hidden_grid_dims
    .group_segment_fixed_size: 0
    .kernarg_segment_align: 8
    .kernarg_segment_size: 304
    .language:       OpenCL C
    .language_version:
      - 2
      - 0
    .max_flat_workgroup_size: 1024
    .name:           _ZN5aiter23act_and_mul_bias_kernelIDF16_DF16_hfTnPFfRKT2_EXadL_ZNS_11silu_kernelIfEEfRKT_EELi32EEEvPT0_PS8_PKT1_PS2_il
    .private_segment_fixed_size: 0
    .sgpr_count:     47
    .sgpr_spill_count: 0
    .symbol:         _ZN5aiter23act_and_mul_bias_kernelIDF16_DF16_hfTnPFfRKT2_EXadL_ZNS_11silu_kernelIfEEfRKT_EELi32EEEvPT0_PS8_PKT1_PS2_il.kd
    .uniform_work_group_size: 1
    .uses_dynamic_stack: false
    .vgpr_count:     83
    .vgpr_spill_count: 0
    .wavefront_size: 64
  - .agpr_count:     0
    .args:
      - .actual_access:  write_only
        .address_space:  global
        .offset:         0
        .size:           8
        .value_kind:     global_buffer
      - .actual_access:  read_only
        .address_space:  global
        .offset:         8
        .size:           8
        .value_kind:     global_buffer
      - .actual_access:  read_only
        .address_space:  global
        .offset:         16
        .size:           8
        .value_kind:     global_buffer
      - .actual_access:  read_only
        .address_space:  global
        .offset:         24
        .size:           8
        .value_kind:     global_buffer
      - .offset:         32
        .size:           4
        .value_kind:     by_value
      - .offset:         40
        .size:           8
        .value_kind:     by_value
      - .offset:         48
        .size:           4
        .value_kind:     hidden_block_count_x
      - .offset:         52
        .size:           4
        .value_kind:     hidden_block_count_y
      - .offset:         56
        .size:           4
        .value_kind:     hidden_block_count_z
      - .offset:         60
        .size:           2
        .value_kind:     hidden_group_size_x
      - .offset:         62
        .size:           2
        .value_kind:     hidden_group_size_y
      - .offset:         64
        .size:           2
        .value_kind:     hidden_group_size_z
      - .offset:         66
        .size:           2
        .value_kind:     hidden_remainder_x
      - .offset:         68
        .size:           2
        .value_kind:     hidden_remainder_y
      - .offset:         70
        .size:           2
        .value_kind:     hidden_remainder_z
      - .offset:         88
        .size:           8
        .value_kind:     hidden_global_offset_x
      - .offset:         96
        .size:           8
        .value_kind:     hidden_global_offset_y
      - .offset:         104
        .size:           8
        .value_kind:     hidden_global_offset_z
      - .offset:         112
        .size:           2
        .value_kind:     hidden_grid_dims
    .group_segment_fixed_size: 0
    .kernarg_segment_align: 8
    .kernarg_segment_size: 304
    .language:       OpenCL C
    .language_version:
      - 2
      - 0
    .max_flat_workgroup_size: 1024
    .name:           _ZN5aiter23act_and_mul_bias_kernelIDF16_DF16_hfTnPFfRKT2_EXadL_ZNS_11silu_kernelIfEEfRKT_EELi16EEEvPT0_PS8_PKT1_PS2_il
    .private_segment_fixed_size: 0
    .sgpr_count:     37
    .sgpr_spill_count: 0
    .symbol:         _ZN5aiter23act_and_mul_bias_kernelIDF16_DF16_hfTnPFfRKT2_EXadL_ZNS_11silu_kernelIfEEfRKT_EELi16EEEvPT0_PS8_PKT1_PS2_il.kd
    .uniform_work_group_size: 1
    .uses_dynamic_stack: false
    .vgpr_count:     54
    .vgpr_spill_count: 0
    .wavefront_size: 64
  - .agpr_count:     0
    .args:
      - .actual_access:  write_only
        .address_space:  global
        .offset:         0
        .size:           8
        .value_kind:     global_buffer
      - .actual_access:  read_only
        .address_space:  global
        .offset:         8
        .size:           8
        .value_kind:     global_buffer
      - .actual_access:  read_only
        .address_space:  global
        .offset:         16
        .size:           8
        .value_kind:     global_buffer
      - .actual_access:  read_only
        .address_space:  global
        .offset:         24
        .size:           8
        .value_kind:     global_buffer
      - .offset:         32
        .size:           4
        .value_kind:     by_value
      - .offset:         40
        .size:           8
        .value_kind:     by_value
      - .offset:         48
        .size:           4
        .value_kind:     hidden_block_count_x
      - .offset:         52
        .size:           4
        .value_kind:     hidden_block_count_y
      - .offset:         56
        .size:           4
        .value_kind:     hidden_block_count_z
      - .offset:         60
        .size:           2
        .value_kind:     hidden_group_size_x
      - .offset:         62
        .size:           2
        .value_kind:     hidden_group_size_y
      - .offset:         64
        .size:           2
        .value_kind:     hidden_group_size_z
      - .offset:         66
        .size:           2
        .value_kind:     hidden_remainder_x
      - .offset:         68
        .size:           2
        .value_kind:     hidden_remainder_y
      - .offset:         70
        .size:           2
        .value_kind:     hidden_remainder_z
      - .offset:         88
        .size:           8
        .value_kind:     hidden_global_offset_x
      - .offset:         96
        .size:           8
        .value_kind:     hidden_global_offset_y
      - .offset:         104
        .size:           8
        .value_kind:     hidden_global_offset_z
      - .offset:         112
        .size:           2
        .value_kind:     hidden_grid_dims
    .group_segment_fixed_size: 0
    .kernarg_segment_align: 8
    .kernarg_segment_size: 304
    .language:       OpenCL C
    .language_version:
      - 2
      - 0
    .max_flat_workgroup_size: 1024
    .name:           _ZN5aiter23act_and_mul_bias_kernelIDF16_DF16_hfTnPFfRKT2_EXadL_ZNS_11silu_kernelIfEEfRKT_EELi8EEEvPT0_PS8_PKT1_PS2_il
    .private_segment_fixed_size: 0
    .sgpr_count:     52
    .sgpr_spill_count: 0
    .symbol:         _ZN5aiter23act_and_mul_bias_kernelIDF16_DF16_hfTnPFfRKT2_EXadL_ZNS_11silu_kernelIfEEfRKT_EELi8EEEvPT0_PS8_PKT1_PS2_il.kd
    .uniform_work_group_size: 1
    .uses_dynamic_stack: false
    .vgpr_count:     44
    .vgpr_spill_count: 0
    .wavefront_size: 64
  - .agpr_count:     0
    .args:
      - .actual_access:  write_only
        .address_space:  global
        .offset:         0
        .size:           8
        .value_kind:     global_buffer
      - .actual_access:  read_only
        .address_space:  global
        .offset:         8
        .size:           8
        .value_kind:     global_buffer
      - .actual_access:  read_only
        .address_space:  global
        .offset:         16
        .size:           8
        .value_kind:     global_buffer
      - .actual_access:  read_only
        .address_space:  global
        .offset:         24
        .size:           8
        .value_kind:     global_buffer
      - .offset:         32
        .size:           4
        .value_kind:     by_value
      - .offset:         40
        .size:           8
        .value_kind:     by_value
      - .offset:         48
        .size:           4
        .value_kind:     hidden_block_count_x
      - .offset:         52
        .size:           4
        .value_kind:     hidden_block_count_y
      - .offset:         56
        .size:           4
        .value_kind:     hidden_block_count_z
      - .offset:         60
        .size:           2
        .value_kind:     hidden_group_size_x
      - .offset:         62
        .size:           2
        .value_kind:     hidden_group_size_y
      - .offset:         64
        .size:           2
        .value_kind:     hidden_group_size_z
      - .offset:         66
        .size:           2
        .value_kind:     hidden_remainder_x
      - .offset:         68
        .size:           2
        .value_kind:     hidden_remainder_y
      - .offset:         70
        .size:           2
        .value_kind:     hidden_remainder_z
      - .offset:         88
        .size:           8
        .value_kind:     hidden_global_offset_x
      - .offset:         96
        .size:           8
        .value_kind:     hidden_global_offset_y
      - .offset:         104
        .size:           8
        .value_kind:     hidden_global_offset_z
      - .offset:         112
        .size:           2
        .value_kind:     hidden_grid_dims
    .group_segment_fixed_size: 0
    .kernarg_segment_align: 8
    .kernarg_segment_size: 304
    .language:       OpenCL C
    .language_version:
      - 2
      - 0
    .max_flat_workgroup_size: 1024
    .name:           _ZN5aiter23act_and_mul_bias_kernelIDF16_DF16_hfTnPFfRKT2_EXadL_ZNS_11silu_kernelIfEEfRKT_EELi4EEEvPT0_PS8_PKT1_PS2_il
    .private_segment_fixed_size: 0
    .sgpr_count:     44
    .sgpr_spill_count: 0
    .symbol:         _ZN5aiter23act_and_mul_bias_kernelIDF16_DF16_hfTnPFfRKT2_EXadL_ZNS_11silu_kernelIfEEfRKT_EELi4EEEvPT0_PS8_PKT1_PS2_il.kd
    .uniform_work_group_size: 1
    .uses_dynamic_stack: false
    .vgpr_count:     24
    .vgpr_spill_count: 0
    .wavefront_size: 64
  - .agpr_count:     0
    .args:
      - .actual_access:  write_only
        .address_space:  global
        .offset:         0
        .size:           8
        .value_kind:     global_buffer
      - .actual_access:  read_only
        .address_space:  global
        .offset:         8
        .size:           8
        .value_kind:     global_buffer
      - .actual_access:  read_only
        .address_space:  global
        .offset:         16
        .size:           8
        .value_kind:     global_buffer
      - .actual_access:  read_only
        .address_space:  global
        .offset:         24
        .size:           8
        .value_kind:     global_buffer
      - .offset:         32
        .size:           4
        .value_kind:     by_value
      - .offset:         40
        .size:           8
        .value_kind:     by_value
      - .offset:         48
        .size:           4
        .value_kind:     hidden_block_count_x
      - .offset:         52
        .size:           4
        .value_kind:     hidden_block_count_y
      - .offset:         56
        .size:           4
        .value_kind:     hidden_block_count_z
      - .offset:         60
        .size:           2
        .value_kind:     hidden_group_size_x
      - .offset:         62
        .size:           2
        .value_kind:     hidden_group_size_y
      - .offset:         64
        .size:           2
        .value_kind:     hidden_group_size_z
      - .offset:         66
        .size:           2
        .value_kind:     hidden_remainder_x
      - .offset:         68
        .size:           2
        .value_kind:     hidden_remainder_y
      - .offset:         70
        .size:           2
        .value_kind:     hidden_remainder_z
      - .offset:         88
        .size:           8
        .value_kind:     hidden_global_offset_x
      - .offset:         96
        .size:           8
        .value_kind:     hidden_global_offset_y
      - .offset:         104
        .size:           8
        .value_kind:     hidden_global_offset_z
      - .offset:         112
        .size:           2
        .value_kind:     hidden_grid_dims
    .group_segment_fixed_size: 0
    .kernarg_segment_align: 8
    .kernarg_segment_size: 304
    .language:       OpenCL C
    .language_version:
      - 2
      - 0
    .max_flat_workgroup_size: 1024
    .name:           _ZN5aiter23act_and_mul_bias_kernelIDF16_DF16_hfTnPFfRKT2_EXadL_ZNS_11silu_kernelIfEEfRKT_EELi2EEEvPT0_PS8_PKT1_PS2_il
    .private_segment_fixed_size: 0
    .sgpr_count:     40
    .sgpr_spill_count: 0
    .symbol:         _ZN5aiter23act_and_mul_bias_kernelIDF16_DF16_hfTnPFfRKT2_EXadL_ZNS_11silu_kernelIfEEfRKT_EELi2EEEvPT0_PS8_PKT1_PS2_il.kd
    .uniform_work_group_size: 1
    .uses_dynamic_stack: false
    .vgpr_count:     14
    .vgpr_spill_count: 0
    .wavefront_size: 64
  - .agpr_count:     0
    .args:
      - .actual_access:  write_only
        .address_space:  global
        .offset:         0
        .size:           8
        .value_kind:     global_buffer
      - .actual_access:  read_only
        .address_space:  global
        .offset:         8
        .size:           8
        .value_kind:     global_buffer
      - .actual_access:  read_only
        .address_space:  global
        .offset:         16
        .size:           8
        .value_kind:     global_buffer
      - .actual_access:  read_only
        .address_space:  global
        .offset:         24
        .size:           8
        .value_kind:     global_buffer
      - .offset:         32
        .size:           4
        .value_kind:     by_value
      - .offset:         40
        .size:           8
        .value_kind:     by_value
      - .offset:         48
        .size:           4
        .value_kind:     hidden_block_count_x
      - .offset:         52
        .size:           4
        .value_kind:     hidden_block_count_y
      - .offset:         56
        .size:           4
        .value_kind:     hidden_block_count_z
      - .offset:         60
        .size:           2
        .value_kind:     hidden_group_size_x
      - .offset:         62
        .size:           2
        .value_kind:     hidden_group_size_y
      - .offset:         64
        .size:           2
        .value_kind:     hidden_group_size_z
      - .offset:         66
        .size:           2
        .value_kind:     hidden_remainder_x
      - .offset:         68
        .size:           2
        .value_kind:     hidden_remainder_y
      - .offset:         70
        .size:           2
        .value_kind:     hidden_remainder_z
      - .offset:         88
        .size:           8
        .value_kind:     hidden_global_offset_x
      - .offset:         96
        .size:           8
        .value_kind:     hidden_global_offset_y
      - .offset:         104
        .size:           8
        .value_kind:     hidden_global_offset_z
      - .offset:         112
        .size:           2
        .value_kind:     hidden_grid_dims
    .group_segment_fixed_size: 0
    .kernarg_segment_align: 8
    .kernarg_segment_size: 304
    .language:       OpenCL C
    .language_version:
      - 2
      - 0
    .max_flat_workgroup_size: 1024
    .name:           _ZN5aiter23act_and_mul_bias_kernelIDF16_DF16_hfTnPFfRKT2_EXadL_ZNS_11silu_kernelIfEEfRKT_EELi1EEEvPT0_PS8_PKT1_PS2_il
    .private_segment_fixed_size: 0
    .sgpr_count:     37
    .sgpr_spill_count: 0
    .symbol:         _ZN5aiter23act_and_mul_bias_kernelIDF16_DF16_hfTnPFfRKT2_EXadL_ZNS_11silu_kernelIfEEfRKT_EELi1EEEvPT0_PS8_PKT1_PS2_il.kd
    .uniform_work_group_size: 1
    .uses_dynamic_stack: false
    .vgpr_count:     10
    .vgpr_spill_count: 0
    .wavefront_size: 64
  - .agpr_count:     0
    .args:
      - .actual_access:  write_only
        .address_space:  global
        .offset:         0
        .size:           8
        .value_kind:     global_buffer
      - .actual_access:  read_only
        .address_space:  global
        .offset:         8
        .size:           8
        .value_kind:     global_buffer
      - .actual_access:  read_only
        .address_space:  global
        .offset:         16
        .size:           8
        .value_kind:     global_buffer
      - .actual_access:  read_only
        .address_space:  global
        .offset:         24
        .size:           8
        .value_kind:     global_buffer
      - .offset:         32
        .size:           4
        .value_kind:     by_value
      - .offset:         40
        .size:           8
        .value_kind:     by_value
      - .offset:         48
        .size:           4
        .value_kind:     hidden_block_count_x
      - .offset:         52
        .size:           4
        .value_kind:     hidden_block_count_y
      - .offset:         56
        .size:           4
        .value_kind:     hidden_block_count_z
      - .offset:         60
        .size:           2
        .value_kind:     hidden_group_size_x
      - .offset:         62
        .size:           2
        .value_kind:     hidden_group_size_y
      - .offset:         64
        .size:           2
        .value_kind:     hidden_group_size_z
      - .offset:         66
        .size:           2
        .value_kind:     hidden_remainder_x
      - .offset:         68
        .size:           2
        .value_kind:     hidden_remainder_y
      - .offset:         70
        .size:           2
        .value_kind:     hidden_remainder_z
      - .offset:         88
        .size:           8
        .value_kind:     hidden_global_offset_x
      - .offset:         96
        .size:           8
        .value_kind:     hidden_global_offset_y
      - .offset:         104
        .size:           8
        .value_kind:     hidden_global_offset_z
      - .offset:         112
        .size:           2
        .value_kind:     hidden_grid_dims
    .group_segment_fixed_size: 0
    .kernarg_segment_align: 8
    .kernarg_segment_size: 304
    .language:       OpenCL C
    .language_version:
      - 2
      - 0
    .max_flat_workgroup_size: 1024
    .name:           _ZN5aiter23act_and_mul_bias_kernelItthfTnPFfRKT2_EXadL_ZNS_11silu_kernelIfEEfRKT_EELi32EEEvPT0_PS8_PKT1_PS2_il
    .private_segment_fixed_size: 0
    .sgpr_count:     48
    .sgpr_spill_count: 0
    .symbol:         _ZN5aiter23act_and_mul_bias_kernelItthfTnPFfRKT2_EXadL_ZNS_11silu_kernelIfEEfRKT_EELi32EEEvPT0_PS8_PKT1_PS2_il.kd
    .uniform_work_group_size: 1
    .uses_dynamic_stack: false
    .vgpr_count:     83
    .vgpr_spill_count: 0
    .wavefront_size: 64
  - .agpr_count:     0
    .args:
      - .actual_access:  write_only
        .address_space:  global
        .offset:         0
        .size:           8
        .value_kind:     global_buffer
      - .actual_access:  read_only
        .address_space:  global
        .offset:         8
        .size:           8
        .value_kind:     global_buffer
      - .actual_access:  read_only
        .address_space:  global
        .offset:         16
        .size:           8
        .value_kind:     global_buffer
      - .actual_access:  read_only
        .address_space:  global
        .offset:         24
        .size:           8
        .value_kind:     global_buffer
      - .offset:         32
        .size:           4
        .value_kind:     by_value
      - .offset:         40
        .size:           8
        .value_kind:     by_value
      - .offset:         48
        .size:           4
        .value_kind:     hidden_block_count_x
      - .offset:         52
        .size:           4
        .value_kind:     hidden_block_count_y
      - .offset:         56
        .size:           4
        .value_kind:     hidden_block_count_z
      - .offset:         60
        .size:           2
        .value_kind:     hidden_group_size_x
      - .offset:         62
        .size:           2
        .value_kind:     hidden_group_size_y
      - .offset:         64
        .size:           2
        .value_kind:     hidden_group_size_z
      - .offset:         66
        .size:           2
        .value_kind:     hidden_remainder_x
      - .offset:         68
        .size:           2
        .value_kind:     hidden_remainder_y
      - .offset:         70
        .size:           2
        .value_kind:     hidden_remainder_z
      - .offset:         88
        .size:           8
        .value_kind:     hidden_global_offset_x
      - .offset:         96
        .size:           8
        .value_kind:     hidden_global_offset_y
      - .offset:         104
        .size:           8
        .value_kind:     hidden_global_offset_z
      - .offset:         112
        .size:           2
        .value_kind:     hidden_grid_dims
    .group_segment_fixed_size: 0
    .kernarg_segment_align: 8
    .kernarg_segment_size: 304
    .language:       OpenCL C
    .language_version:
      - 2
      - 0
    .max_flat_workgroup_size: 1024
    .name:           _ZN5aiter23act_and_mul_bias_kernelItthfTnPFfRKT2_EXadL_ZNS_11silu_kernelIfEEfRKT_EELi16EEEvPT0_PS8_PKT1_PS2_il
    .private_segment_fixed_size: 0
    .sgpr_count:     38
    .sgpr_spill_count: 0
    .symbol:         _ZN5aiter23act_and_mul_bias_kernelItthfTnPFfRKT2_EXadL_ZNS_11silu_kernelIfEEfRKT_EELi16EEEvPT0_PS8_PKT1_PS2_il.kd
    .uniform_work_group_size: 1
    .uses_dynamic_stack: false
    .vgpr_count:     54
    .vgpr_spill_count: 0
    .wavefront_size: 64
  - .agpr_count:     0
    .args:
      - .actual_access:  write_only
        .address_space:  global
        .offset:         0
        .size:           8
        .value_kind:     global_buffer
      - .actual_access:  read_only
        .address_space:  global
        .offset:         8
        .size:           8
        .value_kind:     global_buffer
      - .actual_access:  read_only
        .address_space:  global
        .offset:         16
        .size:           8
        .value_kind:     global_buffer
      - .actual_access:  read_only
        .address_space:  global
        .offset:         24
        .size:           8
        .value_kind:     global_buffer
      - .offset:         32
        .size:           4
        .value_kind:     by_value
      - .offset:         40
        .size:           8
        .value_kind:     by_value
      - .offset:         48
        .size:           4
        .value_kind:     hidden_block_count_x
      - .offset:         52
        .size:           4
        .value_kind:     hidden_block_count_y
      - .offset:         56
        .size:           4
        .value_kind:     hidden_block_count_z
      - .offset:         60
        .size:           2
        .value_kind:     hidden_group_size_x
      - .offset:         62
        .size:           2
        .value_kind:     hidden_group_size_y
      - .offset:         64
        .size:           2
        .value_kind:     hidden_group_size_z
      - .offset:         66
        .size:           2
        .value_kind:     hidden_remainder_x
      - .offset:         68
        .size:           2
        .value_kind:     hidden_remainder_y
      - .offset:         70
        .size:           2
        .value_kind:     hidden_remainder_z
      - .offset:         88
        .size:           8
        .value_kind:     hidden_global_offset_x
      - .offset:         96
        .size:           8
        .value_kind:     hidden_global_offset_y
      - .offset:         104
        .size:           8
        .value_kind:     hidden_global_offset_z
      - .offset:         112
        .size:           2
        .value_kind:     hidden_grid_dims
    .group_segment_fixed_size: 0
    .kernarg_segment_align: 8
    .kernarg_segment_size: 304
    .language:       OpenCL C
    .language_version:
      - 2
      - 0
    .max_flat_workgroup_size: 1024
    .name:           _ZN5aiter23act_and_mul_bias_kernelItthfTnPFfRKT2_EXadL_ZNS_11silu_kernelIfEEfRKT_EELi8EEEvPT0_PS8_PKT1_PS2_il
    .private_segment_fixed_size: 0
    .sgpr_count:     53
    .sgpr_spill_count: 0
    .symbol:         _ZN5aiter23act_and_mul_bias_kernelItthfTnPFfRKT2_EXadL_ZNS_11silu_kernelIfEEfRKT_EELi8EEEvPT0_PS8_PKT1_PS2_il.kd
    .uniform_work_group_size: 1
    .uses_dynamic_stack: false
    .vgpr_count:     44
    .vgpr_spill_count: 0
    .wavefront_size: 64
  - .agpr_count:     0
    .args:
      - .actual_access:  write_only
        .address_space:  global
        .offset:         0
        .size:           8
        .value_kind:     global_buffer
      - .actual_access:  read_only
        .address_space:  global
        .offset:         8
        .size:           8
        .value_kind:     global_buffer
      - .actual_access:  read_only
        .address_space:  global
        .offset:         16
        .size:           8
        .value_kind:     global_buffer
      - .actual_access:  read_only
        .address_space:  global
        .offset:         24
        .size:           8
        .value_kind:     global_buffer
      - .offset:         32
        .size:           4
        .value_kind:     by_value
      - .offset:         40
        .size:           8
        .value_kind:     by_value
      - .offset:         48
        .size:           4
        .value_kind:     hidden_block_count_x
      - .offset:         52
        .size:           4
        .value_kind:     hidden_block_count_y
      - .offset:         56
        .size:           4
        .value_kind:     hidden_block_count_z
      - .offset:         60
        .size:           2
        .value_kind:     hidden_group_size_x
      - .offset:         62
        .size:           2
        .value_kind:     hidden_group_size_y
      - .offset:         64
        .size:           2
        .value_kind:     hidden_group_size_z
      - .offset:         66
        .size:           2
        .value_kind:     hidden_remainder_x
      - .offset:         68
        .size:           2
        .value_kind:     hidden_remainder_y
      - .offset:         70
        .size:           2
        .value_kind:     hidden_remainder_z
      - .offset:         88
        .size:           8
        .value_kind:     hidden_global_offset_x
      - .offset:         96
        .size:           8
        .value_kind:     hidden_global_offset_y
      - .offset:         104
        .size:           8
        .value_kind:     hidden_global_offset_z
      - .offset:         112
        .size:           2
        .value_kind:     hidden_grid_dims
    .group_segment_fixed_size: 0
    .kernarg_segment_align: 8
    .kernarg_segment_size: 304
    .language:       OpenCL C
    .language_version:
      - 2
      - 0
    .max_flat_workgroup_size: 1024
    .name:           _ZN5aiter23act_and_mul_bias_kernelItthfTnPFfRKT2_EXadL_ZNS_11silu_kernelIfEEfRKT_EELi4EEEvPT0_PS8_PKT1_PS2_il
    .private_segment_fixed_size: 0
    .sgpr_count:     45
    .sgpr_spill_count: 0
    .symbol:         _ZN5aiter23act_and_mul_bias_kernelItthfTnPFfRKT2_EXadL_ZNS_11silu_kernelIfEEfRKT_EELi4EEEvPT0_PS8_PKT1_PS2_il.kd
    .uniform_work_group_size: 1
    .uses_dynamic_stack: false
    .vgpr_count:     24
    .vgpr_spill_count: 0
    .wavefront_size: 64
  - .agpr_count:     0
    .args:
      - .actual_access:  write_only
        .address_space:  global
        .offset:         0
        .size:           8
        .value_kind:     global_buffer
      - .actual_access:  read_only
        .address_space:  global
        .offset:         8
        .size:           8
        .value_kind:     global_buffer
      - .actual_access:  read_only
        .address_space:  global
        .offset:         16
        .size:           8
        .value_kind:     global_buffer
      - .actual_access:  read_only
        .address_space:  global
        .offset:         24
        .size:           8
        .value_kind:     global_buffer
      - .offset:         32
        .size:           4
        .value_kind:     by_value
      - .offset:         40
        .size:           8
        .value_kind:     by_value
      - .offset:         48
        .size:           4
        .value_kind:     hidden_block_count_x
      - .offset:         52
        .size:           4
        .value_kind:     hidden_block_count_y
      - .offset:         56
        .size:           4
        .value_kind:     hidden_block_count_z
      - .offset:         60
        .size:           2
        .value_kind:     hidden_group_size_x
      - .offset:         62
        .size:           2
        .value_kind:     hidden_group_size_y
      - .offset:         64
        .size:           2
        .value_kind:     hidden_group_size_z
      - .offset:         66
        .size:           2
        .value_kind:     hidden_remainder_x
      - .offset:         68
        .size:           2
        .value_kind:     hidden_remainder_y
      - .offset:         70
        .size:           2
        .value_kind:     hidden_remainder_z
      - .offset:         88
        .size:           8
        .value_kind:     hidden_global_offset_x
      - .offset:         96
        .size:           8
        .value_kind:     hidden_global_offset_y
      - .offset:         104
        .size:           8
        .value_kind:     hidden_global_offset_z
      - .offset:         112
        .size:           2
        .value_kind:     hidden_grid_dims
    .group_segment_fixed_size: 0
    .kernarg_segment_align: 8
    .kernarg_segment_size: 304
    .language:       OpenCL C
    .language_version:
      - 2
      - 0
    .max_flat_workgroup_size: 1024
    .name:           _ZN5aiter23act_and_mul_bias_kernelItthfTnPFfRKT2_EXadL_ZNS_11silu_kernelIfEEfRKT_EELi2EEEvPT0_PS8_PKT1_PS2_il
    .private_segment_fixed_size: 0
    .sgpr_count:     41
    .sgpr_spill_count: 0
    .symbol:         _ZN5aiter23act_and_mul_bias_kernelItthfTnPFfRKT2_EXadL_ZNS_11silu_kernelIfEEfRKT_EELi2EEEvPT0_PS8_PKT1_PS2_il.kd
    .uniform_work_group_size: 1
    .uses_dynamic_stack: false
    .vgpr_count:     16
    .vgpr_spill_count: 0
    .wavefront_size: 64
  - .agpr_count:     0
    .args:
      - .actual_access:  write_only
        .address_space:  global
        .offset:         0
        .size:           8
        .value_kind:     global_buffer
      - .actual_access:  read_only
        .address_space:  global
        .offset:         8
        .size:           8
        .value_kind:     global_buffer
      - .actual_access:  read_only
        .address_space:  global
        .offset:         16
        .size:           8
        .value_kind:     global_buffer
      - .actual_access:  read_only
        .address_space:  global
        .offset:         24
        .size:           8
        .value_kind:     global_buffer
      - .offset:         32
        .size:           4
        .value_kind:     by_value
      - .offset:         40
        .size:           8
        .value_kind:     by_value
      - .offset:         48
        .size:           4
        .value_kind:     hidden_block_count_x
      - .offset:         52
        .size:           4
        .value_kind:     hidden_block_count_y
      - .offset:         56
        .size:           4
        .value_kind:     hidden_block_count_z
      - .offset:         60
        .size:           2
        .value_kind:     hidden_group_size_x
      - .offset:         62
        .size:           2
        .value_kind:     hidden_group_size_y
      - .offset:         64
        .size:           2
        .value_kind:     hidden_group_size_z
      - .offset:         66
        .size:           2
        .value_kind:     hidden_remainder_x
      - .offset:         68
        .size:           2
        .value_kind:     hidden_remainder_y
      - .offset:         70
        .size:           2
        .value_kind:     hidden_remainder_z
      - .offset:         88
        .size:           8
        .value_kind:     hidden_global_offset_x
      - .offset:         96
        .size:           8
        .value_kind:     hidden_global_offset_y
      - .offset:         104
        .size:           8
        .value_kind:     hidden_global_offset_z
      - .offset:         112
        .size:           2
        .value_kind:     hidden_grid_dims
    .group_segment_fixed_size: 0
    .kernarg_segment_align: 8
    .kernarg_segment_size: 304
    .language:       OpenCL C
    .language_version:
      - 2
      - 0
    .max_flat_workgroup_size: 1024
    .name:           _ZN5aiter23act_and_mul_bias_kernelItthfTnPFfRKT2_EXadL_ZNS_11silu_kernelIfEEfRKT_EELi1EEEvPT0_PS8_PKT1_PS2_il
    .private_segment_fixed_size: 0
    .sgpr_count:     37
    .sgpr_spill_count: 0
    .symbol:         _ZN5aiter23act_and_mul_bias_kernelItthfTnPFfRKT2_EXadL_ZNS_11silu_kernelIfEEfRKT_EELi1EEEvPT0_PS8_PKT1_PS2_il.kd
    .uniform_work_group_size: 1
    .uses_dynamic_stack: false
    .vgpr_count:     10
    .vgpr_spill_count: 0
    .wavefront_size: 64
  - .agpr_count:     0
    .args:
      - .actual_access:  write_only
        .address_space:  global
        .offset:         0
        .size:           8
        .value_kind:     global_buffer
      - .actual_access:  read_only
        .address_space:  global
        .offset:         8
        .size:           8
        .value_kind:     global_buffer
      - .actual_access:  read_only
        .address_space:  global
        .offset:         16
        .size:           8
        .value_kind:     global_buffer
      - .actual_access:  read_only
        .address_space:  global
        .offset:         24
        .size:           8
        .value_kind:     global_buffer
      - .offset:         32
        .size:           4
        .value_kind:     by_value
      - .offset:         40
        .size:           8
        .value_kind:     by_value
      - .offset:         48
        .size:           4
        .value_kind:     hidden_block_count_x
      - .offset:         52
        .size:           4
        .value_kind:     hidden_block_count_y
      - .offset:         56
        .size:           4
        .value_kind:     hidden_block_count_z
      - .offset:         60
        .size:           2
        .value_kind:     hidden_group_size_x
      - .offset:         62
        .size:           2
        .value_kind:     hidden_group_size_y
      - .offset:         64
        .size:           2
        .value_kind:     hidden_group_size_z
      - .offset:         66
        .size:           2
        .value_kind:     hidden_remainder_x
      - .offset:         68
        .size:           2
        .value_kind:     hidden_remainder_y
      - .offset:         70
        .size:           2
        .value_kind:     hidden_remainder_z
      - .offset:         88
        .size:           8
        .value_kind:     hidden_global_offset_x
      - .offset:         96
        .size:           8
        .value_kind:     hidden_global_offset_y
      - .offset:         104
        .size:           8
        .value_kind:     hidden_global_offset_z
      - .offset:         112
        .size:           2
        .value_kind:     hidden_grid_dims
    .group_segment_fixed_size: 0
    .kernarg_segment_align: 8
    .kernarg_segment_size: 304
    .language:       OpenCL C
    .language_version:
      - 2
      - 0
    .max_flat_workgroup_size: 1024
    .name:           _ZN5aiter23act_and_mul_bias_kernelIftafTnPFfRKT2_EXadL_ZNS_11silu_kernelIfEEfRKT_EELi16EEEvPT0_PS8_PKT1_PS2_il
    .private_segment_fixed_size: 0
    .sgpr_count:     69
    .sgpr_spill_count: 0
    .symbol:         _ZN5aiter23act_and_mul_bias_kernelIftafTnPFfRKT2_EXadL_ZNS_11silu_kernelIfEEfRKT_EELi16EEEvPT0_PS8_PKT1_PS2_il.kd
    .uniform_work_group_size: 1
    .uses_dynamic_stack: false
    .vgpr_count:     68
    .vgpr_spill_count: 0
    .wavefront_size: 64
  - .agpr_count:     0
    .args:
      - .actual_access:  write_only
        .address_space:  global
        .offset:         0
        .size:           8
        .value_kind:     global_buffer
      - .actual_access:  read_only
        .address_space:  global
        .offset:         8
        .size:           8
        .value_kind:     global_buffer
      - .actual_access:  read_only
        .address_space:  global
        .offset:         16
        .size:           8
        .value_kind:     global_buffer
      - .actual_access:  read_only
        .address_space:  global
        .offset:         24
        .size:           8
        .value_kind:     global_buffer
      - .offset:         32
        .size:           4
        .value_kind:     by_value
      - .offset:         40
        .size:           8
        .value_kind:     by_value
      - .offset:         48
        .size:           4
        .value_kind:     hidden_block_count_x
      - .offset:         52
        .size:           4
        .value_kind:     hidden_block_count_y
      - .offset:         56
        .size:           4
        .value_kind:     hidden_block_count_z
      - .offset:         60
        .size:           2
        .value_kind:     hidden_group_size_x
      - .offset:         62
        .size:           2
        .value_kind:     hidden_group_size_y
      - .offset:         64
        .size:           2
        .value_kind:     hidden_group_size_z
      - .offset:         66
        .size:           2
        .value_kind:     hidden_remainder_x
      - .offset:         68
        .size:           2
        .value_kind:     hidden_remainder_y
      - .offset:         70
        .size:           2
        .value_kind:     hidden_remainder_z
      - .offset:         88
        .size:           8
        .value_kind:     hidden_global_offset_x
      - .offset:         96
        .size:           8
        .value_kind:     hidden_global_offset_y
      - .offset:         104
        .size:           8
        .value_kind:     hidden_global_offset_z
      - .offset:         112
        .size:           2
        .value_kind:     hidden_grid_dims
    .group_segment_fixed_size: 0
    .kernarg_segment_align: 8
    .kernarg_segment_size: 304
    .language:       OpenCL C
    .language_version:
      - 2
      - 0
    .max_flat_workgroup_size: 1024
    .name:           _ZN5aiter23act_and_mul_bias_kernelIftafTnPFfRKT2_EXadL_ZNS_11silu_kernelIfEEfRKT_EELi8EEEvPT0_PS8_PKT1_PS2_il
    .private_segment_fixed_size: 0
    .sgpr_count:     53
    .sgpr_spill_count: 0
    .symbol:         _ZN5aiter23act_and_mul_bias_kernelIftafTnPFfRKT2_EXadL_ZNS_11silu_kernelIfEEfRKT_EELi8EEEvPT0_PS8_PKT1_PS2_il.kd
    .uniform_work_group_size: 1
    .uses_dynamic_stack: false
    .vgpr_count:     44
    .vgpr_spill_count: 0
    .wavefront_size: 64
  - .agpr_count:     0
    .args:
      - .actual_access:  write_only
        .address_space:  global
        .offset:         0
        .size:           8
        .value_kind:     global_buffer
      - .actual_access:  read_only
        .address_space:  global
        .offset:         8
        .size:           8
        .value_kind:     global_buffer
      - .actual_access:  read_only
        .address_space:  global
        .offset:         16
        .size:           8
        .value_kind:     global_buffer
      - .actual_access:  read_only
        .address_space:  global
        .offset:         24
        .size:           8
        .value_kind:     global_buffer
      - .offset:         32
        .size:           4
        .value_kind:     by_value
      - .offset:         40
        .size:           8
        .value_kind:     by_value
      - .offset:         48
        .size:           4
        .value_kind:     hidden_block_count_x
      - .offset:         52
        .size:           4
        .value_kind:     hidden_block_count_y
      - .offset:         56
        .size:           4
        .value_kind:     hidden_block_count_z
      - .offset:         60
        .size:           2
        .value_kind:     hidden_group_size_x
      - .offset:         62
        .size:           2
        .value_kind:     hidden_group_size_y
      - .offset:         64
        .size:           2
        .value_kind:     hidden_group_size_z
      - .offset:         66
        .size:           2
        .value_kind:     hidden_remainder_x
      - .offset:         68
        .size:           2
        .value_kind:     hidden_remainder_y
      - .offset:         70
        .size:           2
        .value_kind:     hidden_remainder_z
      - .offset:         88
        .size:           8
        .value_kind:     hidden_global_offset_x
      - .offset:         96
        .size:           8
        .value_kind:     hidden_global_offset_y
      - .offset:         104
        .size:           8
        .value_kind:     hidden_global_offset_z
      - .offset:         112
        .size:           2
        .value_kind:     hidden_grid_dims
    .group_segment_fixed_size: 0
    .kernarg_segment_align: 8
    .kernarg_segment_size: 304
    .language:       OpenCL C
    .language_version:
      - 2
      - 0
    .max_flat_workgroup_size: 1024
    .name:           _ZN5aiter23act_and_mul_bias_kernelIftafTnPFfRKT2_EXadL_ZNS_11silu_kernelIfEEfRKT_EELi4EEEvPT0_PS8_PKT1_PS2_il
    .private_segment_fixed_size: 0
    .sgpr_count:     45
    .sgpr_spill_count: 0
    .symbol:         _ZN5aiter23act_and_mul_bias_kernelIftafTnPFfRKT2_EXadL_ZNS_11silu_kernelIfEEfRKT_EELi4EEEvPT0_PS8_PKT1_PS2_il.kd
    .uniform_work_group_size: 1
    .uses_dynamic_stack: false
    .vgpr_count:     23
    .vgpr_spill_count: 0
    .wavefront_size: 64
  - .agpr_count:     0
    .args:
      - .actual_access:  write_only
        .address_space:  global
        .offset:         0
        .size:           8
        .value_kind:     global_buffer
      - .actual_access:  read_only
        .address_space:  global
        .offset:         8
        .size:           8
        .value_kind:     global_buffer
      - .actual_access:  read_only
        .address_space:  global
        .offset:         16
        .size:           8
        .value_kind:     global_buffer
      - .actual_access:  read_only
        .address_space:  global
        .offset:         24
        .size:           8
        .value_kind:     global_buffer
      - .offset:         32
        .size:           4
        .value_kind:     by_value
      - .offset:         40
        .size:           8
        .value_kind:     by_value
      - .offset:         48
        .size:           4
        .value_kind:     hidden_block_count_x
      - .offset:         52
        .size:           4
        .value_kind:     hidden_block_count_y
      - .offset:         56
        .size:           4
        .value_kind:     hidden_block_count_z
      - .offset:         60
        .size:           2
        .value_kind:     hidden_group_size_x
      - .offset:         62
        .size:           2
        .value_kind:     hidden_group_size_y
      - .offset:         64
        .size:           2
        .value_kind:     hidden_group_size_z
      - .offset:         66
        .size:           2
        .value_kind:     hidden_remainder_x
      - .offset:         68
        .size:           2
        .value_kind:     hidden_remainder_y
      - .offset:         70
        .size:           2
        .value_kind:     hidden_remainder_z
      - .offset:         88
        .size:           8
        .value_kind:     hidden_global_offset_x
      - .offset:         96
        .size:           8
        .value_kind:     hidden_global_offset_y
      - .offset:         104
        .size:           8
        .value_kind:     hidden_global_offset_z
      - .offset:         112
        .size:           2
        .value_kind:     hidden_grid_dims
    .group_segment_fixed_size: 0
    .kernarg_segment_align: 8
    .kernarg_segment_size: 304
    .language:       OpenCL C
    .language_version:
      - 2
      - 0
    .max_flat_workgroup_size: 1024
    .name:           _ZN5aiter23act_and_mul_bias_kernelIftafTnPFfRKT2_EXadL_ZNS_11silu_kernelIfEEfRKT_EELi2EEEvPT0_PS8_PKT1_PS2_il
    .private_segment_fixed_size: 0
    .sgpr_count:     41
    .sgpr_spill_count: 0
    .symbol:         _ZN5aiter23act_and_mul_bias_kernelIftafTnPFfRKT2_EXadL_ZNS_11silu_kernelIfEEfRKT_EELi2EEEvPT0_PS8_PKT1_PS2_il.kd
    .uniform_work_group_size: 1
    .uses_dynamic_stack: false
    .vgpr_count:     15
    .vgpr_spill_count: 0
    .wavefront_size: 64
  - .agpr_count:     0
    .args:
      - .actual_access:  write_only
        .address_space:  global
        .offset:         0
        .size:           8
        .value_kind:     global_buffer
      - .actual_access:  read_only
        .address_space:  global
        .offset:         8
        .size:           8
        .value_kind:     global_buffer
      - .actual_access:  read_only
        .address_space:  global
        .offset:         16
        .size:           8
        .value_kind:     global_buffer
      - .actual_access:  read_only
        .address_space:  global
        .offset:         24
        .size:           8
        .value_kind:     global_buffer
      - .offset:         32
        .size:           4
        .value_kind:     by_value
      - .offset:         40
        .size:           8
        .value_kind:     by_value
      - .offset:         48
        .size:           4
        .value_kind:     hidden_block_count_x
      - .offset:         52
        .size:           4
        .value_kind:     hidden_block_count_y
      - .offset:         56
        .size:           4
        .value_kind:     hidden_block_count_z
      - .offset:         60
        .size:           2
        .value_kind:     hidden_group_size_x
      - .offset:         62
        .size:           2
        .value_kind:     hidden_group_size_y
      - .offset:         64
        .size:           2
        .value_kind:     hidden_group_size_z
      - .offset:         66
        .size:           2
        .value_kind:     hidden_remainder_x
      - .offset:         68
        .size:           2
        .value_kind:     hidden_remainder_y
      - .offset:         70
        .size:           2
        .value_kind:     hidden_remainder_z
      - .offset:         88
        .size:           8
        .value_kind:     hidden_global_offset_x
      - .offset:         96
        .size:           8
        .value_kind:     hidden_global_offset_y
      - .offset:         104
        .size:           8
        .value_kind:     hidden_global_offset_z
      - .offset:         112
        .size:           2
        .value_kind:     hidden_grid_dims
    .group_segment_fixed_size: 0
    .kernarg_segment_align: 8
    .kernarg_segment_size: 304
    .language:       OpenCL C
    .language_version:
      - 2
      - 0
    .max_flat_workgroup_size: 1024
    .name:           _ZN5aiter23act_and_mul_bias_kernelIftafTnPFfRKT2_EXadL_ZNS_11silu_kernelIfEEfRKT_EELi1EEEvPT0_PS8_PKT1_PS2_il
    .private_segment_fixed_size: 0
    .sgpr_count:     37
    .sgpr_spill_count: 0
    .symbol:         _ZN5aiter23act_and_mul_bias_kernelIftafTnPFfRKT2_EXadL_ZNS_11silu_kernelIfEEfRKT_EELi1EEEvPT0_PS8_PKT1_PS2_il.kd
    .uniform_work_group_size: 1
    .uses_dynamic_stack: false
    .vgpr_count:     10
    .vgpr_spill_count: 0
    .wavefront_size: 64
  - .agpr_count:     0
    .args:
      - .actual_access:  write_only
        .address_space:  global
        .offset:         0
        .size:           8
        .value_kind:     global_buffer
      - .actual_access:  read_only
        .address_space:  global
        .offset:         8
        .size:           8
        .value_kind:     global_buffer
      - .actual_access:  read_only
        .address_space:  global
        .offset:         16
        .size:           8
        .value_kind:     global_buffer
      - .actual_access:  read_only
        .address_space:  global
        .offset:         24
        .size:           8
        .value_kind:     global_buffer
      - .offset:         32
        .size:           4
        .value_kind:     by_value
      - .offset:         40
        .size:           8
        .value_kind:     by_value
      - .offset:         48
        .size:           4
        .value_kind:     hidden_block_count_x
      - .offset:         52
        .size:           4
        .value_kind:     hidden_block_count_y
      - .offset:         56
        .size:           4
        .value_kind:     hidden_block_count_z
      - .offset:         60
        .size:           2
        .value_kind:     hidden_group_size_x
      - .offset:         62
        .size:           2
        .value_kind:     hidden_group_size_y
      - .offset:         64
        .size:           2
        .value_kind:     hidden_group_size_z
      - .offset:         66
        .size:           2
        .value_kind:     hidden_remainder_x
      - .offset:         68
        .size:           2
        .value_kind:     hidden_remainder_y
      - .offset:         70
        .size:           2
        .value_kind:     hidden_remainder_z
      - .offset:         88
        .size:           8
        .value_kind:     hidden_global_offset_x
      - .offset:         96
        .size:           8
        .value_kind:     hidden_global_offset_y
      - .offset:         104
        .size:           8
        .value_kind:     hidden_global_offset_z
      - .offset:         112
        .size:           2
        .value_kind:     hidden_grid_dims
    .group_segment_fixed_size: 0
    .kernarg_segment_align: 8
    .kernarg_segment_size: 304
    .language:       OpenCL C
    .language_version:
      - 2
      - 0
    .max_flat_workgroup_size: 1024
    .name:           _ZN5aiter23act_and_mul_bias_kernelIfDF16_afTnPFfRKT2_EXadL_ZNS_11silu_kernelIfEEfRKT_EELi16EEEvPT0_PS8_PKT1_PS2_il
    .private_segment_fixed_size: 0
    .sgpr_count:     68
    .sgpr_spill_count: 0
    .symbol:         _ZN5aiter23act_and_mul_bias_kernelIfDF16_afTnPFfRKT2_EXadL_ZNS_11silu_kernelIfEEfRKT_EELi16EEEvPT0_PS8_PKT1_PS2_il.kd
    .uniform_work_group_size: 1
    .uses_dynamic_stack: false
    .vgpr_count:     69
    .vgpr_spill_count: 0
    .wavefront_size: 64
  - .agpr_count:     0
    .args:
      - .actual_access:  write_only
        .address_space:  global
        .offset:         0
        .size:           8
        .value_kind:     global_buffer
      - .actual_access:  read_only
        .address_space:  global
        .offset:         8
        .size:           8
        .value_kind:     global_buffer
      - .actual_access:  read_only
        .address_space:  global
        .offset:         16
        .size:           8
        .value_kind:     global_buffer
      - .actual_access:  read_only
        .address_space:  global
        .offset:         24
        .size:           8
        .value_kind:     global_buffer
      - .offset:         32
        .size:           4
        .value_kind:     by_value
      - .offset:         40
        .size:           8
        .value_kind:     by_value
      - .offset:         48
        .size:           4
        .value_kind:     hidden_block_count_x
      - .offset:         52
        .size:           4
        .value_kind:     hidden_block_count_y
      - .offset:         56
        .size:           4
        .value_kind:     hidden_block_count_z
      - .offset:         60
        .size:           2
        .value_kind:     hidden_group_size_x
      - .offset:         62
        .size:           2
        .value_kind:     hidden_group_size_y
      - .offset:         64
        .size:           2
        .value_kind:     hidden_group_size_z
      - .offset:         66
        .size:           2
        .value_kind:     hidden_remainder_x
      - .offset:         68
        .size:           2
        .value_kind:     hidden_remainder_y
      - .offset:         70
        .size:           2
        .value_kind:     hidden_remainder_z
      - .offset:         88
        .size:           8
        .value_kind:     hidden_global_offset_x
      - .offset:         96
        .size:           8
        .value_kind:     hidden_global_offset_y
      - .offset:         104
        .size:           8
        .value_kind:     hidden_global_offset_z
      - .offset:         112
        .size:           2
        .value_kind:     hidden_grid_dims
    .group_segment_fixed_size: 0
    .kernarg_segment_align: 8
    .kernarg_segment_size: 304
    .language:       OpenCL C
    .language_version:
      - 2
      - 0
    .max_flat_workgroup_size: 1024
    .name:           _ZN5aiter23act_and_mul_bias_kernelIfDF16_afTnPFfRKT2_EXadL_ZNS_11silu_kernelIfEEfRKT_EELi8EEEvPT0_PS8_PKT1_PS2_il
    .private_segment_fixed_size: 0
    .sgpr_count:     52
    .sgpr_spill_count: 0
    .symbol:         _ZN5aiter23act_and_mul_bias_kernelIfDF16_afTnPFfRKT2_EXadL_ZNS_11silu_kernelIfEEfRKT_EELi8EEEvPT0_PS8_PKT1_PS2_il.kd
    .uniform_work_group_size: 1
    .uses_dynamic_stack: false
    .vgpr_count:     44
    .vgpr_spill_count: 0
    .wavefront_size: 64
  - .agpr_count:     0
    .args:
      - .actual_access:  write_only
        .address_space:  global
        .offset:         0
        .size:           8
        .value_kind:     global_buffer
      - .actual_access:  read_only
        .address_space:  global
        .offset:         8
        .size:           8
        .value_kind:     global_buffer
      - .actual_access:  read_only
        .address_space:  global
        .offset:         16
        .size:           8
        .value_kind:     global_buffer
      - .actual_access:  read_only
        .address_space:  global
        .offset:         24
        .size:           8
        .value_kind:     global_buffer
      - .offset:         32
        .size:           4
        .value_kind:     by_value
      - .offset:         40
        .size:           8
        .value_kind:     by_value
      - .offset:         48
        .size:           4
        .value_kind:     hidden_block_count_x
      - .offset:         52
        .size:           4
        .value_kind:     hidden_block_count_y
      - .offset:         56
        .size:           4
        .value_kind:     hidden_block_count_z
      - .offset:         60
        .size:           2
        .value_kind:     hidden_group_size_x
      - .offset:         62
        .size:           2
        .value_kind:     hidden_group_size_y
      - .offset:         64
        .size:           2
        .value_kind:     hidden_group_size_z
      - .offset:         66
        .size:           2
        .value_kind:     hidden_remainder_x
      - .offset:         68
        .size:           2
        .value_kind:     hidden_remainder_y
      - .offset:         70
        .size:           2
        .value_kind:     hidden_remainder_z
      - .offset:         88
        .size:           8
        .value_kind:     hidden_global_offset_x
      - .offset:         96
        .size:           8
        .value_kind:     hidden_global_offset_y
      - .offset:         104
        .size:           8
        .value_kind:     hidden_global_offset_z
      - .offset:         112
        .size:           2
        .value_kind:     hidden_grid_dims
    .group_segment_fixed_size: 0
    .kernarg_segment_align: 8
    .kernarg_segment_size: 304
    .language:       OpenCL C
    .language_version:
      - 2
      - 0
    .max_flat_workgroup_size: 1024
    .name:           _ZN5aiter23act_and_mul_bias_kernelIfDF16_afTnPFfRKT2_EXadL_ZNS_11silu_kernelIfEEfRKT_EELi4EEEvPT0_PS8_PKT1_PS2_il
    .private_segment_fixed_size: 0
    .sgpr_count:     44
    .sgpr_spill_count: 0
    .symbol:         _ZN5aiter23act_and_mul_bias_kernelIfDF16_afTnPFfRKT2_EXadL_ZNS_11silu_kernelIfEEfRKT_EELi4EEEvPT0_PS8_PKT1_PS2_il.kd
    .uniform_work_group_size: 1
    .uses_dynamic_stack: false
    .vgpr_count:     24
    .vgpr_spill_count: 0
    .wavefront_size: 64
  - .agpr_count:     0
    .args:
      - .actual_access:  write_only
        .address_space:  global
        .offset:         0
        .size:           8
        .value_kind:     global_buffer
      - .actual_access:  read_only
        .address_space:  global
        .offset:         8
        .size:           8
        .value_kind:     global_buffer
      - .actual_access:  read_only
        .address_space:  global
        .offset:         16
        .size:           8
        .value_kind:     global_buffer
      - .actual_access:  read_only
        .address_space:  global
        .offset:         24
        .size:           8
        .value_kind:     global_buffer
      - .offset:         32
        .size:           4
        .value_kind:     by_value
      - .offset:         40
        .size:           8
        .value_kind:     by_value
      - .offset:         48
        .size:           4
        .value_kind:     hidden_block_count_x
      - .offset:         52
        .size:           4
        .value_kind:     hidden_block_count_y
      - .offset:         56
        .size:           4
        .value_kind:     hidden_block_count_z
      - .offset:         60
        .size:           2
        .value_kind:     hidden_group_size_x
      - .offset:         62
        .size:           2
        .value_kind:     hidden_group_size_y
      - .offset:         64
        .size:           2
        .value_kind:     hidden_group_size_z
      - .offset:         66
        .size:           2
        .value_kind:     hidden_remainder_x
      - .offset:         68
        .size:           2
        .value_kind:     hidden_remainder_y
      - .offset:         70
        .size:           2
        .value_kind:     hidden_remainder_z
      - .offset:         88
        .size:           8
        .value_kind:     hidden_global_offset_x
      - .offset:         96
        .size:           8
        .value_kind:     hidden_global_offset_y
      - .offset:         104
        .size:           8
        .value_kind:     hidden_global_offset_z
      - .offset:         112
        .size:           2
        .value_kind:     hidden_grid_dims
    .group_segment_fixed_size: 0
    .kernarg_segment_align: 8
    .kernarg_segment_size: 304
    .language:       OpenCL C
    .language_version:
      - 2
      - 0
    .max_flat_workgroup_size: 1024
    .name:           _ZN5aiter23act_and_mul_bias_kernelIfDF16_afTnPFfRKT2_EXadL_ZNS_11silu_kernelIfEEfRKT_EELi2EEEvPT0_PS8_PKT1_PS2_il
    .private_segment_fixed_size: 0
    .sgpr_count:     40
    .sgpr_spill_count: 0
    .symbol:         _ZN5aiter23act_and_mul_bias_kernelIfDF16_afTnPFfRKT2_EXadL_ZNS_11silu_kernelIfEEfRKT_EELi2EEEvPT0_PS8_PKT1_PS2_il.kd
    .uniform_work_group_size: 1
    .uses_dynamic_stack: false
    .vgpr_count:     14
    .vgpr_spill_count: 0
    .wavefront_size: 64
  - .agpr_count:     0
    .args:
      - .actual_access:  write_only
        .address_space:  global
        .offset:         0
        .size:           8
        .value_kind:     global_buffer
      - .actual_access:  read_only
        .address_space:  global
        .offset:         8
        .size:           8
        .value_kind:     global_buffer
      - .actual_access:  read_only
        .address_space:  global
        .offset:         16
        .size:           8
        .value_kind:     global_buffer
      - .actual_access:  read_only
        .address_space:  global
        .offset:         24
        .size:           8
        .value_kind:     global_buffer
      - .offset:         32
        .size:           4
        .value_kind:     by_value
      - .offset:         40
        .size:           8
        .value_kind:     by_value
      - .offset:         48
        .size:           4
        .value_kind:     hidden_block_count_x
      - .offset:         52
        .size:           4
        .value_kind:     hidden_block_count_y
      - .offset:         56
        .size:           4
        .value_kind:     hidden_block_count_z
      - .offset:         60
        .size:           2
        .value_kind:     hidden_group_size_x
      - .offset:         62
        .size:           2
        .value_kind:     hidden_group_size_y
      - .offset:         64
        .size:           2
        .value_kind:     hidden_group_size_z
      - .offset:         66
        .size:           2
        .value_kind:     hidden_remainder_x
      - .offset:         68
        .size:           2
        .value_kind:     hidden_remainder_y
      - .offset:         70
        .size:           2
        .value_kind:     hidden_remainder_z
      - .offset:         88
        .size:           8
        .value_kind:     hidden_global_offset_x
      - .offset:         96
        .size:           8
        .value_kind:     hidden_global_offset_y
      - .offset:         104
        .size:           8
        .value_kind:     hidden_global_offset_z
      - .offset:         112
        .size:           2
        .value_kind:     hidden_grid_dims
    .group_segment_fixed_size: 0
    .kernarg_segment_align: 8
    .kernarg_segment_size: 304
    .language:       OpenCL C
    .language_version:
      - 2
      - 0
    .max_flat_workgroup_size: 1024
    .name:           _ZN5aiter23act_and_mul_bias_kernelIfDF16_afTnPFfRKT2_EXadL_ZNS_11silu_kernelIfEEfRKT_EELi1EEEvPT0_PS8_PKT1_PS2_il
    .private_segment_fixed_size: 0
    .sgpr_count:     37
    .sgpr_spill_count: 0
    .symbol:         _ZN5aiter23act_and_mul_bias_kernelIfDF16_afTnPFfRKT2_EXadL_ZNS_11silu_kernelIfEEfRKT_EELi1EEEvPT0_PS8_PKT1_PS2_il.kd
    .uniform_work_group_size: 1
    .uses_dynamic_stack: false
    .vgpr_count:     10
    .vgpr_spill_count: 0
    .wavefront_size: 64
  - .agpr_count:     0
    .args:
      - .actual_access:  write_only
        .address_space:  global
        .offset:         0
        .size:           8
        .value_kind:     global_buffer
      - .actual_access:  read_only
        .address_space:  global
        .offset:         8
        .size:           8
        .value_kind:     global_buffer
      - .actual_access:  read_only
        .address_space:  global
        .offset:         16
        .size:           8
        .value_kind:     global_buffer
      - .actual_access:  read_only
        .address_space:  global
        .offset:         24
        .size:           8
        .value_kind:     global_buffer
      - .offset:         32
        .size:           4
        .value_kind:     by_value
      - .offset:         40
        .size:           8
        .value_kind:     by_value
      - .offset:         48
        .size:           4
        .value_kind:     hidden_block_count_x
      - .offset:         52
        .size:           4
        .value_kind:     hidden_block_count_y
      - .offset:         56
        .size:           4
        .value_kind:     hidden_block_count_z
      - .offset:         60
        .size:           2
        .value_kind:     hidden_group_size_x
      - .offset:         62
        .size:           2
        .value_kind:     hidden_group_size_y
      - .offset:         64
        .size:           2
        .value_kind:     hidden_group_size_z
      - .offset:         66
        .size:           2
        .value_kind:     hidden_remainder_x
      - .offset:         68
        .size:           2
        .value_kind:     hidden_remainder_y
      - .offset:         70
        .size:           2
        .value_kind:     hidden_remainder_z
      - .offset:         88
        .size:           8
        .value_kind:     hidden_global_offset_x
      - .offset:         96
        .size:           8
        .value_kind:     hidden_global_offset_y
      - .offset:         104
        .size:           8
        .value_kind:     hidden_global_offset_z
      - .offset:         112
        .size:           2
        .value_kind:     hidden_grid_dims
    .group_segment_fixed_size: 0
    .kernarg_segment_align: 8
    .kernarg_segment_size: 304
    .language:       OpenCL C
    .language_version:
      - 2
      - 0
    .max_flat_workgroup_size: 1024
    .name:           _ZN5aiter23act_and_mul_bias_kernelIffafTnPFfRKT2_EXadL_ZNS_11silu_kernelIfEEfRKT_EELi16EEEvPT0_PS8_PKT1_PS2_il
    .private_segment_fixed_size: 0
    .sgpr_count:     68
    .sgpr_spill_count: 0
    .symbol:         _ZN5aiter23act_and_mul_bias_kernelIffafTnPFfRKT2_EXadL_ZNS_11silu_kernelIfEEfRKT_EELi16EEEvPT0_PS8_PKT1_PS2_il.kd
    .uniform_work_group_size: 1
    .uses_dynamic_stack: false
    .vgpr_count:     69
    .vgpr_spill_count: 0
    .wavefront_size: 64
  - .agpr_count:     0
    .args:
      - .actual_access:  write_only
        .address_space:  global
        .offset:         0
        .size:           8
        .value_kind:     global_buffer
      - .actual_access:  read_only
        .address_space:  global
        .offset:         8
        .size:           8
        .value_kind:     global_buffer
      - .actual_access:  read_only
        .address_space:  global
        .offset:         16
        .size:           8
        .value_kind:     global_buffer
      - .actual_access:  read_only
        .address_space:  global
        .offset:         24
        .size:           8
        .value_kind:     global_buffer
      - .offset:         32
        .size:           4
        .value_kind:     by_value
      - .offset:         40
        .size:           8
        .value_kind:     by_value
      - .offset:         48
        .size:           4
        .value_kind:     hidden_block_count_x
      - .offset:         52
        .size:           4
        .value_kind:     hidden_block_count_y
      - .offset:         56
        .size:           4
        .value_kind:     hidden_block_count_z
      - .offset:         60
        .size:           2
        .value_kind:     hidden_group_size_x
      - .offset:         62
        .size:           2
        .value_kind:     hidden_group_size_y
      - .offset:         64
        .size:           2
        .value_kind:     hidden_group_size_z
      - .offset:         66
        .size:           2
        .value_kind:     hidden_remainder_x
      - .offset:         68
        .size:           2
        .value_kind:     hidden_remainder_y
      - .offset:         70
        .size:           2
        .value_kind:     hidden_remainder_z
      - .offset:         88
        .size:           8
        .value_kind:     hidden_global_offset_x
      - .offset:         96
        .size:           8
        .value_kind:     hidden_global_offset_y
      - .offset:         104
        .size:           8
        .value_kind:     hidden_global_offset_z
      - .offset:         112
        .size:           2
        .value_kind:     hidden_grid_dims
    .group_segment_fixed_size: 0
    .kernarg_segment_align: 8
    .kernarg_segment_size: 304
    .language:       OpenCL C
    .language_version:
      - 2
      - 0
    .max_flat_workgroup_size: 1024
    .name:           _ZN5aiter23act_and_mul_bias_kernelIffafTnPFfRKT2_EXadL_ZNS_11silu_kernelIfEEfRKT_EELi8EEEvPT0_PS8_PKT1_PS2_il
    .private_segment_fixed_size: 0
    .sgpr_count:     52
    .sgpr_spill_count: 0
    .symbol:         _ZN5aiter23act_and_mul_bias_kernelIffafTnPFfRKT2_EXadL_ZNS_11silu_kernelIfEEfRKT_EELi8EEEvPT0_PS8_PKT1_PS2_il.kd
    .uniform_work_group_size: 1
    .uses_dynamic_stack: false
    .vgpr_count:     44
    .vgpr_spill_count: 0
    .wavefront_size: 64
  - .agpr_count:     0
    .args:
      - .actual_access:  write_only
        .address_space:  global
        .offset:         0
        .size:           8
        .value_kind:     global_buffer
      - .actual_access:  read_only
        .address_space:  global
        .offset:         8
        .size:           8
        .value_kind:     global_buffer
      - .actual_access:  read_only
        .address_space:  global
        .offset:         16
        .size:           8
        .value_kind:     global_buffer
      - .actual_access:  read_only
        .address_space:  global
        .offset:         24
        .size:           8
        .value_kind:     global_buffer
      - .offset:         32
        .size:           4
        .value_kind:     by_value
      - .offset:         40
        .size:           8
        .value_kind:     by_value
      - .offset:         48
        .size:           4
        .value_kind:     hidden_block_count_x
      - .offset:         52
        .size:           4
        .value_kind:     hidden_block_count_y
      - .offset:         56
        .size:           4
        .value_kind:     hidden_block_count_z
      - .offset:         60
        .size:           2
        .value_kind:     hidden_group_size_x
      - .offset:         62
        .size:           2
        .value_kind:     hidden_group_size_y
      - .offset:         64
        .size:           2
        .value_kind:     hidden_group_size_z
      - .offset:         66
        .size:           2
        .value_kind:     hidden_remainder_x
      - .offset:         68
        .size:           2
        .value_kind:     hidden_remainder_y
      - .offset:         70
        .size:           2
        .value_kind:     hidden_remainder_z
      - .offset:         88
        .size:           8
        .value_kind:     hidden_global_offset_x
      - .offset:         96
        .size:           8
        .value_kind:     hidden_global_offset_y
      - .offset:         104
        .size:           8
        .value_kind:     hidden_global_offset_z
      - .offset:         112
        .size:           2
        .value_kind:     hidden_grid_dims
    .group_segment_fixed_size: 0
    .kernarg_segment_align: 8
    .kernarg_segment_size: 304
    .language:       OpenCL C
    .language_version:
      - 2
      - 0
    .max_flat_workgroup_size: 1024
    .name:           _ZN5aiter23act_and_mul_bias_kernelIffafTnPFfRKT2_EXadL_ZNS_11silu_kernelIfEEfRKT_EELi4EEEvPT0_PS8_PKT1_PS2_il
    .private_segment_fixed_size: 0
    .sgpr_count:     44
    .sgpr_spill_count: 0
    .symbol:         _ZN5aiter23act_and_mul_bias_kernelIffafTnPFfRKT2_EXadL_ZNS_11silu_kernelIfEEfRKT_EELi4EEEvPT0_PS8_PKT1_PS2_il.kd
    .uniform_work_group_size: 1
    .uses_dynamic_stack: false
    .vgpr_count:     24
    .vgpr_spill_count: 0
    .wavefront_size: 64
  - .agpr_count:     0
    .args:
      - .actual_access:  write_only
        .address_space:  global
        .offset:         0
        .size:           8
        .value_kind:     global_buffer
      - .actual_access:  read_only
        .address_space:  global
        .offset:         8
        .size:           8
        .value_kind:     global_buffer
      - .actual_access:  read_only
        .address_space:  global
        .offset:         16
        .size:           8
        .value_kind:     global_buffer
      - .actual_access:  read_only
        .address_space:  global
        .offset:         24
        .size:           8
        .value_kind:     global_buffer
      - .offset:         32
        .size:           4
        .value_kind:     by_value
      - .offset:         40
        .size:           8
        .value_kind:     by_value
      - .offset:         48
        .size:           4
        .value_kind:     hidden_block_count_x
      - .offset:         52
        .size:           4
        .value_kind:     hidden_block_count_y
      - .offset:         56
        .size:           4
        .value_kind:     hidden_block_count_z
      - .offset:         60
        .size:           2
        .value_kind:     hidden_group_size_x
      - .offset:         62
        .size:           2
        .value_kind:     hidden_group_size_y
      - .offset:         64
        .size:           2
        .value_kind:     hidden_group_size_z
      - .offset:         66
        .size:           2
        .value_kind:     hidden_remainder_x
      - .offset:         68
        .size:           2
        .value_kind:     hidden_remainder_y
      - .offset:         70
        .size:           2
        .value_kind:     hidden_remainder_z
      - .offset:         88
        .size:           8
        .value_kind:     hidden_global_offset_x
      - .offset:         96
        .size:           8
        .value_kind:     hidden_global_offset_y
      - .offset:         104
        .size:           8
        .value_kind:     hidden_global_offset_z
      - .offset:         112
        .size:           2
        .value_kind:     hidden_grid_dims
    .group_segment_fixed_size: 0
    .kernarg_segment_align: 8
    .kernarg_segment_size: 304
    .language:       OpenCL C
    .language_version:
      - 2
      - 0
    .max_flat_workgroup_size: 1024
    .name:           _ZN5aiter23act_and_mul_bias_kernelIffafTnPFfRKT2_EXadL_ZNS_11silu_kernelIfEEfRKT_EELi2EEEvPT0_PS8_PKT1_PS2_il
    .private_segment_fixed_size: 0
    .sgpr_count:     40
    .sgpr_spill_count: 0
    .symbol:         _ZN5aiter23act_and_mul_bias_kernelIffafTnPFfRKT2_EXadL_ZNS_11silu_kernelIfEEfRKT_EELi2EEEvPT0_PS8_PKT1_PS2_il.kd
    .uniform_work_group_size: 1
    .uses_dynamic_stack: false
    .vgpr_count:     16
    .vgpr_spill_count: 0
    .wavefront_size: 64
  - .agpr_count:     0
    .args:
      - .actual_access:  write_only
        .address_space:  global
        .offset:         0
        .size:           8
        .value_kind:     global_buffer
      - .actual_access:  read_only
        .address_space:  global
        .offset:         8
        .size:           8
        .value_kind:     global_buffer
      - .actual_access:  read_only
        .address_space:  global
        .offset:         16
        .size:           8
        .value_kind:     global_buffer
      - .actual_access:  read_only
        .address_space:  global
        .offset:         24
        .size:           8
        .value_kind:     global_buffer
      - .offset:         32
        .size:           4
        .value_kind:     by_value
      - .offset:         40
        .size:           8
        .value_kind:     by_value
      - .offset:         48
        .size:           4
        .value_kind:     hidden_block_count_x
      - .offset:         52
        .size:           4
        .value_kind:     hidden_block_count_y
      - .offset:         56
        .size:           4
        .value_kind:     hidden_block_count_z
      - .offset:         60
        .size:           2
        .value_kind:     hidden_group_size_x
      - .offset:         62
        .size:           2
        .value_kind:     hidden_group_size_y
      - .offset:         64
        .size:           2
        .value_kind:     hidden_group_size_z
      - .offset:         66
        .size:           2
        .value_kind:     hidden_remainder_x
      - .offset:         68
        .size:           2
        .value_kind:     hidden_remainder_y
      - .offset:         70
        .size:           2
        .value_kind:     hidden_remainder_z
      - .offset:         88
        .size:           8
        .value_kind:     hidden_global_offset_x
      - .offset:         96
        .size:           8
        .value_kind:     hidden_global_offset_y
      - .offset:         104
        .size:           8
        .value_kind:     hidden_global_offset_z
      - .offset:         112
        .size:           2
        .value_kind:     hidden_grid_dims
    .group_segment_fixed_size: 0
    .kernarg_segment_align: 8
    .kernarg_segment_size: 304
    .language:       OpenCL C
    .language_version:
      - 2
      - 0
    .max_flat_workgroup_size: 1024
    .name:           _ZN5aiter23act_and_mul_bias_kernelIffafTnPFfRKT2_EXadL_ZNS_11silu_kernelIfEEfRKT_EELi1EEEvPT0_PS8_PKT1_PS2_il
    .private_segment_fixed_size: 0
    .sgpr_count:     36
    .sgpr_spill_count: 0
    .symbol:         _ZN5aiter23act_and_mul_bias_kernelIffafTnPFfRKT2_EXadL_ZNS_11silu_kernelIfEEfRKT_EELi1EEEvPT0_PS8_PKT1_PS2_il.kd
    .uniform_work_group_size: 1
    .uses_dynamic_stack: false
    .vgpr_count:     9
    .vgpr_spill_count: 0
    .wavefront_size: 64
  - .agpr_count:     0
    .args:
      - .actual_access:  write_only
        .address_space:  global
        .offset:         0
        .size:           8
        .value_kind:     global_buffer
      - .actual_access:  read_only
        .address_space:  global
        .offset:         8
        .size:           8
        .value_kind:     global_buffer
      - .actual_access:  read_only
        .address_space:  global
        .offset:         16
        .size:           8
        .value_kind:     global_buffer
      - .actual_access:  read_only
        .address_space:  global
        .offset:         24
        .size:           8
        .value_kind:     global_buffer
      - .offset:         32
        .size:           4
        .value_kind:     by_value
      - .offset:         40
        .size:           8
        .value_kind:     by_value
      - .offset:         48
        .size:           4
        .value_kind:     hidden_block_count_x
      - .offset:         52
        .size:           4
        .value_kind:     hidden_block_count_y
      - .offset:         56
        .size:           4
        .value_kind:     hidden_block_count_z
      - .offset:         60
        .size:           2
        .value_kind:     hidden_group_size_x
      - .offset:         62
        .size:           2
        .value_kind:     hidden_group_size_y
      - .offset:         64
        .size:           2
        .value_kind:     hidden_group_size_z
      - .offset:         66
        .size:           2
        .value_kind:     hidden_remainder_x
      - .offset:         68
        .size:           2
        .value_kind:     hidden_remainder_y
      - .offset:         70
        .size:           2
        .value_kind:     hidden_remainder_z
      - .offset:         88
        .size:           8
        .value_kind:     hidden_global_offset_x
      - .offset:         96
        .size:           8
        .value_kind:     hidden_global_offset_y
      - .offset:         104
        .size:           8
        .value_kind:     hidden_global_offset_z
      - .offset:         112
        .size:           2
        .value_kind:     hidden_grid_dims
    .group_segment_fixed_size: 0
    .kernarg_segment_align: 8
    .kernarg_segment_size: 304
    .language:       OpenCL C
    .language_version:
      - 2
      - 0
    .max_flat_workgroup_size: 1024
    .name:           _ZN5aiter23act_and_mul_bias_kernelIDF16_DF16_afTnPFfRKT2_EXadL_ZNS_11silu_kernelIfEEfRKT_EELi32EEEvPT0_PS8_PKT1_PS2_il
    .private_segment_fixed_size: 0
    .sgpr_count:     47
    .sgpr_spill_count: 0
    .symbol:         _ZN5aiter23act_and_mul_bias_kernelIDF16_DF16_afTnPFfRKT2_EXadL_ZNS_11silu_kernelIfEEfRKT_EELi32EEEvPT0_PS8_PKT1_PS2_il.kd
    .uniform_work_group_size: 1
    .uses_dynamic_stack: false
    .vgpr_count:     83
    .vgpr_spill_count: 0
    .wavefront_size: 64
  - .agpr_count:     0
    .args:
      - .actual_access:  write_only
        .address_space:  global
        .offset:         0
        .size:           8
        .value_kind:     global_buffer
      - .actual_access:  read_only
        .address_space:  global
        .offset:         8
        .size:           8
        .value_kind:     global_buffer
      - .actual_access:  read_only
        .address_space:  global
        .offset:         16
        .size:           8
        .value_kind:     global_buffer
      - .actual_access:  read_only
        .address_space:  global
        .offset:         24
        .size:           8
        .value_kind:     global_buffer
      - .offset:         32
        .size:           4
        .value_kind:     by_value
      - .offset:         40
        .size:           8
        .value_kind:     by_value
      - .offset:         48
        .size:           4
        .value_kind:     hidden_block_count_x
      - .offset:         52
        .size:           4
        .value_kind:     hidden_block_count_y
      - .offset:         56
        .size:           4
        .value_kind:     hidden_block_count_z
      - .offset:         60
        .size:           2
        .value_kind:     hidden_group_size_x
      - .offset:         62
        .size:           2
        .value_kind:     hidden_group_size_y
      - .offset:         64
        .size:           2
        .value_kind:     hidden_group_size_z
      - .offset:         66
        .size:           2
        .value_kind:     hidden_remainder_x
      - .offset:         68
        .size:           2
        .value_kind:     hidden_remainder_y
      - .offset:         70
        .size:           2
        .value_kind:     hidden_remainder_z
      - .offset:         88
        .size:           8
        .value_kind:     hidden_global_offset_x
      - .offset:         96
        .size:           8
        .value_kind:     hidden_global_offset_y
      - .offset:         104
        .size:           8
        .value_kind:     hidden_global_offset_z
      - .offset:         112
        .size:           2
        .value_kind:     hidden_grid_dims
    .group_segment_fixed_size: 0
    .kernarg_segment_align: 8
    .kernarg_segment_size: 304
    .language:       OpenCL C
    .language_version:
      - 2
      - 0
    .max_flat_workgroup_size: 1024
    .name:           _ZN5aiter23act_and_mul_bias_kernelIDF16_DF16_afTnPFfRKT2_EXadL_ZNS_11silu_kernelIfEEfRKT_EELi16EEEvPT0_PS8_PKT1_PS2_il
    .private_segment_fixed_size: 0
    .sgpr_count:     37
    .sgpr_spill_count: 0
    .symbol:         _ZN5aiter23act_and_mul_bias_kernelIDF16_DF16_afTnPFfRKT2_EXadL_ZNS_11silu_kernelIfEEfRKT_EELi16EEEvPT0_PS8_PKT1_PS2_il.kd
    .uniform_work_group_size: 1
    .uses_dynamic_stack: false
    .vgpr_count:     54
    .vgpr_spill_count: 0
    .wavefront_size: 64
  - .agpr_count:     0
    .args:
      - .actual_access:  write_only
        .address_space:  global
        .offset:         0
        .size:           8
        .value_kind:     global_buffer
      - .actual_access:  read_only
        .address_space:  global
        .offset:         8
        .size:           8
        .value_kind:     global_buffer
      - .actual_access:  read_only
        .address_space:  global
        .offset:         16
        .size:           8
        .value_kind:     global_buffer
      - .actual_access:  read_only
        .address_space:  global
        .offset:         24
        .size:           8
        .value_kind:     global_buffer
      - .offset:         32
        .size:           4
        .value_kind:     by_value
      - .offset:         40
        .size:           8
        .value_kind:     by_value
      - .offset:         48
        .size:           4
        .value_kind:     hidden_block_count_x
      - .offset:         52
        .size:           4
        .value_kind:     hidden_block_count_y
      - .offset:         56
        .size:           4
        .value_kind:     hidden_block_count_z
      - .offset:         60
        .size:           2
        .value_kind:     hidden_group_size_x
      - .offset:         62
        .size:           2
        .value_kind:     hidden_group_size_y
      - .offset:         64
        .size:           2
        .value_kind:     hidden_group_size_z
      - .offset:         66
        .size:           2
        .value_kind:     hidden_remainder_x
      - .offset:         68
        .size:           2
        .value_kind:     hidden_remainder_y
      - .offset:         70
        .size:           2
        .value_kind:     hidden_remainder_z
      - .offset:         88
        .size:           8
        .value_kind:     hidden_global_offset_x
      - .offset:         96
        .size:           8
        .value_kind:     hidden_global_offset_y
      - .offset:         104
        .size:           8
        .value_kind:     hidden_global_offset_z
      - .offset:         112
        .size:           2
        .value_kind:     hidden_grid_dims
    .group_segment_fixed_size: 0
    .kernarg_segment_align: 8
    .kernarg_segment_size: 304
    .language:       OpenCL C
    .language_version:
      - 2
      - 0
    .max_flat_workgroup_size: 1024
    .name:           _ZN5aiter23act_and_mul_bias_kernelIDF16_DF16_afTnPFfRKT2_EXadL_ZNS_11silu_kernelIfEEfRKT_EELi8EEEvPT0_PS8_PKT1_PS2_il
    .private_segment_fixed_size: 0
    .sgpr_count:     52
    .sgpr_spill_count: 0
    .symbol:         _ZN5aiter23act_and_mul_bias_kernelIDF16_DF16_afTnPFfRKT2_EXadL_ZNS_11silu_kernelIfEEfRKT_EELi8EEEvPT0_PS8_PKT1_PS2_il.kd
    .uniform_work_group_size: 1
    .uses_dynamic_stack: false
    .vgpr_count:     44
    .vgpr_spill_count: 0
    .wavefront_size: 64
  - .agpr_count:     0
    .args:
      - .actual_access:  write_only
        .address_space:  global
        .offset:         0
        .size:           8
        .value_kind:     global_buffer
      - .actual_access:  read_only
        .address_space:  global
        .offset:         8
        .size:           8
        .value_kind:     global_buffer
      - .actual_access:  read_only
        .address_space:  global
        .offset:         16
        .size:           8
        .value_kind:     global_buffer
      - .actual_access:  read_only
        .address_space:  global
        .offset:         24
        .size:           8
        .value_kind:     global_buffer
      - .offset:         32
        .size:           4
        .value_kind:     by_value
      - .offset:         40
        .size:           8
        .value_kind:     by_value
      - .offset:         48
        .size:           4
        .value_kind:     hidden_block_count_x
      - .offset:         52
        .size:           4
        .value_kind:     hidden_block_count_y
      - .offset:         56
        .size:           4
        .value_kind:     hidden_block_count_z
      - .offset:         60
        .size:           2
        .value_kind:     hidden_group_size_x
      - .offset:         62
        .size:           2
        .value_kind:     hidden_group_size_y
      - .offset:         64
        .size:           2
        .value_kind:     hidden_group_size_z
      - .offset:         66
        .size:           2
        .value_kind:     hidden_remainder_x
      - .offset:         68
        .size:           2
        .value_kind:     hidden_remainder_y
      - .offset:         70
        .size:           2
        .value_kind:     hidden_remainder_z
      - .offset:         88
        .size:           8
        .value_kind:     hidden_global_offset_x
      - .offset:         96
        .size:           8
        .value_kind:     hidden_global_offset_y
      - .offset:         104
        .size:           8
        .value_kind:     hidden_global_offset_z
      - .offset:         112
        .size:           2
        .value_kind:     hidden_grid_dims
    .group_segment_fixed_size: 0
    .kernarg_segment_align: 8
    .kernarg_segment_size: 304
    .language:       OpenCL C
    .language_version:
      - 2
      - 0
    .max_flat_workgroup_size: 1024
    .name:           _ZN5aiter23act_and_mul_bias_kernelIDF16_DF16_afTnPFfRKT2_EXadL_ZNS_11silu_kernelIfEEfRKT_EELi4EEEvPT0_PS8_PKT1_PS2_il
    .private_segment_fixed_size: 0
    .sgpr_count:     44
    .sgpr_spill_count: 0
    .symbol:         _ZN5aiter23act_and_mul_bias_kernelIDF16_DF16_afTnPFfRKT2_EXadL_ZNS_11silu_kernelIfEEfRKT_EELi4EEEvPT0_PS8_PKT1_PS2_il.kd
    .uniform_work_group_size: 1
    .uses_dynamic_stack: false
    .vgpr_count:     24
    .vgpr_spill_count: 0
    .wavefront_size: 64
  - .agpr_count:     0
    .args:
      - .actual_access:  write_only
        .address_space:  global
        .offset:         0
        .size:           8
        .value_kind:     global_buffer
      - .actual_access:  read_only
        .address_space:  global
        .offset:         8
        .size:           8
        .value_kind:     global_buffer
      - .actual_access:  read_only
        .address_space:  global
        .offset:         16
        .size:           8
        .value_kind:     global_buffer
      - .actual_access:  read_only
        .address_space:  global
        .offset:         24
        .size:           8
        .value_kind:     global_buffer
      - .offset:         32
        .size:           4
        .value_kind:     by_value
      - .offset:         40
        .size:           8
        .value_kind:     by_value
      - .offset:         48
        .size:           4
        .value_kind:     hidden_block_count_x
      - .offset:         52
        .size:           4
        .value_kind:     hidden_block_count_y
      - .offset:         56
        .size:           4
        .value_kind:     hidden_block_count_z
      - .offset:         60
        .size:           2
        .value_kind:     hidden_group_size_x
      - .offset:         62
        .size:           2
        .value_kind:     hidden_group_size_y
      - .offset:         64
        .size:           2
        .value_kind:     hidden_group_size_z
      - .offset:         66
        .size:           2
        .value_kind:     hidden_remainder_x
      - .offset:         68
        .size:           2
        .value_kind:     hidden_remainder_y
      - .offset:         70
        .size:           2
        .value_kind:     hidden_remainder_z
      - .offset:         88
        .size:           8
        .value_kind:     hidden_global_offset_x
      - .offset:         96
        .size:           8
        .value_kind:     hidden_global_offset_y
      - .offset:         104
        .size:           8
        .value_kind:     hidden_global_offset_z
      - .offset:         112
        .size:           2
        .value_kind:     hidden_grid_dims
    .group_segment_fixed_size: 0
    .kernarg_segment_align: 8
    .kernarg_segment_size: 304
    .language:       OpenCL C
    .language_version:
      - 2
      - 0
    .max_flat_workgroup_size: 1024
    .name:           _ZN5aiter23act_and_mul_bias_kernelIDF16_DF16_afTnPFfRKT2_EXadL_ZNS_11silu_kernelIfEEfRKT_EELi2EEEvPT0_PS8_PKT1_PS2_il
    .private_segment_fixed_size: 0
    .sgpr_count:     40
    .sgpr_spill_count: 0
    .symbol:         _ZN5aiter23act_and_mul_bias_kernelIDF16_DF16_afTnPFfRKT2_EXadL_ZNS_11silu_kernelIfEEfRKT_EELi2EEEvPT0_PS8_PKT1_PS2_il.kd
    .uniform_work_group_size: 1
    .uses_dynamic_stack: false
    .vgpr_count:     14
    .vgpr_spill_count: 0
    .wavefront_size: 64
  - .agpr_count:     0
    .args:
      - .actual_access:  write_only
        .address_space:  global
        .offset:         0
        .size:           8
        .value_kind:     global_buffer
      - .actual_access:  read_only
        .address_space:  global
        .offset:         8
        .size:           8
        .value_kind:     global_buffer
      - .actual_access:  read_only
        .address_space:  global
        .offset:         16
        .size:           8
        .value_kind:     global_buffer
      - .actual_access:  read_only
        .address_space:  global
        .offset:         24
        .size:           8
        .value_kind:     global_buffer
      - .offset:         32
        .size:           4
        .value_kind:     by_value
      - .offset:         40
        .size:           8
        .value_kind:     by_value
      - .offset:         48
        .size:           4
        .value_kind:     hidden_block_count_x
      - .offset:         52
        .size:           4
        .value_kind:     hidden_block_count_y
      - .offset:         56
        .size:           4
        .value_kind:     hidden_block_count_z
      - .offset:         60
        .size:           2
        .value_kind:     hidden_group_size_x
      - .offset:         62
        .size:           2
        .value_kind:     hidden_group_size_y
      - .offset:         64
        .size:           2
        .value_kind:     hidden_group_size_z
      - .offset:         66
        .size:           2
        .value_kind:     hidden_remainder_x
      - .offset:         68
        .size:           2
        .value_kind:     hidden_remainder_y
      - .offset:         70
        .size:           2
        .value_kind:     hidden_remainder_z
      - .offset:         88
        .size:           8
        .value_kind:     hidden_global_offset_x
      - .offset:         96
        .size:           8
        .value_kind:     hidden_global_offset_y
      - .offset:         104
        .size:           8
        .value_kind:     hidden_global_offset_z
      - .offset:         112
        .size:           2
        .value_kind:     hidden_grid_dims
    .group_segment_fixed_size: 0
    .kernarg_segment_align: 8
    .kernarg_segment_size: 304
    .language:       OpenCL C
    .language_version:
      - 2
      - 0
    .max_flat_workgroup_size: 1024
    .name:           _ZN5aiter23act_and_mul_bias_kernelIDF16_DF16_afTnPFfRKT2_EXadL_ZNS_11silu_kernelIfEEfRKT_EELi1EEEvPT0_PS8_PKT1_PS2_il
    .private_segment_fixed_size: 0
    .sgpr_count:     37
    .sgpr_spill_count: 0
    .symbol:         _ZN5aiter23act_and_mul_bias_kernelIDF16_DF16_afTnPFfRKT2_EXadL_ZNS_11silu_kernelIfEEfRKT_EELi1EEEvPT0_PS8_PKT1_PS2_il.kd
    .uniform_work_group_size: 1
    .uses_dynamic_stack: false
    .vgpr_count:     10
    .vgpr_spill_count: 0
    .wavefront_size: 64
  - .agpr_count:     0
    .args:
      - .actual_access:  write_only
        .address_space:  global
        .offset:         0
        .size:           8
        .value_kind:     global_buffer
      - .actual_access:  read_only
        .address_space:  global
        .offset:         8
        .size:           8
        .value_kind:     global_buffer
      - .actual_access:  read_only
        .address_space:  global
        .offset:         16
        .size:           8
        .value_kind:     global_buffer
      - .actual_access:  read_only
        .address_space:  global
        .offset:         24
        .size:           8
        .value_kind:     global_buffer
      - .offset:         32
        .size:           4
        .value_kind:     by_value
      - .offset:         40
        .size:           8
        .value_kind:     by_value
      - .offset:         48
        .size:           4
        .value_kind:     hidden_block_count_x
      - .offset:         52
        .size:           4
        .value_kind:     hidden_block_count_y
      - .offset:         56
        .size:           4
        .value_kind:     hidden_block_count_z
      - .offset:         60
        .size:           2
        .value_kind:     hidden_group_size_x
      - .offset:         62
        .size:           2
        .value_kind:     hidden_group_size_y
      - .offset:         64
        .size:           2
        .value_kind:     hidden_group_size_z
      - .offset:         66
        .size:           2
        .value_kind:     hidden_remainder_x
      - .offset:         68
        .size:           2
        .value_kind:     hidden_remainder_y
      - .offset:         70
        .size:           2
        .value_kind:     hidden_remainder_z
      - .offset:         88
        .size:           8
        .value_kind:     hidden_global_offset_x
      - .offset:         96
        .size:           8
        .value_kind:     hidden_global_offset_y
      - .offset:         104
        .size:           8
        .value_kind:     hidden_global_offset_z
      - .offset:         112
        .size:           2
        .value_kind:     hidden_grid_dims
    .group_segment_fixed_size: 0
    .kernarg_segment_align: 8
    .kernarg_segment_size: 304
    .language:       OpenCL C
    .language_version:
      - 2
      - 0
    .max_flat_workgroup_size: 1024
    .name:           _ZN5aiter23act_and_mul_bias_kernelIttafTnPFfRKT2_EXadL_ZNS_11silu_kernelIfEEfRKT_EELi32EEEvPT0_PS8_PKT1_PS2_il
    .private_segment_fixed_size: 0
    .sgpr_count:     48
    .sgpr_spill_count: 0
    .symbol:         _ZN5aiter23act_and_mul_bias_kernelIttafTnPFfRKT2_EXadL_ZNS_11silu_kernelIfEEfRKT_EELi32EEEvPT0_PS8_PKT1_PS2_il.kd
    .uniform_work_group_size: 1
    .uses_dynamic_stack: false
    .vgpr_count:     83
    .vgpr_spill_count: 0
    .wavefront_size: 64
  - .agpr_count:     0
    .args:
      - .actual_access:  write_only
        .address_space:  global
        .offset:         0
        .size:           8
        .value_kind:     global_buffer
      - .actual_access:  read_only
        .address_space:  global
        .offset:         8
        .size:           8
        .value_kind:     global_buffer
      - .actual_access:  read_only
        .address_space:  global
        .offset:         16
        .size:           8
        .value_kind:     global_buffer
      - .actual_access:  read_only
        .address_space:  global
        .offset:         24
        .size:           8
        .value_kind:     global_buffer
      - .offset:         32
        .size:           4
        .value_kind:     by_value
      - .offset:         40
        .size:           8
        .value_kind:     by_value
      - .offset:         48
        .size:           4
        .value_kind:     hidden_block_count_x
      - .offset:         52
        .size:           4
        .value_kind:     hidden_block_count_y
      - .offset:         56
        .size:           4
        .value_kind:     hidden_block_count_z
      - .offset:         60
        .size:           2
        .value_kind:     hidden_group_size_x
      - .offset:         62
        .size:           2
        .value_kind:     hidden_group_size_y
      - .offset:         64
        .size:           2
        .value_kind:     hidden_group_size_z
      - .offset:         66
        .size:           2
        .value_kind:     hidden_remainder_x
      - .offset:         68
        .size:           2
        .value_kind:     hidden_remainder_y
      - .offset:         70
        .size:           2
        .value_kind:     hidden_remainder_z
      - .offset:         88
        .size:           8
        .value_kind:     hidden_global_offset_x
      - .offset:         96
        .size:           8
        .value_kind:     hidden_global_offset_y
      - .offset:         104
        .size:           8
        .value_kind:     hidden_global_offset_z
      - .offset:         112
        .size:           2
        .value_kind:     hidden_grid_dims
    .group_segment_fixed_size: 0
    .kernarg_segment_align: 8
    .kernarg_segment_size: 304
    .language:       OpenCL C
    .language_version:
      - 2
      - 0
    .max_flat_workgroup_size: 1024
    .name:           _ZN5aiter23act_and_mul_bias_kernelIttafTnPFfRKT2_EXadL_ZNS_11silu_kernelIfEEfRKT_EELi16EEEvPT0_PS8_PKT1_PS2_il
    .private_segment_fixed_size: 0
    .sgpr_count:     38
    .sgpr_spill_count: 0
    .symbol:         _ZN5aiter23act_and_mul_bias_kernelIttafTnPFfRKT2_EXadL_ZNS_11silu_kernelIfEEfRKT_EELi16EEEvPT0_PS8_PKT1_PS2_il.kd
    .uniform_work_group_size: 1
    .uses_dynamic_stack: false
    .vgpr_count:     54
    .vgpr_spill_count: 0
    .wavefront_size: 64
  - .agpr_count:     0
    .args:
      - .actual_access:  write_only
        .address_space:  global
        .offset:         0
        .size:           8
        .value_kind:     global_buffer
      - .actual_access:  read_only
        .address_space:  global
        .offset:         8
        .size:           8
        .value_kind:     global_buffer
      - .actual_access:  read_only
        .address_space:  global
        .offset:         16
        .size:           8
        .value_kind:     global_buffer
      - .actual_access:  read_only
        .address_space:  global
        .offset:         24
        .size:           8
        .value_kind:     global_buffer
      - .offset:         32
        .size:           4
        .value_kind:     by_value
      - .offset:         40
        .size:           8
        .value_kind:     by_value
      - .offset:         48
        .size:           4
        .value_kind:     hidden_block_count_x
      - .offset:         52
        .size:           4
        .value_kind:     hidden_block_count_y
      - .offset:         56
        .size:           4
        .value_kind:     hidden_block_count_z
      - .offset:         60
        .size:           2
        .value_kind:     hidden_group_size_x
      - .offset:         62
        .size:           2
        .value_kind:     hidden_group_size_y
      - .offset:         64
        .size:           2
        .value_kind:     hidden_group_size_z
      - .offset:         66
        .size:           2
        .value_kind:     hidden_remainder_x
      - .offset:         68
        .size:           2
        .value_kind:     hidden_remainder_y
      - .offset:         70
        .size:           2
        .value_kind:     hidden_remainder_z
      - .offset:         88
        .size:           8
        .value_kind:     hidden_global_offset_x
      - .offset:         96
        .size:           8
        .value_kind:     hidden_global_offset_y
      - .offset:         104
        .size:           8
        .value_kind:     hidden_global_offset_z
      - .offset:         112
        .size:           2
        .value_kind:     hidden_grid_dims
    .group_segment_fixed_size: 0
    .kernarg_segment_align: 8
    .kernarg_segment_size: 304
    .language:       OpenCL C
    .language_version:
      - 2
      - 0
    .max_flat_workgroup_size: 1024
    .name:           _ZN5aiter23act_and_mul_bias_kernelIttafTnPFfRKT2_EXadL_ZNS_11silu_kernelIfEEfRKT_EELi8EEEvPT0_PS8_PKT1_PS2_il
    .private_segment_fixed_size: 0
    .sgpr_count:     53
    .sgpr_spill_count: 0
    .symbol:         _ZN5aiter23act_and_mul_bias_kernelIttafTnPFfRKT2_EXadL_ZNS_11silu_kernelIfEEfRKT_EELi8EEEvPT0_PS8_PKT1_PS2_il.kd
    .uniform_work_group_size: 1
    .uses_dynamic_stack: false
    .vgpr_count:     44
    .vgpr_spill_count: 0
    .wavefront_size: 64
  - .agpr_count:     0
    .args:
      - .actual_access:  write_only
        .address_space:  global
        .offset:         0
        .size:           8
        .value_kind:     global_buffer
      - .actual_access:  read_only
        .address_space:  global
        .offset:         8
        .size:           8
        .value_kind:     global_buffer
      - .actual_access:  read_only
        .address_space:  global
        .offset:         16
        .size:           8
        .value_kind:     global_buffer
      - .actual_access:  read_only
        .address_space:  global
        .offset:         24
        .size:           8
        .value_kind:     global_buffer
      - .offset:         32
        .size:           4
        .value_kind:     by_value
      - .offset:         40
        .size:           8
        .value_kind:     by_value
      - .offset:         48
        .size:           4
        .value_kind:     hidden_block_count_x
      - .offset:         52
        .size:           4
        .value_kind:     hidden_block_count_y
      - .offset:         56
        .size:           4
        .value_kind:     hidden_block_count_z
      - .offset:         60
        .size:           2
        .value_kind:     hidden_group_size_x
      - .offset:         62
        .size:           2
        .value_kind:     hidden_group_size_y
      - .offset:         64
        .size:           2
        .value_kind:     hidden_group_size_z
      - .offset:         66
        .size:           2
        .value_kind:     hidden_remainder_x
      - .offset:         68
        .size:           2
        .value_kind:     hidden_remainder_y
      - .offset:         70
        .size:           2
        .value_kind:     hidden_remainder_z
      - .offset:         88
        .size:           8
        .value_kind:     hidden_global_offset_x
      - .offset:         96
        .size:           8
        .value_kind:     hidden_global_offset_y
      - .offset:         104
        .size:           8
        .value_kind:     hidden_global_offset_z
      - .offset:         112
        .size:           2
        .value_kind:     hidden_grid_dims
    .group_segment_fixed_size: 0
    .kernarg_segment_align: 8
    .kernarg_segment_size: 304
    .language:       OpenCL C
    .language_version:
      - 2
      - 0
    .max_flat_workgroup_size: 1024
    .name:           _ZN5aiter23act_and_mul_bias_kernelIttafTnPFfRKT2_EXadL_ZNS_11silu_kernelIfEEfRKT_EELi4EEEvPT0_PS8_PKT1_PS2_il
    .private_segment_fixed_size: 0
    .sgpr_count:     45
    .sgpr_spill_count: 0
    .symbol:         _ZN5aiter23act_and_mul_bias_kernelIttafTnPFfRKT2_EXadL_ZNS_11silu_kernelIfEEfRKT_EELi4EEEvPT0_PS8_PKT1_PS2_il.kd
    .uniform_work_group_size: 1
    .uses_dynamic_stack: false
    .vgpr_count:     24
    .vgpr_spill_count: 0
    .wavefront_size: 64
  - .agpr_count:     0
    .args:
      - .actual_access:  write_only
        .address_space:  global
        .offset:         0
        .size:           8
        .value_kind:     global_buffer
      - .actual_access:  read_only
        .address_space:  global
        .offset:         8
        .size:           8
        .value_kind:     global_buffer
      - .actual_access:  read_only
        .address_space:  global
        .offset:         16
        .size:           8
        .value_kind:     global_buffer
      - .actual_access:  read_only
        .address_space:  global
        .offset:         24
        .size:           8
        .value_kind:     global_buffer
      - .offset:         32
        .size:           4
        .value_kind:     by_value
      - .offset:         40
        .size:           8
        .value_kind:     by_value
      - .offset:         48
        .size:           4
        .value_kind:     hidden_block_count_x
      - .offset:         52
        .size:           4
        .value_kind:     hidden_block_count_y
      - .offset:         56
        .size:           4
        .value_kind:     hidden_block_count_z
      - .offset:         60
        .size:           2
        .value_kind:     hidden_group_size_x
      - .offset:         62
        .size:           2
        .value_kind:     hidden_group_size_y
      - .offset:         64
        .size:           2
        .value_kind:     hidden_group_size_z
      - .offset:         66
        .size:           2
        .value_kind:     hidden_remainder_x
      - .offset:         68
        .size:           2
        .value_kind:     hidden_remainder_y
      - .offset:         70
        .size:           2
        .value_kind:     hidden_remainder_z
      - .offset:         88
        .size:           8
        .value_kind:     hidden_global_offset_x
      - .offset:         96
        .size:           8
        .value_kind:     hidden_global_offset_y
      - .offset:         104
        .size:           8
        .value_kind:     hidden_global_offset_z
      - .offset:         112
        .size:           2
        .value_kind:     hidden_grid_dims
    .group_segment_fixed_size: 0
    .kernarg_segment_align: 8
    .kernarg_segment_size: 304
    .language:       OpenCL C
    .language_version:
      - 2
      - 0
    .max_flat_workgroup_size: 1024
    .name:           _ZN5aiter23act_and_mul_bias_kernelIttafTnPFfRKT2_EXadL_ZNS_11silu_kernelIfEEfRKT_EELi2EEEvPT0_PS8_PKT1_PS2_il
    .private_segment_fixed_size: 0
    .sgpr_count:     41
    .sgpr_spill_count: 0
    .symbol:         _ZN5aiter23act_and_mul_bias_kernelIttafTnPFfRKT2_EXadL_ZNS_11silu_kernelIfEEfRKT_EELi2EEEvPT0_PS8_PKT1_PS2_il.kd
    .uniform_work_group_size: 1
    .uses_dynamic_stack: false
    .vgpr_count:     16
    .vgpr_spill_count: 0
    .wavefront_size: 64
  - .agpr_count:     0
    .args:
      - .actual_access:  write_only
        .address_space:  global
        .offset:         0
        .size:           8
        .value_kind:     global_buffer
      - .actual_access:  read_only
        .address_space:  global
        .offset:         8
        .size:           8
        .value_kind:     global_buffer
      - .actual_access:  read_only
        .address_space:  global
        .offset:         16
        .size:           8
        .value_kind:     global_buffer
      - .actual_access:  read_only
        .address_space:  global
        .offset:         24
        .size:           8
        .value_kind:     global_buffer
      - .offset:         32
        .size:           4
        .value_kind:     by_value
      - .offset:         40
        .size:           8
        .value_kind:     by_value
      - .offset:         48
        .size:           4
        .value_kind:     hidden_block_count_x
      - .offset:         52
        .size:           4
        .value_kind:     hidden_block_count_y
      - .offset:         56
        .size:           4
        .value_kind:     hidden_block_count_z
      - .offset:         60
        .size:           2
        .value_kind:     hidden_group_size_x
      - .offset:         62
        .size:           2
        .value_kind:     hidden_group_size_y
      - .offset:         64
        .size:           2
        .value_kind:     hidden_group_size_z
      - .offset:         66
        .size:           2
        .value_kind:     hidden_remainder_x
      - .offset:         68
        .size:           2
        .value_kind:     hidden_remainder_y
      - .offset:         70
        .size:           2
        .value_kind:     hidden_remainder_z
      - .offset:         88
        .size:           8
        .value_kind:     hidden_global_offset_x
      - .offset:         96
        .size:           8
        .value_kind:     hidden_global_offset_y
      - .offset:         104
        .size:           8
        .value_kind:     hidden_global_offset_z
      - .offset:         112
        .size:           2
        .value_kind:     hidden_grid_dims
    .group_segment_fixed_size: 0
    .kernarg_segment_align: 8
    .kernarg_segment_size: 304
    .language:       OpenCL C
    .language_version:
      - 2
      - 0
    .max_flat_workgroup_size: 1024
    .name:           _ZN5aiter23act_and_mul_bias_kernelIttafTnPFfRKT2_EXadL_ZNS_11silu_kernelIfEEfRKT_EELi1EEEvPT0_PS8_PKT1_PS2_il
    .private_segment_fixed_size: 0
    .sgpr_count:     37
    .sgpr_spill_count: 0
    .symbol:         _ZN5aiter23act_and_mul_bias_kernelIttafTnPFfRKT2_EXadL_ZNS_11silu_kernelIfEEfRKT_EELi1EEEvPT0_PS8_PKT1_PS2_il.kd
    .uniform_work_group_size: 1
    .uses_dynamic_stack: false
    .vgpr_count:     10
    .vgpr_spill_count: 0
    .wavefront_size: 64
  - .agpr_count:     0
    .args:
      - .actual_access:  write_only
        .address_space:  global
        .offset:         0
        .size:           8
        .value_kind:     global_buffer
      - .actual_access:  read_only
        .address_space:  global
        .offset:         8
        .size:           8
        .value_kind:     global_buffer
      - .actual_access:  read_only
        .address_space:  global
        .offset:         16
        .size:           8
        .value_kind:     global_buffer
      - .actual_access:  read_only
        .address_space:  global
        .offset:         24
        .size:           8
        .value_kind:     global_buffer
      - .offset:         32
        .size:           4
        .value_kind:     by_value
      - .offset:         40
        .size:           8
        .value_kind:     by_value
      - .offset:         48
        .size:           4
        .value_kind:     hidden_block_count_x
      - .offset:         52
        .size:           4
        .value_kind:     hidden_block_count_y
      - .offset:         56
        .size:           4
        .value_kind:     hidden_block_count_z
      - .offset:         60
        .size:           2
        .value_kind:     hidden_group_size_x
      - .offset:         62
        .size:           2
        .value_kind:     hidden_group_size_y
      - .offset:         64
        .size:           2
        .value_kind:     hidden_group_size_z
      - .offset:         66
        .size:           2
        .value_kind:     hidden_remainder_x
      - .offset:         68
        .size:           2
        .value_kind:     hidden_remainder_y
      - .offset:         70
        .size:           2
        .value_kind:     hidden_remainder_z
      - .offset:         88
        .size:           8
        .value_kind:     hidden_global_offset_x
      - .offset:         96
        .size:           8
        .value_kind:     hidden_global_offset_y
      - .offset:         104
        .size:           8
        .value_kind:     hidden_global_offset_z
      - .offset:         112
        .size:           2
        .value_kind:     hidden_grid_dims
    .group_segment_fixed_size: 0
    .kernarg_segment_align: 8
    .kernarg_segment_size: 304
    .language:       OpenCL C
    .language_version:
      - 2
      - 0
    .max_flat_workgroup_size: 1024
    .name:           _ZN5aiter23act_and_mul_bias_kernelIftsfTnPFfRKT2_EXadL_ZNS_11silu_kernelIfEEfRKT_EELi16EEEvPT0_PS8_PKT1_PS2_il
    .private_segment_fixed_size: 0
    .sgpr_count:     69
    .sgpr_spill_count: 0
    .symbol:         _ZN5aiter23act_and_mul_bias_kernelIftsfTnPFfRKT2_EXadL_ZNS_11silu_kernelIfEEfRKT_EELi16EEEvPT0_PS8_PKT1_PS2_il.kd
    .uniform_work_group_size: 1
    .uses_dynamic_stack: false
    .vgpr_count:     68
    .vgpr_spill_count: 0
    .wavefront_size: 64
  - .agpr_count:     0
    .args:
      - .actual_access:  write_only
        .address_space:  global
        .offset:         0
        .size:           8
        .value_kind:     global_buffer
      - .actual_access:  read_only
        .address_space:  global
        .offset:         8
        .size:           8
        .value_kind:     global_buffer
      - .actual_access:  read_only
        .address_space:  global
        .offset:         16
        .size:           8
        .value_kind:     global_buffer
      - .actual_access:  read_only
        .address_space:  global
        .offset:         24
        .size:           8
        .value_kind:     global_buffer
      - .offset:         32
        .size:           4
        .value_kind:     by_value
      - .offset:         40
        .size:           8
        .value_kind:     by_value
      - .offset:         48
        .size:           4
        .value_kind:     hidden_block_count_x
      - .offset:         52
        .size:           4
        .value_kind:     hidden_block_count_y
      - .offset:         56
        .size:           4
        .value_kind:     hidden_block_count_z
      - .offset:         60
        .size:           2
        .value_kind:     hidden_group_size_x
      - .offset:         62
        .size:           2
        .value_kind:     hidden_group_size_y
      - .offset:         64
        .size:           2
        .value_kind:     hidden_group_size_z
      - .offset:         66
        .size:           2
        .value_kind:     hidden_remainder_x
      - .offset:         68
        .size:           2
        .value_kind:     hidden_remainder_y
      - .offset:         70
        .size:           2
        .value_kind:     hidden_remainder_z
      - .offset:         88
        .size:           8
        .value_kind:     hidden_global_offset_x
      - .offset:         96
        .size:           8
        .value_kind:     hidden_global_offset_y
      - .offset:         104
        .size:           8
        .value_kind:     hidden_global_offset_z
      - .offset:         112
        .size:           2
        .value_kind:     hidden_grid_dims
    .group_segment_fixed_size: 0
    .kernarg_segment_align: 8
    .kernarg_segment_size: 304
    .language:       OpenCL C
    .language_version:
      - 2
      - 0
    .max_flat_workgroup_size: 1024
    .name:           _ZN5aiter23act_and_mul_bias_kernelIftsfTnPFfRKT2_EXadL_ZNS_11silu_kernelIfEEfRKT_EELi8EEEvPT0_PS8_PKT1_PS2_il
    .private_segment_fixed_size: 0
    .sgpr_count:     53
    .sgpr_spill_count: 0
    .symbol:         _ZN5aiter23act_and_mul_bias_kernelIftsfTnPFfRKT2_EXadL_ZNS_11silu_kernelIfEEfRKT_EELi8EEEvPT0_PS8_PKT1_PS2_il.kd
    .uniform_work_group_size: 1
    .uses_dynamic_stack: false
    .vgpr_count:     44
    .vgpr_spill_count: 0
    .wavefront_size: 64
  - .agpr_count:     0
    .args:
      - .actual_access:  write_only
        .address_space:  global
        .offset:         0
        .size:           8
        .value_kind:     global_buffer
      - .actual_access:  read_only
        .address_space:  global
        .offset:         8
        .size:           8
        .value_kind:     global_buffer
      - .actual_access:  read_only
        .address_space:  global
        .offset:         16
        .size:           8
        .value_kind:     global_buffer
      - .actual_access:  read_only
        .address_space:  global
        .offset:         24
        .size:           8
        .value_kind:     global_buffer
      - .offset:         32
        .size:           4
        .value_kind:     by_value
      - .offset:         40
        .size:           8
        .value_kind:     by_value
      - .offset:         48
        .size:           4
        .value_kind:     hidden_block_count_x
      - .offset:         52
        .size:           4
        .value_kind:     hidden_block_count_y
      - .offset:         56
        .size:           4
        .value_kind:     hidden_block_count_z
      - .offset:         60
        .size:           2
        .value_kind:     hidden_group_size_x
      - .offset:         62
        .size:           2
        .value_kind:     hidden_group_size_y
      - .offset:         64
        .size:           2
        .value_kind:     hidden_group_size_z
      - .offset:         66
        .size:           2
        .value_kind:     hidden_remainder_x
      - .offset:         68
        .size:           2
        .value_kind:     hidden_remainder_y
      - .offset:         70
        .size:           2
        .value_kind:     hidden_remainder_z
      - .offset:         88
        .size:           8
        .value_kind:     hidden_global_offset_x
      - .offset:         96
        .size:           8
        .value_kind:     hidden_global_offset_y
      - .offset:         104
        .size:           8
        .value_kind:     hidden_global_offset_z
      - .offset:         112
        .size:           2
        .value_kind:     hidden_grid_dims
    .group_segment_fixed_size: 0
    .kernarg_segment_align: 8
    .kernarg_segment_size: 304
    .language:       OpenCL C
    .language_version:
      - 2
      - 0
    .max_flat_workgroup_size: 1024
    .name:           _ZN5aiter23act_and_mul_bias_kernelIftsfTnPFfRKT2_EXadL_ZNS_11silu_kernelIfEEfRKT_EELi4EEEvPT0_PS8_PKT1_PS2_il
    .private_segment_fixed_size: 0
    .sgpr_count:     45
    .sgpr_spill_count: 0
    .symbol:         _ZN5aiter23act_and_mul_bias_kernelIftsfTnPFfRKT2_EXadL_ZNS_11silu_kernelIfEEfRKT_EELi4EEEvPT0_PS8_PKT1_PS2_il.kd
    .uniform_work_group_size: 1
    .uses_dynamic_stack: false
    .vgpr_count:     23
    .vgpr_spill_count: 0
    .wavefront_size: 64
  - .agpr_count:     0
    .args:
      - .actual_access:  write_only
        .address_space:  global
        .offset:         0
        .size:           8
        .value_kind:     global_buffer
      - .actual_access:  read_only
        .address_space:  global
        .offset:         8
        .size:           8
        .value_kind:     global_buffer
      - .actual_access:  read_only
        .address_space:  global
        .offset:         16
        .size:           8
        .value_kind:     global_buffer
      - .actual_access:  read_only
        .address_space:  global
        .offset:         24
        .size:           8
        .value_kind:     global_buffer
      - .offset:         32
        .size:           4
        .value_kind:     by_value
      - .offset:         40
        .size:           8
        .value_kind:     by_value
      - .offset:         48
        .size:           4
        .value_kind:     hidden_block_count_x
      - .offset:         52
        .size:           4
        .value_kind:     hidden_block_count_y
      - .offset:         56
        .size:           4
        .value_kind:     hidden_block_count_z
      - .offset:         60
        .size:           2
        .value_kind:     hidden_group_size_x
      - .offset:         62
        .size:           2
        .value_kind:     hidden_group_size_y
      - .offset:         64
        .size:           2
        .value_kind:     hidden_group_size_z
      - .offset:         66
        .size:           2
        .value_kind:     hidden_remainder_x
      - .offset:         68
        .size:           2
        .value_kind:     hidden_remainder_y
      - .offset:         70
        .size:           2
        .value_kind:     hidden_remainder_z
      - .offset:         88
        .size:           8
        .value_kind:     hidden_global_offset_x
      - .offset:         96
        .size:           8
        .value_kind:     hidden_global_offset_y
      - .offset:         104
        .size:           8
        .value_kind:     hidden_global_offset_z
      - .offset:         112
        .size:           2
        .value_kind:     hidden_grid_dims
    .group_segment_fixed_size: 0
    .kernarg_segment_align: 8
    .kernarg_segment_size: 304
    .language:       OpenCL C
    .language_version:
      - 2
      - 0
    .max_flat_workgroup_size: 1024
    .name:           _ZN5aiter23act_and_mul_bias_kernelIftsfTnPFfRKT2_EXadL_ZNS_11silu_kernelIfEEfRKT_EELi2EEEvPT0_PS8_PKT1_PS2_il
    .private_segment_fixed_size: 0
    .sgpr_count:     41
    .sgpr_spill_count: 0
    .symbol:         _ZN5aiter23act_and_mul_bias_kernelIftsfTnPFfRKT2_EXadL_ZNS_11silu_kernelIfEEfRKT_EELi2EEEvPT0_PS8_PKT1_PS2_il.kd
    .uniform_work_group_size: 1
    .uses_dynamic_stack: false
    .vgpr_count:     15
    .vgpr_spill_count: 0
    .wavefront_size: 64
  - .agpr_count:     0
    .args:
      - .actual_access:  write_only
        .address_space:  global
        .offset:         0
        .size:           8
        .value_kind:     global_buffer
      - .actual_access:  read_only
        .address_space:  global
        .offset:         8
        .size:           8
        .value_kind:     global_buffer
      - .actual_access:  read_only
        .address_space:  global
        .offset:         16
        .size:           8
        .value_kind:     global_buffer
      - .actual_access:  read_only
        .address_space:  global
        .offset:         24
        .size:           8
        .value_kind:     global_buffer
      - .offset:         32
        .size:           4
        .value_kind:     by_value
      - .offset:         40
        .size:           8
        .value_kind:     by_value
      - .offset:         48
        .size:           4
        .value_kind:     hidden_block_count_x
      - .offset:         52
        .size:           4
        .value_kind:     hidden_block_count_y
      - .offset:         56
        .size:           4
        .value_kind:     hidden_block_count_z
      - .offset:         60
        .size:           2
        .value_kind:     hidden_group_size_x
      - .offset:         62
        .size:           2
        .value_kind:     hidden_group_size_y
      - .offset:         64
        .size:           2
        .value_kind:     hidden_group_size_z
      - .offset:         66
        .size:           2
        .value_kind:     hidden_remainder_x
      - .offset:         68
        .size:           2
        .value_kind:     hidden_remainder_y
      - .offset:         70
        .size:           2
        .value_kind:     hidden_remainder_z
      - .offset:         88
        .size:           8
        .value_kind:     hidden_global_offset_x
      - .offset:         96
        .size:           8
        .value_kind:     hidden_global_offset_y
      - .offset:         104
        .size:           8
        .value_kind:     hidden_global_offset_z
      - .offset:         112
        .size:           2
        .value_kind:     hidden_grid_dims
    .group_segment_fixed_size: 0
    .kernarg_segment_align: 8
    .kernarg_segment_size: 304
    .language:       OpenCL C
    .language_version:
      - 2
      - 0
    .max_flat_workgroup_size: 1024
    .name:           _ZN5aiter23act_and_mul_bias_kernelIftsfTnPFfRKT2_EXadL_ZNS_11silu_kernelIfEEfRKT_EELi1EEEvPT0_PS8_PKT1_PS2_il
    .private_segment_fixed_size: 0
    .sgpr_count:     37
    .sgpr_spill_count: 0
    .symbol:         _ZN5aiter23act_and_mul_bias_kernelIftsfTnPFfRKT2_EXadL_ZNS_11silu_kernelIfEEfRKT_EELi1EEEvPT0_PS8_PKT1_PS2_il.kd
    .uniform_work_group_size: 1
    .uses_dynamic_stack: false
    .vgpr_count:     10
    .vgpr_spill_count: 0
    .wavefront_size: 64
  - .agpr_count:     0
    .args:
      - .actual_access:  write_only
        .address_space:  global
        .offset:         0
        .size:           8
        .value_kind:     global_buffer
      - .actual_access:  read_only
        .address_space:  global
        .offset:         8
        .size:           8
        .value_kind:     global_buffer
      - .actual_access:  read_only
        .address_space:  global
        .offset:         16
        .size:           8
        .value_kind:     global_buffer
      - .actual_access:  read_only
        .address_space:  global
        .offset:         24
        .size:           8
        .value_kind:     global_buffer
      - .offset:         32
        .size:           4
        .value_kind:     by_value
      - .offset:         40
        .size:           8
        .value_kind:     by_value
      - .offset:         48
        .size:           4
        .value_kind:     hidden_block_count_x
      - .offset:         52
        .size:           4
        .value_kind:     hidden_block_count_y
      - .offset:         56
        .size:           4
        .value_kind:     hidden_block_count_z
      - .offset:         60
        .size:           2
        .value_kind:     hidden_group_size_x
      - .offset:         62
        .size:           2
        .value_kind:     hidden_group_size_y
      - .offset:         64
        .size:           2
        .value_kind:     hidden_group_size_z
      - .offset:         66
        .size:           2
        .value_kind:     hidden_remainder_x
      - .offset:         68
        .size:           2
        .value_kind:     hidden_remainder_y
      - .offset:         70
        .size:           2
        .value_kind:     hidden_remainder_z
      - .offset:         88
        .size:           8
        .value_kind:     hidden_global_offset_x
      - .offset:         96
        .size:           8
        .value_kind:     hidden_global_offset_y
      - .offset:         104
        .size:           8
        .value_kind:     hidden_global_offset_z
      - .offset:         112
        .size:           2
        .value_kind:     hidden_grid_dims
    .group_segment_fixed_size: 0
    .kernarg_segment_align: 8
    .kernarg_segment_size: 304
    .language:       OpenCL C
    .language_version:
      - 2
      - 0
    .max_flat_workgroup_size: 1024
    .name:           _ZN5aiter23act_and_mul_bias_kernelIfDF16_sfTnPFfRKT2_EXadL_ZNS_11silu_kernelIfEEfRKT_EELi16EEEvPT0_PS8_PKT1_PS2_il
    .private_segment_fixed_size: 0
    .sgpr_count:     68
    .sgpr_spill_count: 0
    .symbol:         _ZN5aiter23act_and_mul_bias_kernelIfDF16_sfTnPFfRKT2_EXadL_ZNS_11silu_kernelIfEEfRKT_EELi16EEEvPT0_PS8_PKT1_PS2_il.kd
    .uniform_work_group_size: 1
    .uses_dynamic_stack: false
    .vgpr_count:     69
    .vgpr_spill_count: 0
    .wavefront_size: 64
  - .agpr_count:     0
    .args:
      - .actual_access:  write_only
        .address_space:  global
        .offset:         0
        .size:           8
        .value_kind:     global_buffer
      - .actual_access:  read_only
        .address_space:  global
        .offset:         8
        .size:           8
        .value_kind:     global_buffer
      - .actual_access:  read_only
        .address_space:  global
        .offset:         16
        .size:           8
        .value_kind:     global_buffer
      - .actual_access:  read_only
        .address_space:  global
        .offset:         24
        .size:           8
        .value_kind:     global_buffer
      - .offset:         32
        .size:           4
        .value_kind:     by_value
      - .offset:         40
        .size:           8
        .value_kind:     by_value
      - .offset:         48
        .size:           4
        .value_kind:     hidden_block_count_x
      - .offset:         52
        .size:           4
        .value_kind:     hidden_block_count_y
      - .offset:         56
        .size:           4
        .value_kind:     hidden_block_count_z
      - .offset:         60
        .size:           2
        .value_kind:     hidden_group_size_x
      - .offset:         62
        .size:           2
        .value_kind:     hidden_group_size_y
      - .offset:         64
        .size:           2
        .value_kind:     hidden_group_size_z
      - .offset:         66
        .size:           2
        .value_kind:     hidden_remainder_x
      - .offset:         68
        .size:           2
        .value_kind:     hidden_remainder_y
      - .offset:         70
        .size:           2
        .value_kind:     hidden_remainder_z
      - .offset:         88
        .size:           8
        .value_kind:     hidden_global_offset_x
      - .offset:         96
        .size:           8
        .value_kind:     hidden_global_offset_y
      - .offset:         104
        .size:           8
        .value_kind:     hidden_global_offset_z
      - .offset:         112
        .size:           2
        .value_kind:     hidden_grid_dims
    .group_segment_fixed_size: 0
    .kernarg_segment_align: 8
    .kernarg_segment_size: 304
    .language:       OpenCL C
    .language_version:
      - 2
      - 0
    .max_flat_workgroup_size: 1024
    .name:           _ZN5aiter23act_and_mul_bias_kernelIfDF16_sfTnPFfRKT2_EXadL_ZNS_11silu_kernelIfEEfRKT_EELi8EEEvPT0_PS8_PKT1_PS2_il
    .private_segment_fixed_size: 0
    .sgpr_count:     52
    .sgpr_spill_count: 0
    .symbol:         _ZN5aiter23act_and_mul_bias_kernelIfDF16_sfTnPFfRKT2_EXadL_ZNS_11silu_kernelIfEEfRKT_EELi8EEEvPT0_PS8_PKT1_PS2_il.kd
    .uniform_work_group_size: 1
    .uses_dynamic_stack: false
    .vgpr_count:     44
    .vgpr_spill_count: 0
    .wavefront_size: 64
  - .agpr_count:     0
    .args:
      - .actual_access:  write_only
        .address_space:  global
        .offset:         0
        .size:           8
        .value_kind:     global_buffer
      - .actual_access:  read_only
        .address_space:  global
        .offset:         8
        .size:           8
        .value_kind:     global_buffer
      - .actual_access:  read_only
        .address_space:  global
        .offset:         16
        .size:           8
        .value_kind:     global_buffer
      - .actual_access:  read_only
        .address_space:  global
        .offset:         24
        .size:           8
        .value_kind:     global_buffer
      - .offset:         32
        .size:           4
        .value_kind:     by_value
      - .offset:         40
        .size:           8
        .value_kind:     by_value
      - .offset:         48
        .size:           4
        .value_kind:     hidden_block_count_x
      - .offset:         52
        .size:           4
        .value_kind:     hidden_block_count_y
      - .offset:         56
        .size:           4
        .value_kind:     hidden_block_count_z
      - .offset:         60
        .size:           2
        .value_kind:     hidden_group_size_x
      - .offset:         62
        .size:           2
        .value_kind:     hidden_group_size_y
      - .offset:         64
        .size:           2
        .value_kind:     hidden_group_size_z
      - .offset:         66
        .size:           2
        .value_kind:     hidden_remainder_x
      - .offset:         68
        .size:           2
        .value_kind:     hidden_remainder_y
      - .offset:         70
        .size:           2
        .value_kind:     hidden_remainder_z
      - .offset:         88
        .size:           8
        .value_kind:     hidden_global_offset_x
      - .offset:         96
        .size:           8
        .value_kind:     hidden_global_offset_y
      - .offset:         104
        .size:           8
        .value_kind:     hidden_global_offset_z
      - .offset:         112
        .size:           2
        .value_kind:     hidden_grid_dims
    .group_segment_fixed_size: 0
    .kernarg_segment_align: 8
    .kernarg_segment_size: 304
    .language:       OpenCL C
    .language_version:
      - 2
      - 0
    .max_flat_workgroup_size: 1024
    .name:           _ZN5aiter23act_and_mul_bias_kernelIfDF16_sfTnPFfRKT2_EXadL_ZNS_11silu_kernelIfEEfRKT_EELi4EEEvPT0_PS8_PKT1_PS2_il
    .private_segment_fixed_size: 0
    .sgpr_count:     44
    .sgpr_spill_count: 0
    .symbol:         _ZN5aiter23act_and_mul_bias_kernelIfDF16_sfTnPFfRKT2_EXadL_ZNS_11silu_kernelIfEEfRKT_EELi4EEEvPT0_PS8_PKT1_PS2_il.kd
    .uniform_work_group_size: 1
    .uses_dynamic_stack: false
    .vgpr_count:     24
    .vgpr_spill_count: 0
    .wavefront_size: 64
  - .agpr_count:     0
    .args:
      - .actual_access:  write_only
        .address_space:  global
        .offset:         0
        .size:           8
        .value_kind:     global_buffer
      - .actual_access:  read_only
        .address_space:  global
        .offset:         8
        .size:           8
        .value_kind:     global_buffer
      - .actual_access:  read_only
        .address_space:  global
        .offset:         16
        .size:           8
        .value_kind:     global_buffer
      - .actual_access:  read_only
        .address_space:  global
        .offset:         24
        .size:           8
        .value_kind:     global_buffer
      - .offset:         32
        .size:           4
        .value_kind:     by_value
      - .offset:         40
        .size:           8
        .value_kind:     by_value
      - .offset:         48
        .size:           4
        .value_kind:     hidden_block_count_x
      - .offset:         52
        .size:           4
        .value_kind:     hidden_block_count_y
      - .offset:         56
        .size:           4
        .value_kind:     hidden_block_count_z
      - .offset:         60
        .size:           2
        .value_kind:     hidden_group_size_x
      - .offset:         62
        .size:           2
        .value_kind:     hidden_group_size_y
      - .offset:         64
        .size:           2
        .value_kind:     hidden_group_size_z
      - .offset:         66
        .size:           2
        .value_kind:     hidden_remainder_x
      - .offset:         68
        .size:           2
        .value_kind:     hidden_remainder_y
      - .offset:         70
        .size:           2
        .value_kind:     hidden_remainder_z
      - .offset:         88
        .size:           8
        .value_kind:     hidden_global_offset_x
      - .offset:         96
        .size:           8
        .value_kind:     hidden_global_offset_y
      - .offset:         104
        .size:           8
        .value_kind:     hidden_global_offset_z
      - .offset:         112
        .size:           2
        .value_kind:     hidden_grid_dims
    .group_segment_fixed_size: 0
    .kernarg_segment_align: 8
    .kernarg_segment_size: 304
    .language:       OpenCL C
    .language_version:
      - 2
      - 0
    .max_flat_workgroup_size: 1024
    .name:           _ZN5aiter23act_and_mul_bias_kernelIfDF16_sfTnPFfRKT2_EXadL_ZNS_11silu_kernelIfEEfRKT_EELi2EEEvPT0_PS8_PKT1_PS2_il
    .private_segment_fixed_size: 0
    .sgpr_count:     40
    .sgpr_spill_count: 0
    .symbol:         _ZN5aiter23act_and_mul_bias_kernelIfDF16_sfTnPFfRKT2_EXadL_ZNS_11silu_kernelIfEEfRKT_EELi2EEEvPT0_PS8_PKT1_PS2_il.kd
    .uniform_work_group_size: 1
    .uses_dynamic_stack: false
    .vgpr_count:     14
    .vgpr_spill_count: 0
    .wavefront_size: 64
  - .agpr_count:     0
    .args:
      - .actual_access:  write_only
        .address_space:  global
        .offset:         0
        .size:           8
        .value_kind:     global_buffer
      - .actual_access:  read_only
        .address_space:  global
        .offset:         8
        .size:           8
        .value_kind:     global_buffer
      - .actual_access:  read_only
        .address_space:  global
        .offset:         16
        .size:           8
        .value_kind:     global_buffer
      - .actual_access:  read_only
        .address_space:  global
        .offset:         24
        .size:           8
        .value_kind:     global_buffer
      - .offset:         32
        .size:           4
        .value_kind:     by_value
      - .offset:         40
        .size:           8
        .value_kind:     by_value
      - .offset:         48
        .size:           4
        .value_kind:     hidden_block_count_x
      - .offset:         52
        .size:           4
        .value_kind:     hidden_block_count_y
      - .offset:         56
        .size:           4
        .value_kind:     hidden_block_count_z
      - .offset:         60
        .size:           2
        .value_kind:     hidden_group_size_x
      - .offset:         62
        .size:           2
        .value_kind:     hidden_group_size_y
      - .offset:         64
        .size:           2
        .value_kind:     hidden_group_size_z
      - .offset:         66
        .size:           2
        .value_kind:     hidden_remainder_x
      - .offset:         68
        .size:           2
        .value_kind:     hidden_remainder_y
      - .offset:         70
        .size:           2
        .value_kind:     hidden_remainder_z
      - .offset:         88
        .size:           8
        .value_kind:     hidden_global_offset_x
      - .offset:         96
        .size:           8
        .value_kind:     hidden_global_offset_y
      - .offset:         104
        .size:           8
        .value_kind:     hidden_global_offset_z
      - .offset:         112
        .size:           2
        .value_kind:     hidden_grid_dims
    .group_segment_fixed_size: 0
    .kernarg_segment_align: 8
    .kernarg_segment_size: 304
    .language:       OpenCL C
    .language_version:
      - 2
      - 0
    .max_flat_workgroup_size: 1024
    .name:           _ZN5aiter23act_and_mul_bias_kernelIfDF16_sfTnPFfRKT2_EXadL_ZNS_11silu_kernelIfEEfRKT_EELi1EEEvPT0_PS8_PKT1_PS2_il
    .private_segment_fixed_size: 0
    .sgpr_count:     37
    .sgpr_spill_count: 0
    .symbol:         _ZN5aiter23act_and_mul_bias_kernelIfDF16_sfTnPFfRKT2_EXadL_ZNS_11silu_kernelIfEEfRKT_EELi1EEEvPT0_PS8_PKT1_PS2_il.kd
    .uniform_work_group_size: 1
    .uses_dynamic_stack: false
    .vgpr_count:     10
    .vgpr_spill_count: 0
    .wavefront_size: 64
  - .agpr_count:     0
    .args:
      - .actual_access:  write_only
        .address_space:  global
        .offset:         0
        .size:           8
        .value_kind:     global_buffer
      - .actual_access:  read_only
        .address_space:  global
        .offset:         8
        .size:           8
        .value_kind:     global_buffer
      - .actual_access:  read_only
        .address_space:  global
        .offset:         16
        .size:           8
        .value_kind:     global_buffer
      - .actual_access:  read_only
        .address_space:  global
        .offset:         24
        .size:           8
        .value_kind:     global_buffer
      - .offset:         32
        .size:           4
        .value_kind:     by_value
      - .offset:         40
        .size:           8
        .value_kind:     by_value
      - .offset:         48
        .size:           4
        .value_kind:     hidden_block_count_x
      - .offset:         52
        .size:           4
        .value_kind:     hidden_block_count_y
      - .offset:         56
        .size:           4
        .value_kind:     hidden_block_count_z
      - .offset:         60
        .size:           2
        .value_kind:     hidden_group_size_x
      - .offset:         62
        .size:           2
        .value_kind:     hidden_group_size_y
      - .offset:         64
        .size:           2
        .value_kind:     hidden_group_size_z
      - .offset:         66
        .size:           2
        .value_kind:     hidden_remainder_x
      - .offset:         68
        .size:           2
        .value_kind:     hidden_remainder_y
      - .offset:         70
        .size:           2
        .value_kind:     hidden_remainder_z
      - .offset:         88
        .size:           8
        .value_kind:     hidden_global_offset_x
      - .offset:         96
        .size:           8
        .value_kind:     hidden_global_offset_y
      - .offset:         104
        .size:           8
        .value_kind:     hidden_global_offset_z
      - .offset:         112
        .size:           2
        .value_kind:     hidden_grid_dims
    .group_segment_fixed_size: 0
    .kernarg_segment_align: 8
    .kernarg_segment_size: 304
    .language:       OpenCL C
    .language_version:
      - 2
      - 0
    .max_flat_workgroup_size: 1024
    .name:           _ZN5aiter23act_and_mul_bias_kernelIffsfTnPFfRKT2_EXadL_ZNS_11silu_kernelIfEEfRKT_EELi16EEEvPT0_PS8_PKT1_PS2_il
    .private_segment_fixed_size: 0
    .sgpr_count:     68
    .sgpr_spill_count: 0
    .symbol:         _ZN5aiter23act_and_mul_bias_kernelIffsfTnPFfRKT2_EXadL_ZNS_11silu_kernelIfEEfRKT_EELi16EEEvPT0_PS8_PKT1_PS2_il.kd
    .uniform_work_group_size: 1
    .uses_dynamic_stack: false
    .vgpr_count:     69
    .vgpr_spill_count: 0
    .wavefront_size: 64
  - .agpr_count:     0
    .args:
      - .actual_access:  write_only
        .address_space:  global
        .offset:         0
        .size:           8
        .value_kind:     global_buffer
      - .actual_access:  read_only
        .address_space:  global
        .offset:         8
        .size:           8
        .value_kind:     global_buffer
      - .actual_access:  read_only
        .address_space:  global
        .offset:         16
        .size:           8
        .value_kind:     global_buffer
      - .actual_access:  read_only
        .address_space:  global
        .offset:         24
        .size:           8
        .value_kind:     global_buffer
      - .offset:         32
        .size:           4
        .value_kind:     by_value
      - .offset:         40
        .size:           8
        .value_kind:     by_value
      - .offset:         48
        .size:           4
        .value_kind:     hidden_block_count_x
      - .offset:         52
        .size:           4
        .value_kind:     hidden_block_count_y
      - .offset:         56
        .size:           4
        .value_kind:     hidden_block_count_z
      - .offset:         60
        .size:           2
        .value_kind:     hidden_group_size_x
      - .offset:         62
        .size:           2
        .value_kind:     hidden_group_size_y
      - .offset:         64
        .size:           2
        .value_kind:     hidden_group_size_z
      - .offset:         66
        .size:           2
        .value_kind:     hidden_remainder_x
      - .offset:         68
        .size:           2
        .value_kind:     hidden_remainder_y
      - .offset:         70
        .size:           2
        .value_kind:     hidden_remainder_z
      - .offset:         88
        .size:           8
        .value_kind:     hidden_global_offset_x
      - .offset:         96
        .size:           8
        .value_kind:     hidden_global_offset_y
      - .offset:         104
        .size:           8
        .value_kind:     hidden_global_offset_z
      - .offset:         112
        .size:           2
        .value_kind:     hidden_grid_dims
    .group_segment_fixed_size: 0
    .kernarg_segment_align: 8
    .kernarg_segment_size: 304
    .language:       OpenCL C
    .language_version:
      - 2
      - 0
    .max_flat_workgroup_size: 1024
    .name:           _ZN5aiter23act_and_mul_bias_kernelIffsfTnPFfRKT2_EXadL_ZNS_11silu_kernelIfEEfRKT_EELi8EEEvPT0_PS8_PKT1_PS2_il
    .private_segment_fixed_size: 0
    .sgpr_count:     52
    .sgpr_spill_count: 0
    .symbol:         _ZN5aiter23act_and_mul_bias_kernelIffsfTnPFfRKT2_EXadL_ZNS_11silu_kernelIfEEfRKT_EELi8EEEvPT0_PS8_PKT1_PS2_il.kd
    .uniform_work_group_size: 1
    .uses_dynamic_stack: false
    .vgpr_count:     44
    .vgpr_spill_count: 0
    .wavefront_size: 64
  - .agpr_count:     0
    .args:
      - .actual_access:  write_only
        .address_space:  global
        .offset:         0
        .size:           8
        .value_kind:     global_buffer
      - .actual_access:  read_only
        .address_space:  global
        .offset:         8
        .size:           8
        .value_kind:     global_buffer
      - .actual_access:  read_only
        .address_space:  global
        .offset:         16
        .size:           8
        .value_kind:     global_buffer
      - .actual_access:  read_only
        .address_space:  global
        .offset:         24
        .size:           8
        .value_kind:     global_buffer
      - .offset:         32
        .size:           4
        .value_kind:     by_value
      - .offset:         40
        .size:           8
        .value_kind:     by_value
      - .offset:         48
        .size:           4
        .value_kind:     hidden_block_count_x
      - .offset:         52
        .size:           4
        .value_kind:     hidden_block_count_y
      - .offset:         56
        .size:           4
        .value_kind:     hidden_block_count_z
      - .offset:         60
        .size:           2
        .value_kind:     hidden_group_size_x
      - .offset:         62
        .size:           2
        .value_kind:     hidden_group_size_y
      - .offset:         64
        .size:           2
        .value_kind:     hidden_group_size_z
      - .offset:         66
        .size:           2
        .value_kind:     hidden_remainder_x
      - .offset:         68
        .size:           2
        .value_kind:     hidden_remainder_y
      - .offset:         70
        .size:           2
        .value_kind:     hidden_remainder_z
      - .offset:         88
        .size:           8
        .value_kind:     hidden_global_offset_x
      - .offset:         96
        .size:           8
        .value_kind:     hidden_global_offset_y
      - .offset:         104
        .size:           8
        .value_kind:     hidden_global_offset_z
      - .offset:         112
        .size:           2
        .value_kind:     hidden_grid_dims
    .group_segment_fixed_size: 0
    .kernarg_segment_align: 8
    .kernarg_segment_size: 304
    .language:       OpenCL C
    .language_version:
      - 2
      - 0
    .max_flat_workgroup_size: 1024
    .name:           _ZN5aiter23act_and_mul_bias_kernelIffsfTnPFfRKT2_EXadL_ZNS_11silu_kernelIfEEfRKT_EELi4EEEvPT0_PS8_PKT1_PS2_il
    .private_segment_fixed_size: 0
    .sgpr_count:     44
    .sgpr_spill_count: 0
    .symbol:         _ZN5aiter23act_and_mul_bias_kernelIffsfTnPFfRKT2_EXadL_ZNS_11silu_kernelIfEEfRKT_EELi4EEEvPT0_PS8_PKT1_PS2_il.kd
    .uniform_work_group_size: 1
    .uses_dynamic_stack: false
    .vgpr_count:     24
    .vgpr_spill_count: 0
    .wavefront_size: 64
  - .agpr_count:     0
    .args:
      - .actual_access:  write_only
        .address_space:  global
        .offset:         0
        .size:           8
        .value_kind:     global_buffer
      - .actual_access:  read_only
        .address_space:  global
        .offset:         8
        .size:           8
        .value_kind:     global_buffer
      - .actual_access:  read_only
        .address_space:  global
        .offset:         16
        .size:           8
        .value_kind:     global_buffer
      - .actual_access:  read_only
        .address_space:  global
        .offset:         24
        .size:           8
        .value_kind:     global_buffer
      - .offset:         32
        .size:           4
        .value_kind:     by_value
      - .offset:         40
        .size:           8
        .value_kind:     by_value
      - .offset:         48
        .size:           4
        .value_kind:     hidden_block_count_x
      - .offset:         52
        .size:           4
        .value_kind:     hidden_block_count_y
      - .offset:         56
        .size:           4
        .value_kind:     hidden_block_count_z
      - .offset:         60
        .size:           2
        .value_kind:     hidden_group_size_x
      - .offset:         62
        .size:           2
        .value_kind:     hidden_group_size_y
      - .offset:         64
        .size:           2
        .value_kind:     hidden_group_size_z
      - .offset:         66
        .size:           2
        .value_kind:     hidden_remainder_x
      - .offset:         68
        .size:           2
        .value_kind:     hidden_remainder_y
      - .offset:         70
        .size:           2
        .value_kind:     hidden_remainder_z
      - .offset:         88
        .size:           8
        .value_kind:     hidden_global_offset_x
      - .offset:         96
        .size:           8
        .value_kind:     hidden_global_offset_y
      - .offset:         104
        .size:           8
        .value_kind:     hidden_global_offset_z
      - .offset:         112
        .size:           2
        .value_kind:     hidden_grid_dims
    .group_segment_fixed_size: 0
    .kernarg_segment_align: 8
    .kernarg_segment_size: 304
    .language:       OpenCL C
    .language_version:
      - 2
      - 0
    .max_flat_workgroup_size: 1024
    .name:           _ZN5aiter23act_and_mul_bias_kernelIffsfTnPFfRKT2_EXadL_ZNS_11silu_kernelIfEEfRKT_EELi2EEEvPT0_PS8_PKT1_PS2_il
    .private_segment_fixed_size: 0
    .sgpr_count:     40
    .sgpr_spill_count: 0
    .symbol:         _ZN5aiter23act_and_mul_bias_kernelIffsfTnPFfRKT2_EXadL_ZNS_11silu_kernelIfEEfRKT_EELi2EEEvPT0_PS8_PKT1_PS2_il.kd
    .uniform_work_group_size: 1
    .uses_dynamic_stack: false
    .vgpr_count:     16
    .vgpr_spill_count: 0
    .wavefront_size: 64
  - .agpr_count:     0
    .args:
      - .actual_access:  write_only
        .address_space:  global
        .offset:         0
        .size:           8
        .value_kind:     global_buffer
      - .actual_access:  read_only
        .address_space:  global
        .offset:         8
        .size:           8
        .value_kind:     global_buffer
      - .actual_access:  read_only
        .address_space:  global
        .offset:         16
        .size:           8
        .value_kind:     global_buffer
      - .actual_access:  read_only
        .address_space:  global
        .offset:         24
        .size:           8
        .value_kind:     global_buffer
      - .offset:         32
        .size:           4
        .value_kind:     by_value
      - .offset:         40
        .size:           8
        .value_kind:     by_value
      - .offset:         48
        .size:           4
        .value_kind:     hidden_block_count_x
      - .offset:         52
        .size:           4
        .value_kind:     hidden_block_count_y
      - .offset:         56
        .size:           4
        .value_kind:     hidden_block_count_z
      - .offset:         60
        .size:           2
        .value_kind:     hidden_group_size_x
      - .offset:         62
        .size:           2
        .value_kind:     hidden_group_size_y
      - .offset:         64
        .size:           2
        .value_kind:     hidden_group_size_z
      - .offset:         66
        .size:           2
        .value_kind:     hidden_remainder_x
      - .offset:         68
        .size:           2
        .value_kind:     hidden_remainder_y
      - .offset:         70
        .size:           2
        .value_kind:     hidden_remainder_z
      - .offset:         88
        .size:           8
        .value_kind:     hidden_global_offset_x
      - .offset:         96
        .size:           8
        .value_kind:     hidden_global_offset_y
      - .offset:         104
        .size:           8
        .value_kind:     hidden_global_offset_z
      - .offset:         112
        .size:           2
        .value_kind:     hidden_grid_dims
    .group_segment_fixed_size: 0
    .kernarg_segment_align: 8
    .kernarg_segment_size: 304
    .language:       OpenCL C
    .language_version:
      - 2
      - 0
    .max_flat_workgroup_size: 1024
    .name:           _ZN5aiter23act_and_mul_bias_kernelIffsfTnPFfRKT2_EXadL_ZNS_11silu_kernelIfEEfRKT_EELi1EEEvPT0_PS8_PKT1_PS2_il
    .private_segment_fixed_size: 0
    .sgpr_count:     36
    .sgpr_spill_count: 0
    .symbol:         _ZN5aiter23act_and_mul_bias_kernelIffsfTnPFfRKT2_EXadL_ZNS_11silu_kernelIfEEfRKT_EELi1EEEvPT0_PS8_PKT1_PS2_il.kd
    .uniform_work_group_size: 1
    .uses_dynamic_stack: false
    .vgpr_count:     9
    .vgpr_spill_count: 0
    .wavefront_size: 64
  - .agpr_count:     0
    .args:
      - .actual_access:  write_only
        .address_space:  global
        .offset:         0
        .size:           8
        .value_kind:     global_buffer
      - .actual_access:  read_only
        .address_space:  global
        .offset:         8
        .size:           8
        .value_kind:     global_buffer
      - .actual_access:  read_only
        .address_space:  global
        .offset:         16
        .size:           8
        .value_kind:     global_buffer
      - .actual_access:  read_only
        .address_space:  global
        .offset:         24
        .size:           8
        .value_kind:     global_buffer
      - .offset:         32
        .size:           4
        .value_kind:     by_value
      - .offset:         40
        .size:           8
        .value_kind:     by_value
      - .offset:         48
        .size:           4
        .value_kind:     hidden_block_count_x
      - .offset:         52
        .size:           4
        .value_kind:     hidden_block_count_y
      - .offset:         56
        .size:           4
        .value_kind:     hidden_block_count_z
      - .offset:         60
        .size:           2
        .value_kind:     hidden_group_size_x
      - .offset:         62
        .size:           2
        .value_kind:     hidden_group_size_y
      - .offset:         64
        .size:           2
        .value_kind:     hidden_group_size_z
      - .offset:         66
        .size:           2
        .value_kind:     hidden_remainder_x
      - .offset:         68
        .size:           2
        .value_kind:     hidden_remainder_y
      - .offset:         70
        .size:           2
        .value_kind:     hidden_remainder_z
      - .offset:         88
        .size:           8
        .value_kind:     hidden_global_offset_x
      - .offset:         96
        .size:           8
        .value_kind:     hidden_global_offset_y
      - .offset:         104
        .size:           8
        .value_kind:     hidden_global_offset_z
      - .offset:         112
        .size:           2
        .value_kind:     hidden_grid_dims
    .group_segment_fixed_size: 0
    .kernarg_segment_align: 8
    .kernarg_segment_size: 304
    .language:       OpenCL C
    .language_version:
      - 2
      - 0
    .max_flat_workgroup_size: 1024
    .name:           _ZN5aiter23act_and_mul_bias_kernelIDF16_DF16_sfTnPFfRKT2_EXadL_ZNS_11silu_kernelIfEEfRKT_EELi32EEEvPT0_PS8_PKT1_PS2_il
    .private_segment_fixed_size: 0
    .sgpr_count:     47
    .sgpr_spill_count: 0
    .symbol:         _ZN5aiter23act_and_mul_bias_kernelIDF16_DF16_sfTnPFfRKT2_EXadL_ZNS_11silu_kernelIfEEfRKT_EELi32EEEvPT0_PS8_PKT1_PS2_il.kd
    .uniform_work_group_size: 1
    .uses_dynamic_stack: false
    .vgpr_count:     83
    .vgpr_spill_count: 0
    .wavefront_size: 64
  - .agpr_count:     0
    .args:
      - .actual_access:  write_only
        .address_space:  global
        .offset:         0
        .size:           8
        .value_kind:     global_buffer
      - .actual_access:  read_only
        .address_space:  global
        .offset:         8
        .size:           8
        .value_kind:     global_buffer
      - .actual_access:  read_only
        .address_space:  global
        .offset:         16
        .size:           8
        .value_kind:     global_buffer
      - .actual_access:  read_only
        .address_space:  global
        .offset:         24
        .size:           8
        .value_kind:     global_buffer
      - .offset:         32
        .size:           4
        .value_kind:     by_value
      - .offset:         40
        .size:           8
        .value_kind:     by_value
      - .offset:         48
        .size:           4
        .value_kind:     hidden_block_count_x
      - .offset:         52
        .size:           4
        .value_kind:     hidden_block_count_y
      - .offset:         56
        .size:           4
        .value_kind:     hidden_block_count_z
      - .offset:         60
        .size:           2
        .value_kind:     hidden_group_size_x
      - .offset:         62
        .size:           2
        .value_kind:     hidden_group_size_y
      - .offset:         64
        .size:           2
        .value_kind:     hidden_group_size_z
      - .offset:         66
        .size:           2
        .value_kind:     hidden_remainder_x
      - .offset:         68
        .size:           2
        .value_kind:     hidden_remainder_y
      - .offset:         70
        .size:           2
        .value_kind:     hidden_remainder_z
      - .offset:         88
        .size:           8
        .value_kind:     hidden_global_offset_x
      - .offset:         96
        .size:           8
        .value_kind:     hidden_global_offset_y
      - .offset:         104
        .size:           8
        .value_kind:     hidden_global_offset_z
      - .offset:         112
        .size:           2
        .value_kind:     hidden_grid_dims
    .group_segment_fixed_size: 0
    .kernarg_segment_align: 8
    .kernarg_segment_size: 304
    .language:       OpenCL C
    .language_version:
      - 2
      - 0
    .max_flat_workgroup_size: 1024
    .name:           _ZN5aiter23act_and_mul_bias_kernelIDF16_DF16_sfTnPFfRKT2_EXadL_ZNS_11silu_kernelIfEEfRKT_EELi16EEEvPT0_PS8_PKT1_PS2_il
    .private_segment_fixed_size: 0
    .sgpr_count:     37
    .sgpr_spill_count: 0
    .symbol:         _ZN5aiter23act_and_mul_bias_kernelIDF16_DF16_sfTnPFfRKT2_EXadL_ZNS_11silu_kernelIfEEfRKT_EELi16EEEvPT0_PS8_PKT1_PS2_il.kd
    .uniform_work_group_size: 1
    .uses_dynamic_stack: false
    .vgpr_count:     54
    .vgpr_spill_count: 0
    .wavefront_size: 64
  - .agpr_count:     0
    .args:
      - .actual_access:  write_only
        .address_space:  global
        .offset:         0
        .size:           8
        .value_kind:     global_buffer
      - .actual_access:  read_only
        .address_space:  global
        .offset:         8
        .size:           8
        .value_kind:     global_buffer
      - .actual_access:  read_only
        .address_space:  global
        .offset:         16
        .size:           8
        .value_kind:     global_buffer
      - .actual_access:  read_only
        .address_space:  global
        .offset:         24
        .size:           8
        .value_kind:     global_buffer
      - .offset:         32
        .size:           4
        .value_kind:     by_value
      - .offset:         40
        .size:           8
        .value_kind:     by_value
      - .offset:         48
        .size:           4
        .value_kind:     hidden_block_count_x
      - .offset:         52
        .size:           4
        .value_kind:     hidden_block_count_y
      - .offset:         56
        .size:           4
        .value_kind:     hidden_block_count_z
      - .offset:         60
        .size:           2
        .value_kind:     hidden_group_size_x
      - .offset:         62
        .size:           2
        .value_kind:     hidden_group_size_y
      - .offset:         64
        .size:           2
        .value_kind:     hidden_group_size_z
      - .offset:         66
        .size:           2
        .value_kind:     hidden_remainder_x
      - .offset:         68
        .size:           2
        .value_kind:     hidden_remainder_y
      - .offset:         70
        .size:           2
        .value_kind:     hidden_remainder_z
      - .offset:         88
        .size:           8
        .value_kind:     hidden_global_offset_x
      - .offset:         96
        .size:           8
        .value_kind:     hidden_global_offset_y
      - .offset:         104
        .size:           8
        .value_kind:     hidden_global_offset_z
      - .offset:         112
        .size:           2
        .value_kind:     hidden_grid_dims
    .group_segment_fixed_size: 0
    .kernarg_segment_align: 8
    .kernarg_segment_size: 304
    .language:       OpenCL C
    .language_version:
      - 2
      - 0
    .max_flat_workgroup_size: 1024
    .name:           _ZN5aiter23act_and_mul_bias_kernelIDF16_DF16_sfTnPFfRKT2_EXadL_ZNS_11silu_kernelIfEEfRKT_EELi8EEEvPT0_PS8_PKT1_PS2_il
    .private_segment_fixed_size: 0
    .sgpr_count:     52
    .sgpr_spill_count: 0
    .symbol:         _ZN5aiter23act_and_mul_bias_kernelIDF16_DF16_sfTnPFfRKT2_EXadL_ZNS_11silu_kernelIfEEfRKT_EELi8EEEvPT0_PS8_PKT1_PS2_il.kd
    .uniform_work_group_size: 1
    .uses_dynamic_stack: false
    .vgpr_count:     44
    .vgpr_spill_count: 0
    .wavefront_size: 64
  - .agpr_count:     0
    .args:
      - .actual_access:  write_only
        .address_space:  global
        .offset:         0
        .size:           8
        .value_kind:     global_buffer
      - .actual_access:  read_only
        .address_space:  global
        .offset:         8
        .size:           8
        .value_kind:     global_buffer
      - .actual_access:  read_only
        .address_space:  global
        .offset:         16
        .size:           8
        .value_kind:     global_buffer
      - .actual_access:  read_only
        .address_space:  global
        .offset:         24
        .size:           8
        .value_kind:     global_buffer
      - .offset:         32
        .size:           4
        .value_kind:     by_value
      - .offset:         40
        .size:           8
        .value_kind:     by_value
      - .offset:         48
        .size:           4
        .value_kind:     hidden_block_count_x
      - .offset:         52
        .size:           4
        .value_kind:     hidden_block_count_y
      - .offset:         56
        .size:           4
        .value_kind:     hidden_block_count_z
      - .offset:         60
        .size:           2
        .value_kind:     hidden_group_size_x
      - .offset:         62
        .size:           2
        .value_kind:     hidden_group_size_y
      - .offset:         64
        .size:           2
        .value_kind:     hidden_group_size_z
      - .offset:         66
        .size:           2
        .value_kind:     hidden_remainder_x
      - .offset:         68
        .size:           2
        .value_kind:     hidden_remainder_y
      - .offset:         70
        .size:           2
        .value_kind:     hidden_remainder_z
      - .offset:         88
        .size:           8
        .value_kind:     hidden_global_offset_x
      - .offset:         96
        .size:           8
        .value_kind:     hidden_global_offset_y
      - .offset:         104
        .size:           8
        .value_kind:     hidden_global_offset_z
      - .offset:         112
        .size:           2
        .value_kind:     hidden_grid_dims
    .group_segment_fixed_size: 0
    .kernarg_segment_align: 8
    .kernarg_segment_size: 304
    .language:       OpenCL C
    .language_version:
      - 2
      - 0
    .max_flat_workgroup_size: 1024
    .name:           _ZN5aiter23act_and_mul_bias_kernelIDF16_DF16_sfTnPFfRKT2_EXadL_ZNS_11silu_kernelIfEEfRKT_EELi4EEEvPT0_PS8_PKT1_PS2_il
    .private_segment_fixed_size: 0
    .sgpr_count:     44
    .sgpr_spill_count: 0
    .symbol:         _ZN5aiter23act_and_mul_bias_kernelIDF16_DF16_sfTnPFfRKT2_EXadL_ZNS_11silu_kernelIfEEfRKT_EELi4EEEvPT0_PS8_PKT1_PS2_il.kd
    .uniform_work_group_size: 1
    .uses_dynamic_stack: false
    .vgpr_count:     24
    .vgpr_spill_count: 0
    .wavefront_size: 64
  - .agpr_count:     0
    .args:
      - .actual_access:  write_only
        .address_space:  global
        .offset:         0
        .size:           8
        .value_kind:     global_buffer
      - .actual_access:  read_only
        .address_space:  global
        .offset:         8
        .size:           8
        .value_kind:     global_buffer
      - .actual_access:  read_only
        .address_space:  global
        .offset:         16
        .size:           8
        .value_kind:     global_buffer
      - .actual_access:  read_only
        .address_space:  global
        .offset:         24
        .size:           8
        .value_kind:     global_buffer
      - .offset:         32
        .size:           4
        .value_kind:     by_value
      - .offset:         40
        .size:           8
        .value_kind:     by_value
      - .offset:         48
        .size:           4
        .value_kind:     hidden_block_count_x
      - .offset:         52
        .size:           4
        .value_kind:     hidden_block_count_y
      - .offset:         56
        .size:           4
        .value_kind:     hidden_block_count_z
      - .offset:         60
        .size:           2
        .value_kind:     hidden_group_size_x
      - .offset:         62
        .size:           2
        .value_kind:     hidden_group_size_y
      - .offset:         64
        .size:           2
        .value_kind:     hidden_group_size_z
      - .offset:         66
        .size:           2
        .value_kind:     hidden_remainder_x
      - .offset:         68
        .size:           2
        .value_kind:     hidden_remainder_y
      - .offset:         70
        .size:           2
        .value_kind:     hidden_remainder_z
      - .offset:         88
        .size:           8
        .value_kind:     hidden_global_offset_x
      - .offset:         96
        .size:           8
        .value_kind:     hidden_global_offset_y
      - .offset:         104
        .size:           8
        .value_kind:     hidden_global_offset_z
      - .offset:         112
        .size:           2
        .value_kind:     hidden_grid_dims
    .group_segment_fixed_size: 0
    .kernarg_segment_align: 8
    .kernarg_segment_size: 304
    .language:       OpenCL C
    .language_version:
      - 2
      - 0
    .max_flat_workgroup_size: 1024
    .name:           _ZN5aiter23act_and_mul_bias_kernelIDF16_DF16_sfTnPFfRKT2_EXadL_ZNS_11silu_kernelIfEEfRKT_EELi2EEEvPT0_PS8_PKT1_PS2_il
    .private_segment_fixed_size: 0
    .sgpr_count:     40
    .sgpr_spill_count: 0
    .symbol:         _ZN5aiter23act_and_mul_bias_kernelIDF16_DF16_sfTnPFfRKT2_EXadL_ZNS_11silu_kernelIfEEfRKT_EELi2EEEvPT0_PS8_PKT1_PS2_il.kd
    .uniform_work_group_size: 1
    .uses_dynamic_stack: false
    .vgpr_count:     14
    .vgpr_spill_count: 0
    .wavefront_size: 64
  - .agpr_count:     0
    .args:
      - .actual_access:  write_only
        .address_space:  global
        .offset:         0
        .size:           8
        .value_kind:     global_buffer
      - .actual_access:  read_only
        .address_space:  global
        .offset:         8
        .size:           8
        .value_kind:     global_buffer
      - .actual_access:  read_only
        .address_space:  global
        .offset:         16
        .size:           8
        .value_kind:     global_buffer
      - .actual_access:  read_only
        .address_space:  global
        .offset:         24
        .size:           8
        .value_kind:     global_buffer
      - .offset:         32
        .size:           4
        .value_kind:     by_value
      - .offset:         40
        .size:           8
        .value_kind:     by_value
      - .offset:         48
        .size:           4
        .value_kind:     hidden_block_count_x
      - .offset:         52
        .size:           4
        .value_kind:     hidden_block_count_y
      - .offset:         56
        .size:           4
        .value_kind:     hidden_block_count_z
      - .offset:         60
        .size:           2
        .value_kind:     hidden_group_size_x
      - .offset:         62
        .size:           2
        .value_kind:     hidden_group_size_y
      - .offset:         64
        .size:           2
        .value_kind:     hidden_group_size_z
      - .offset:         66
        .size:           2
        .value_kind:     hidden_remainder_x
      - .offset:         68
        .size:           2
        .value_kind:     hidden_remainder_y
      - .offset:         70
        .size:           2
        .value_kind:     hidden_remainder_z
      - .offset:         88
        .size:           8
        .value_kind:     hidden_global_offset_x
      - .offset:         96
        .size:           8
        .value_kind:     hidden_global_offset_y
      - .offset:         104
        .size:           8
        .value_kind:     hidden_global_offset_z
      - .offset:         112
        .size:           2
        .value_kind:     hidden_grid_dims
    .group_segment_fixed_size: 0
    .kernarg_segment_align: 8
    .kernarg_segment_size: 304
    .language:       OpenCL C
    .language_version:
      - 2
      - 0
    .max_flat_workgroup_size: 1024
    .name:           _ZN5aiter23act_and_mul_bias_kernelIDF16_DF16_sfTnPFfRKT2_EXadL_ZNS_11silu_kernelIfEEfRKT_EELi1EEEvPT0_PS8_PKT1_PS2_il
    .private_segment_fixed_size: 0
    .sgpr_count:     37
    .sgpr_spill_count: 0
    .symbol:         _ZN5aiter23act_and_mul_bias_kernelIDF16_DF16_sfTnPFfRKT2_EXadL_ZNS_11silu_kernelIfEEfRKT_EELi1EEEvPT0_PS8_PKT1_PS2_il.kd
    .uniform_work_group_size: 1
    .uses_dynamic_stack: false
    .vgpr_count:     10
    .vgpr_spill_count: 0
    .wavefront_size: 64
  - .agpr_count:     0
    .args:
      - .actual_access:  write_only
        .address_space:  global
        .offset:         0
        .size:           8
        .value_kind:     global_buffer
      - .actual_access:  read_only
        .address_space:  global
        .offset:         8
        .size:           8
        .value_kind:     global_buffer
      - .actual_access:  read_only
        .address_space:  global
        .offset:         16
        .size:           8
        .value_kind:     global_buffer
      - .actual_access:  read_only
        .address_space:  global
        .offset:         24
        .size:           8
        .value_kind:     global_buffer
      - .offset:         32
        .size:           4
        .value_kind:     by_value
      - .offset:         40
        .size:           8
        .value_kind:     by_value
      - .offset:         48
        .size:           4
        .value_kind:     hidden_block_count_x
      - .offset:         52
        .size:           4
        .value_kind:     hidden_block_count_y
      - .offset:         56
        .size:           4
        .value_kind:     hidden_block_count_z
      - .offset:         60
        .size:           2
        .value_kind:     hidden_group_size_x
      - .offset:         62
        .size:           2
        .value_kind:     hidden_group_size_y
      - .offset:         64
        .size:           2
        .value_kind:     hidden_group_size_z
      - .offset:         66
        .size:           2
        .value_kind:     hidden_remainder_x
      - .offset:         68
        .size:           2
        .value_kind:     hidden_remainder_y
      - .offset:         70
        .size:           2
        .value_kind:     hidden_remainder_z
      - .offset:         88
        .size:           8
        .value_kind:     hidden_global_offset_x
      - .offset:         96
        .size:           8
        .value_kind:     hidden_global_offset_y
      - .offset:         104
        .size:           8
        .value_kind:     hidden_global_offset_z
      - .offset:         112
        .size:           2
        .value_kind:     hidden_grid_dims
    .group_segment_fixed_size: 0
    .kernarg_segment_align: 8
    .kernarg_segment_size: 304
    .language:       OpenCL C
    .language_version:
      - 2
      - 0
    .max_flat_workgroup_size: 1024
    .name:           _ZN5aiter23act_and_mul_bias_kernelIttsfTnPFfRKT2_EXadL_ZNS_11silu_kernelIfEEfRKT_EELi32EEEvPT0_PS8_PKT1_PS2_il
    .private_segment_fixed_size: 0
    .sgpr_count:     48
    .sgpr_spill_count: 0
    .symbol:         _ZN5aiter23act_and_mul_bias_kernelIttsfTnPFfRKT2_EXadL_ZNS_11silu_kernelIfEEfRKT_EELi32EEEvPT0_PS8_PKT1_PS2_il.kd
    .uniform_work_group_size: 1
    .uses_dynamic_stack: false
    .vgpr_count:     83
    .vgpr_spill_count: 0
    .wavefront_size: 64
  - .agpr_count:     0
    .args:
      - .actual_access:  write_only
        .address_space:  global
        .offset:         0
        .size:           8
        .value_kind:     global_buffer
      - .actual_access:  read_only
        .address_space:  global
        .offset:         8
        .size:           8
        .value_kind:     global_buffer
      - .actual_access:  read_only
        .address_space:  global
        .offset:         16
        .size:           8
        .value_kind:     global_buffer
      - .actual_access:  read_only
        .address_space:  global
        .offset:         24
        .size:           8
        .value_kind:     global_buffer
      - .offset:         32
        .size:           4
        .value_kind:     by_value
      - .offset:         40
        .size:           8
        .value_kind:     by_value
      - .offset:         48
        .size:           4
        .value_kind:     hidden_block_count_x
      - .offset:         52
        .size:           4
        .value_kind:     hidden_block_count_y
      - .offset:         56
        .size:           4
        .value_kind:     hidden_block_count_z
      - .offset:         60
        .size:           2
        .value_kind:     hidden_group_size_x
      - .offset:         62
        .size:           2
        .value_kind:     hidden_group_size_y
      - .offset:         64
        .size:           2
        .value_kind:     hidden_group_size_z
      - .offset:         66
        .size:           2
        .value_kind:     hidden_remainder_x
      - .offset:         68
        .size:           2
        .value_kind:     hidden_remainder_y
      - .offset:         70
        .size:           2
        .value_kind:     hidden_remainder_z
      - .offset:         88
        .size:           8
        .value_kind:     hidden_global_offset_x
      - .offset:         96
        .size:           8
        .value_kind:     hidden_global_offset_y
      - .offset:         104
        .size:           8
        .value_kind:     hidden_global_offset_z
      - .offset:         112
        .size:           2
        .value_kind:     hidden_grid_dims
    .group_segment_fixed_size: 0
    .kernarg_segment_align: 8
    .kernarg_segment_size: 304
    .language:       OpenCL C
    .language_version:
      - 2
      - 0
    .max_flat_workgroup_size: 1024
    .name:           _ZN5aiter23act_and_mul_bias_kernelIttsfTnPFfRKT2_EXadL_ZNS_11silu_kernelIfEEfRKT_EELi16EEEvPT0_PS8_PKT1_PS2_il
    .private_segment_fixed_size: 0
    .sgpr_count:     38
    .sgpr_spill_count: 0
    .symbol:         _ZN5aiter23act_and_mul_bias_kernelIttsfTnPFfRKT2_EXadL_ZNS_11silu_kernelIfEEfRKT_EELi16EEEvPT0_PS8_PKT1_PS2_il.kd
    .uniform_work_group_size: 1
    .uses_dynamic_stack: false
    .vgpr_count:     54
    .vgpr_spill_count: 0
    .wavefront_size: 64
  - .agpr_count:     0
    .args:
      - .actual_access:  write_only
        .address_space:  global
        .offset:         0
        .size:           8
        .value_kind:     global_buffer
      - .actual_access:  read_only
        .address_space:  global
        .offset:         8
        .size:           8
        .value_kind:     global_buffer
      - .actual_access:  read_only
        .address_space:  global
        .offset:         16
        .size:           8
        .value_kind:     global_buffer
      - .actual_access:  read_only
        .address_space:  global
        .offset:         24
        .size:           8
        .value_kind:     global_buffer
      - .offset:         32
        .size:           4
        .value_kind:     by_value
      - .offset:         40
        .size:           8
        .value_kind:     by_value
      - .offset:         48
        .size:           4
        .value_kind:     hidden_block_count_x
      - .offset:         52
        .size:           4
        .value_kind:     hidden_block_count_y
      - .offset:         56
        .size:           4
        .value_kind:     hidden_block_count_z
      - .offset:         60
        .size:           2
        .value_kind:     hidden_group_size_x
      - .offset:         62
        .size:           2
        .value_kind:     hidden_group_size_y
      - .offset:         64
        .size:           2
        .value_kind:     hidden_group_size_z
      - .offset:         66
        .size:           2
        .value_kind:     hidden_remainder_x
      - .offset:         68
        .size:           2
        .value_kind:     hidden_remainder_y
      - .offset:         70
        .size:           2
        .value_kind:     hidden_remainder_z
      - .offset:         88
        .size:           8
        .value_kind:     hidden_global_offset_x
      - .offset:         96
        .size:           8
        .value_kind:     hidden_global_offset_y
      - .offset:         104
        .size:           8
        .value_kind:     hidden_global_offset_z
      - .offset:         112
        .size:           2
        .value_kind:     hidden_grid_dims
    .group_segment_fixed_size: 0
    .kernarg_segment_align: 8
    .kernarg_segment_size: 304
    .language:       OpenCL C
    .language_version:
      - 2
      - 0
    .max_flat_workgroup_size: 1024
    .name:           _ZN5aiter23act_and_mul_bias_kernelIttsfTnPFfRKT2_EXadL_ZNS_11silu_kernelIfEEfRKT_EELi8EEEvPT0_PS8_PKT1_PS2_il
    .private_segment_fixed_size: 0
    .sgpr_count:     53
    .sgpr_spill_count: 0
    .symbol:         _ZN5aiter23act_and_mul_bias_kernelIttsfTnPFfRKT2_EXadL_ZNS_11silu_kernelIfEEfRKT_EELi8EEEvPT0_PS8_PKT1_PS2_il.kd
    .uniform_work_group_size: 1
    .uses_dynamic_stack: false
    .vgpr_count:     44
    .vgpr_spill_count: 0
    .wavefront_size: 64
  - .agpr_count:     0
    .args:
      - .actual_access:  write_only
        .address_space:  global
        .offset:         0
        .size:           8
        .value_kind:     global_buffer
      - .actual_access:  read_only
        .address_space:  global
        .offset:         8
        .size:           8
        .value_kind:     global_buffer
      - .actual_access:  read_only
        .address_space:  global
        .offset:         16
        .size:           8
        .value_kind:     global_buffer
      - .actual_access:  read_only
        .address_space:  global
        .offset:         24
        .size:           8
        .value_kind:     global_buffer
      - .offset:         32
        .size:           4
        .value_kind:     by_value
      - .offset:         40
        .size:           8
        .value_kind:     by_value
      - .offset:         48
        .size:           4
        .value_kind:     hidden_block_count_x
      - .offset:         52
        .size:           4
        .value_kind:     hidden_block_count_y
      - .offset:         56
        .size:           4
        .value_kind:     hidden_block_count_z
      - .offset:         60
        .size:           2
        .value_kind:     hidden_group_size_x
      - .offset:         62
        .size:           2
        .value_kind:     hidden_group_size_y
      - .offset:         64
        .size:           2
        .value_kind:     hidden_group_size_z
      - .offset:         66
        .size:           2
        .value_kind:     hidden_remainder_x
      - .offset:         68
        .size:           2
        .value_kind:     hidden_remainder_y
      - .offset:         70
        .size:           2
        .value_kind:     hidden_remainder_z
      - .offset:         88
        .size:           8
        .value_kind:     hidden_global_offset_x
      - .offset:         96
        .size:           8
        .value_kind:     hidden_global_offset_y
      - .offset:         104
        .size:           8
        .value_kind:     hidden_global_offset_z
      - .offset:         112
        .size:           2
        .value_kind:     hidden_grid_dims
    .group_segment_fixed_size: 0
    .kernarg_segment_align: 8
    .kernarg_segment_size: 304
    .language:       OpenCL C
    .language_version:
      - 2
      - 0
    .max_flat_workgroup_size: 1024
    .name:           _ZN5aiter23act_and_mul_bias_kernelIttsfTnPFfRKT2_EXadL_ZNS_11silu_kernelIfEEfRKT_EELi4EEEvPT0_PS8_PKT1_PS2_il
    .private_segment_fixed_size: 0
    .sgpr_count:     45
    .sgpr_spill_count: 0
    .symbol:         _ZN5aiter23act_and_mul_bias_kernelIttsfTnPFfRKT2_EXadL_ZNS_11silu_kernelIfEEfRKT_EELi4EEEvPT0_PS8_PKT1_PS2_il.kd
    .uniform_work_group_size: 1
    .uses_dynamic_stack: false
    .vgpr_count:     24
    .vgpr_spill_count: 0
    .wavefront_size: 64
  - .agpr_count:     0
    .args:
      - .actual_access:  write_only
        .address_space:  global
        .offset:         0
        .size:           8
        .value_kind:     global_buffer
      - .actual_access:  read_only
        .address_space:  global
        .offset:         8
        .size:           8
        .value_kind:     global_buffer
      - .actual_access:  read_only
        .address_space:  global
        .offset:         16
        .size:           8
        .value_kind:     global_buffer
      - .actual_access:  read_only
        .address_space:  global
        .offset:         24
        .size:           8
        .value_kind:     global_buffer
      - .offset:         32
        .size:           4
        .value_kind:     by_value
      - .offset:         40
        .size:           8
        .value_kind:     by_value
      - .offset:         48
        .size:           4
        .value_kind:     hidden_block_count_x
      - .offset:         52
        .size:           4
        .value_kind:     hidden_block_count_y
      - .offset:         56
        .size:           4
        .value_kind:     hidden_block_count_z
      - .offset:         60
        .size:           2
        .value_kind:     hidden_group_size_x
      - .offset:         62
        .size:           2
        .value_kind:     hidden_group_size_y
      - .offset:         64
        .size:           2
        .value_kind:     hidden_group_size_z
      - .offset:         66
        .size:           2
        .value_kind:     hidden_remainder_x
      - .offset:         68
        .size:           2
        .value_kind:     hidden_remainder_y
      - .offset:         70
        .size:           2
        .value_kind:     hidden_remainder_z
      - .offset:         88
        .size:           8
        .value_kind:     hidden_global_offset_x
      - .offset:         96
        .size:           8
        .value_kind:     hidden_global_offset_y
      - .offset:         104
        .size:           8
        .value_kind:     hidden_global_offset_z
      - .offset:         112
        .size:           2
        .value_kind:     hidden_grid_dims
    .group_segment_fixed_size: 0
    .kernarg_segment_align: 8
    .kernarg_segment_size: 304
    .language:       OpenCL C
    .language_version:
      - 2
      - 0
    .max_flat_workgroup_size: 1024
    .name:           _ZN5aiter23act_and_mul_bias_kernelIttsfTnPFfRKT2_EXadL_ZNS_11silu_kernelIfEEfRKT_EELi2EEEvPT0_PS8_PKT1_PS2_il
    .private_segment_fixed_size: 0
    .sgpr_count:     41
    .sgpr_spill_count: 0
    .symbol:         _ZN5aiter23act_and_mul_bias_kernelIttsfTnPFfRKT2_EXadL_ZNS_11silu_kernelIfEEfRKT_EELi2EEEvPT0_PS8_PKT1_PS2_il.kd
    .uniform_work_group_size: 1
    .uses_dynamic_stack: false
    .vgpr_count:     16
    .vgpr_spill_count: 0
    .wavefront_size: 64
  - .agpr_count:     0
    .args:
      - .actual_access:  write_only
        .address_space:  global
        .offset:         0
        .size:           8
        .value_kind:     global_buffer
      - .actual_access:  read_only
        .address_space:  global
        .offset:         8
        .size:           8
        .value_kind:     global_buffer
      - .actual_access:  read_only
        .address_space:  global
        .offset:         16
        .size:           8
        .value_kind:     global_buffer
      - .actual_access:  read_only
        .address_space:  global
        .offset:         24
        .size:           8
        .value_kind:     global_buffer
      - .offset:         32
        .size:           4
        .value_kind:     by_value
      - .offset:         40
        .size:           8
        .value_kind:     by_value
      - .offset:         48
        .size:           4
        .value_kind:     hidden_block_count_x
      - .offset:         52
        .size:           4
        .value_kind:     hidden_block_count_y
      - .offset:         56
        .size:           4
        .value_kind:     hidden_block_count_z
      - .offset:         60
        .size:           2
        .value_kind:     hidden_group_size_x
      - .offset:         62
        .size:           2
        .value_kind:     hidden_group_size_y
      - .offset:         64
        .size:           2
        .value_kind:     hidden_group_size_z
      - .offset:         66
        .size:           2
        .value_kind:     hidden_remainder_x
      - .offset:         68
        .size:           2
        .value_kind:     hidden_remainder_y
      - .offset:         70
        .size:           2
        .value_kind:     hidden_remainder_z
      - .offset:         88
        .size:           8
        .value_kind:     hidden_global_offset_x
      - .offset:         96
        .size:           8
        .value_kind:     hidden_global_offset_y
      - .offset:         104
        .size:           8
        .value_kind:     hidden_global_offset_z
      - .offset:         112
        .size:           2
        .value_kind:     hidden_grid_dims
    .group_segment_fixed_size: 0
    .kernarg_segment_align: 8
    .kernarg_segment_size: 304
    .language:       OpenCL C
    .language_version:
      - 2
      - 0
    .max_flat_workgroup_size: 1024
    .name:           _ZN5aiter23act_and_mul_bias_kernelIttsfTnPFfRKT2_EXadL_ZNS_11silu_kernelIfEEfRKT_EELi1EEEvPT0_PS8_PKT1_PS2_il
    .private_segment_fixed_size: 0
    .sgpr_count:     37
    .sgpr_spill_count: 0
    .symbol:         _ZN5aiter23act_and_mul_bias_kernelIttsfTnPFfRKT2_EXadL_ZNS_11silu_kernelIfEEfRKT_EELi1EEEvPT0_PS8_PKT1_PS2_il.kd
    .uniform_work_group_size: 1
    .uses_dynamic_stack: false
    .vgpr_count:     10
    .vgpr_spill_count: 0
    .wavefront_size: 64
  - .agpr_count:     0
    .args:
      - .actual_access:  write_only
        .address_space:  global
        .offset:         0
        .size:           8
        .value_kind:     global_buffer
      - .actual_access:  read_only
        .address_space:  global
        .offset:         8
        .size:           8
        .value_kind:     global_buffer
      - .actual_access:  read_only
        .address_space:  global
        .offset:         16
        .size:           8
        .value_kind:     global_buffer
      - .actual_access:  read_only
        .address_space:  global
        .offset:         24
        .size:           8
        .value_kind:     global_buffer
      - .offset:         32
        .size:           4
        .value_kind:     by_value
      - .offset:         40
        .size:           8
        .value_kind:     by_value
      - .offset:         48
        .size:           4
        .value_kind:     hidden_block_count_x
      - .offset:         52
        .size:           4
        .value_kind:     hidden_block_count_y
      - .offset:         56
        .size:           4
        .value_kind:     hidden_block_count_z
      - .offset:         60
        .size:           2
        .value_kind:     hidden_group_size_x
      - .offset:         62
        .size:           2
        .value_kind:     hidden_group_size_y
      - .offset:         64
        .size:           2
        .value_kind:     hidden_group_size_z
      - .offset:         66
        .size:           2
        .value_kind:     hidden_remainder_x
      - .offset:         68
        .size:           2
        .value_kind:     hidden_remainder_y
      - .offset:         70
        .size:           2
        .value_kind:     hidden_remainder_z
      - .offset:         88
        .size:           8
        .value_kind:     hidden_global_offset_x
      - .offset:         96
        .size:           8
        .value_kind:     hidden_global_offset_y
      - .offset:         104
        .size:           8
        .value_kind:     hidden_global_offset_z
      - .offset:         112
        .size:           2
        .value_kind:     hidden_grid_dims
    .group_segment_fixed_size: 0
    .kernarg_segment_align: 8
    .kernarg_segment_size: 304
    .language:       OpenCL C
    .language_version:
      - 2
      - 0
    .max_flat_workgroup_size: 1024
    .name:           _ZN5aiter23act_and_mul_bias_kernelIftifTnPFfRKT2_EXadL_ZNS_11silu_kernelIfEEfRKT_EELi16EEEvPT0_PS8_PKT1_PS2_il
    .private_segment_fixed_size: 0
    .sgpr_count:     69
    .sgpr_spill_count: 0
    .symbol:         _ZN5aiter23act_and_mul_bias_kernelIftifTnPFfRKT2_EXadL_ZNS_11silu_kernelIfEEfRKT_EELi16EEEvPT0_PS8_PKT1_PS2_il.kd
    .uniform_work_group_size: 1
    .uses_dynamic_stack: false
    .vgpr_count:     68
    .vgpr_spill_count: 0
    .wavefront_size: 64
  - .agpr_count:     0
    .args:
      - .actual_access:  write_only
        .address_space:  global
        .offset:         0
        .size:           8
        .value_kind:     global_buffer
      - .actual_access:  read_only
        .address_space:  global
        .offset:         8
        .size:           8
        .value_kind:     global_buffer
      - .actual_access:  read_only
        .address_space:  global
        .offset:         16
        .size:           8
        .value_kind:     global_buffer
      - .actual_access:  read_only
        .address_space:  global
        .offset:         24
        .size:           8
        .value_kind:     global_buffer
      - .offset:         32
        .size:           4
        .value_kind:     by_value
      - .offset:         40
        .size:           8
        .value_kind:     by_value
      - .offset:         48
        .size:           4
        .value_kind:     hidden_block_count_x
      - .offset:         52
        .size:           4
        .value_kind:     hidden_block_count_y
      - .offset:         56
        .size:           4
        .value_kind:     hidden_block_count_z
      - .offset:         60
        .size:           2
        .value_kind:     hidden_group_size_x
      - .offset:         62
        .size:           2
        .value_kind:     hidden_group_size_y
      - .offset:         64
        .size:           2
        .value_kind:     hidden_group_size_z
      - .offset:         66
        .size:           2
        .value_kind:     hidden_remainder_x
      - .offset:         68
        .size:           2
        .value_kind:     hidden_remainder_y
      - .offset:         70
        .size:           2
        .value_kind:     hidden_remainder_z
      - .offset:         88
        .size:           8
        .value_kind:     hidden_global_offset_x
      - .offset:         96
        .size:           8
        .value_kind:     hidden_global_offset_y
      - .offset:         104
        .size:           8
        .value_kind:     hidden_global_offset_z
      - .offset:         112
        .size:           2
        .value_kind:     hidden_grid_dims
    .group_segment_fixed_size: 0
    .kernarg_segment_align: 8
    .kernarg_segment_size: 304
    .language:       OpenCL C
    .language_version:
      - 2
      - 0
    .max_flat_workgroup_size: 1024
    .name:           _ZN5aiter23act_and_mul_bias_kernelIftifTnPFfRKT2_EXadL_ZNS_11silu_kernelIfEEfRKT_EELi8EEEvPT0_PS8_PKT1_PS2_il
    .private_segment_fixed_size: 0
    .sgpr_count:     53
    .sgpr_spill_count: 0
    .symbol:         _ZN5aiter23act_and_mul_bias_kernelIftifTnPFfRKT2_EXadL_ZNS_11silu_kernelIfEEfRKT_EELi8EEEvPT0_PS8_PKT1_PS2_il.kd
    .uniform_work_group_size: 1
    .uses_dynamic_stack: false
    .vgpr_count:     44
    .vgpr_spill_count: 0
    .wavefront_size: 64
  - .agpr_count:     0
    .args:
      - .actual_access:  write_only
        .address_space:  global
        .offset:         0
        .size:           8
        .value_kind:     global_buffer
      - .actual_access:  read_only
        .address_space:  global
        .offset:         8
        .size:           8
        .value_kind:     global_buffer
      - .actual_access:  read_only
        .address_space:  global
        .offset:         16
        .size:           8
        .value_kind:     global_buffer
      - .actual_access:  read_only
        .address_space:  global
        .offset:         24
        .size:           8
        .value_kind:     global_buffer
      - .offset:         32
        .size:           4
        .value_kind:     by_value
      - .offset:         40
        .size:           8
        .value_kind:     by_value
      - .offset:         48
        .size:           4
        .value_kind:     hidden_block_count_x
      - .offset:         52
        .size:           4
        .value_kind:     hidden_block_count_y
      - .offset:         56
        .size:           4
        .value_kind:     hidden_block_count_z
      - .offset:         60
        .size:           2
        .value_kind:     hidden_group_size_x
      - .offset:         62
        .size:           2
        .value_kind:     hidden_group_size_y
      - .offset:         64
        .size:           2
        .value_kind:     hidden_group_size_z
      - .offset:         66
        .size:           2
        .value_kind:     hidden_remainder_x
      - .offset:         68
        .size:           2
        .value_kind:     hidden_remainder_y
      - .offset:         70
        .size:           2
        .value_kind:     hidden_remainder_z
      - .offset:         88
        .size:           8
        .value_kind:     hidden_global_offset_x
      - .offset:         96
        .size:           8
        .value_kind:     hidden_global_offset_y
      - .offset:         104
        .size:           8
        .value_kind:     hidden_global_offset_z
      - .offset:         112
        .size:           2
        .value_kind:     hidden_grid_dims
    .group_segment_fixed_size: 0
    .kernarg_segment_align: 8
    .kernarg_segment_size: 304
    .language:       OpenCL C
    .language_version:
      - 2
      - 0
    .max_flat_workgroup_size: 1024
    .name:           _ZN5aiter23act_and_mul_bias_kernelIftifTnPFfRKT2_EXadL_ZNS_11silu_kernelIfEEfRKT_EELi4EEEvPT0_PS8_PKT1_PS2_il
    .private_segment_fixed_size: 0
    .sgpr_count:     45
    .sgpr_spill_count: 0
    .symbol:         _ZN5aiter23act_and_mul_bias_kernelIftifTnPFfRKT2_EXadL_ZNS_11silu_kernelIfEEfRKT_EELi4EEEvPT0_PS8_PKT1_PS2_il.kd
    .uniform_work_group_size: 1
    .uses_dynamic_stack: false
    .vgpr_count:     23
    .vgpr_spill_count: 0
    .wavefront_size: 64
  - .agpr_count:     0
    .args:
      - .actual_access:  write_only
        .address_space:  global
        .offset:         0
        .size:           8
        .value_kind:     global_buffer
      - .actual_access:  read_only
        .address_space:  global
        .offset:         8
        .size:           8
        .value_kind:     global_buffer
      - .actual_access:  read_only
        .address_space:  global
        .offset:         16
        .size:           8
        .value_kind:     global_buffer
      - .actual_access:  read_only
        .address_space:  global
        .offset:         24
        .size:           8
        .value_kind:     global_buffer
      - .offset:         32
        .size:           4
        .value_kind:     by_value
      - .offset:         40
        .size:           8
        .value_kind:     by_value
      - .offset:         48
        .size:           4
        .value_kind:     hidden_block_count_x
      - .offset:         52
        .size:           4
        .value_kind:     hidden_block_count_y
      - .offset:         56
        .size:           4
        .value_kind:     hidden_block_count_z
      - .offset:         60
        .size:           2
        .value_kind:     hidden_group_size_x
      - .offset:         62
        .size:           2
        .value_kind:     hidden_group_size_y
      - .offset:         64
        .size:           2
        .value_kind:     hidden_group_size_z
      - .offset:         66
        .size:           2
        .value_kind:     hidden_remainder_x
      - .offset:         68
        .size:           2
        .value_kind:     hidden_remainder_y
      - .offset:         70
        .size:           2
        .value_kind:     hidden_remainder_z
      - .offset:         88
        .size:           8
        .value_kind:     hidden_global_offset_x
      - .offset:         96
        .size:           8
        .value_kind:     hidden_global_offset_y
      - .offset:         104
        .size:           8
        .value_kind:     hidden_global_offset_z
      - .offset:         112
        .size:           2
        .value_kind:     hidden_grid_dims
    .group_segment_fixed_size: 0
    .kernarg_segment_align: 8
    .kernarg_segment_size: 304
    .language:       OpenCL C
    .language_version:
      - 2
      - 0
    .max_flat_workgroup_size: 1024
    .name:           _ZN5aiter23act_and_mul_bias_kernelIftifTnPFfRKT2_EXadL_ZNS_11silu_kernelIfEEfRKT_EELi2EEEvPT0_PS8_PKT1_PS2_il
    .private_segment_fixed_size: 0
    .sgpr_count:     41
    .sgpr_spill_count: 0
    .symbol:         _ZN5aiter23act_and_mul_bias_kernelIftifTnPFfRKT2_EXadL_ZNS_11silu_kernelIfEEfRKT_EELi2EEEvPT0_PS8_PKT1_PS2_il.kd
    .uniform_work_group_size: 1
    .uses_dynamic_stack: false
    .vgpr_count:     15
    .vgpr_spill_count: 0
    .wavefront_size: 64
  - .agpr_count:     0
    .args:
      - .actual_access:  write_only
        .address_space:  global
        .offset:         0
        .size:           8
        .value_kind:     global_buffer
      - .actual_access:  read_only
        .address_space:  global
        .offset:         8
        .size:           8
        .value_kind:     global_buffer
      - .actual_access:  read_only
        .address_space:  global
        .offset:         16
        .size:           8
        .value_kind:     global_buffer
      - .actual_access:  read_only
        .address_space:  global
        .offset:         24
        .size:           8
        .value_kind:     global_buffer
      - .offset:         32
        .size:           4
        .value_kind:     by_value
      - .offset:         40
        .size:           8
        .value_kind:     by_value
      - .offset:         48
        .size:           4
        .value_kind:     hidden_block_count_x
      - .offset:         52
        .size:           4
        .value_kind:     hidden_block_count_y
      - .offset:         56
        .size:           4
        .value_kind:     hidden_block_count_z
      - .offset:         60
        .size:           2
        .value_kind:     hidden_group_size_x
      - .offset:         62
        .size:           2
        .value_kind:     hidden_group_size_y
      - .offset:         64
        .size:           2
        .value_kind:     hidden_group_size_z
      - .offset:         66
        .size:           2
        .value_kind:     hidden_remainder_x
      - .offset:         68
        .size:           2
        .value_kind:     hidden_remainder_y
      - .offset:         70
        .size:           2
        .value_kind:     hidden_remainder_z
      - .offset:         88
        .size:           8
        .value_kind:     hidden_global_offset_x
      - .offset:         96
        .size:           8
        .value_kind:     hidden_global_offset_y
      - .offset:         104
        .size:           8
        .value_kind:     hidden_global_offset_z
      - .offset:         112
        .size:           2
        .value_kind:     hidden_grid_dims
    .group_segment_fixed_size: 0
    .kernarg_segment_align: 8
    .kernarg_segment_size: 304
    .language:       OpenCL C
    .language_version:
      - 2
      - 0
    .max_flat_workgroup_size: 1024
    .name:           _ZN5aiter23act_and_mul_bias_kernelIftifTnPFfRKT2_EXadL_ZNS_11silu_kernelIfEEfRKT_EELi1EEEvPT0_PS8_PKT1_PS2_il
    .private_segment_fixed_size: 0
    .sgpr_count:     37
    .sgpr_spill_count: 0
    .symbol:         _ZN5aiter23act_and_mul_bias_kernelIftifTnPFfRKT2_EXadL_ZNS_11silu_kernelIfEEfRKT_EELi1EEEvPT0_PS8_PKT1_PS2_il.kd
    .uniform_work_group_size: 1
    .uses_dynamic_stack: false
    .vgpr_count:     10
    .vgpr_spill_count: 0
    .wavefront_size: 64
  - .agpr_count:     0
    .args:
      - .actual_access:  write_only
        .address_space:  global
        .offset:         0
        .size:           8
        .value_kind:     global_buffer
      - .actual_access:  read_only
        .address_space:  global
        .offset:         8
        .size:           8
        .value_kind:     global_buffer
      - .actual_access:  read_only
        .address_space:  global
        .offset:         16
        .size:           8
        .value_kind:     global_buffer
      - .actual_access:  read_only
        .address_space:  global
        .offset:         24
        .size:           8
        .value_kind:     global_buffer
      - .offset:         32
        .size:           4
        .value_kind:     by_value
      - .offset:         40
        .size:           8
        .value_kind:     by_value
      - .offset:         48
        .size:           4
        .value_kind:     hidden_block_count_x
      - .offset:         52
        .size:           4
        .value_kind:     hidden_block_count_y
      - .offset:         56
        .size:           4
        .value_kind:     hidden_block_count_z
      - .offset:         60
        .size:           2
        .value_kind:     hidden_group_size_x
      - .offset:         62
        .size:           2
        .value_kind:     hidden_group_size_y
      - .offset:         64
        .size:           2
        .value_kind:     hidden_group_size_z
      - .offset:         66
        .size:           2
        .value_kind:     hidden_remainder_x
      - .offset:         68
        .size:           2
        .value_kind:     hidden_remainder_y
      - .offset:         70
        .size:           2
        .value_kind:     hidden_remainder_z
      - .offset:         88
        .size:           8
        .value_kind:     hidden_global_offset_x
      - .offset:         96
        .size:           8
        .value_kind:     hidden_global_offset_y
      - .offset:         104
        .size:           8
        .value_kind:     hidden_global_offset_z
      - .offset:         112
        .size:           2
        .value_kind:     hidden_grid_dims
    .group_segment_fixed_size: 0
    .kernarg_segment_align: 8
    .kernarg_segment_size: 304
    .language:       OpenCL C
    .language_version:
      - 2
      - 0
    .max_flat_workgroup_size: 1024
    .name:           _ZN5aiter23act_and_mul_bias_kernelIfDF16_ifTnPFfRKT2_EXadL_ZNS_11silu_kernelIfEEfRKT_EELi16EEEvPT0_PS8_PKT1_PS2_il
    .private_segment_fixed_size: 0
    .sgpr_count:     68
    .sgpr_spill_count: 0
    .symbol:         _ZN5aiter23act_and_mul_bias_kernelIfDF16_ifTnPFfRKT2_EXadL_ZNS_11silu_kernelIfEEfRKT_EELi16EEEvPT0_PS8_PKT1_PS2_il.kd
    .uniform_work_group_size: 1
    .uses_dynamic_stack: false
    .vgpr_count:     69
    .vgpr_spill_count: 0
    .wavefront_size: 64
  - .agpr_count:     0
    .args:
      - .actual_access:  write_only
        .address_space:  global
        .offset:         0
        .size:           8
        .value_kind:     global_buffer
      - .actual_access:  read_only
        .address_space:  global
        .offset:         8
        .size:           8
        .value_kind:     global_buffer
      - .actual_access:  read_only
        .address_space:  global
        .offset:         16
        .size:           8
        .value_kind:     global_buffer
      - .actual_access:  read_only
        .address_space:  global
        .offset:         24
        .size:           8
        .value_kind:     global_buffer
      - .offset:         32
        .size:           4
        .value_kind:     by_value
      - .offset:         40
        .size:           8
        .value_kind:     by_value
      - .offset:         48
        .size:           4
        .value_kind:     hidden_block_count_x
      - .offset:         52
        .size:           4
        .value_kind:     hidden_block_count_y
      - .offset:         56
        .size:           4
        .value_kind:     hidden_block_count_z
      - .offset:         60
        .size:           2
        .value_kind:     hidden_group_size_x
      - .offset:         62
        .size:           2
        .value_kind:     hidden_group_size_y
      - .offset:         64
        .size:           2
        .value_kind:     hidden_group_size_z
      - .offset:         66
        .size:           2
        .value_kind:     hidden_remainder_x
      - .offset:         68
        .size:           2
        .value_kind:     hidden_remainder_y
      - .offset:         70
        .size:           2
        .value_kind:     hidden_remainder_z
      - .offset:         88
        .size:           8
        .value_kind:     hidden_global_offset_x
      - .offset:         96
        .size:           8
        .value_kind:     hidden_global_offset_y
      - .offset:         104
        .size:           8
        .value_kind:     hidden_global_offset_z
      - .offset:         112
        .size:           2
        .value_kind:     hidden_grid_dims
    .group_segment_fixed_size: 0
    .kernarg_segment_align: 8
    .kernarg_segment_size: 304
    .language:       OpenCL C
    .language_version:
      - 2
      - 0
    .max_flat_workgroup_size: 1024
    .name:           _ZN5aiter23act_and_mul_bias_kernelIfDF16_ifTnPFfRKT2_EXadL_ZNS_11silu_kernelIfEEfRKT_EELi8EEEvPT0_PS8_PKT1_PS2_il
    .private_segment_fixed_size: 0
    .sgpr_count:     52
    .sgpr_spill_count: 0
    .symbol:         _ZN5aiter23act_and_mul_bias_kernelIfDF16_ifTnPFfRKT2_EXadL_ZNS_11silu_kernelIfEEfRKT_EELi8EEEvPT0_PS8_PKT1_PS2_il.kd
    .uniform_work_group_size: 1
    .uses_dynamic_stack: false
    .vgpr_count:     44
    .vgpr_spill_count: 0
    .wavefront_size: 64
  - .agpr_count:     0
    .args:
      - .actual_access:  write_only
        .address_space:  global
        .offset:         0
        .size:           8
        .value_kind:     global_buffer
      - .actual_access:  read_only
        .address_space:  global
        .offset:         8
        .size:           8
        .value_kind:     global_buffer
      - .actual_access:  read_only
        .address_space:  global
        .offset:         16
        .size:           8
        .value_kind:     global_buffer
      - .actual_access:  read_only
        .address_space:  global
        .offset:         24
        .size:           8
        .value_kind:     global_buffer
      - .offset:         32
        .size:           4
        .value_kind:     by_value
      - .offset:         40
        .size:           8
        .value_kind:     by_value
      - .offset:         48
        .size:           4
        .value_kind:     hidden_block_count_x
      - .offset:         52
        .size:           4
        .value_kind:     hidden_block_count_y
      - .offset:         56
        .size:           4
        .value_kind:     hidden_block_count_z
      - .offset:         60
        .size:           2
        .value_kind:     hidden_group_size_x
      - .offset:         62
        .size:           2
        .value_kind:     hidden_group_size_y
      - .offset:         64
        .size:           2
        .value_kind:     hidden_group_size_z
      - .offset:         66
        .size:           2
        .value_kind:     hidden_remainder_x
      - .offset:         68
        .size:           2
        .value_kind:     hidden_remainder_y
      - .offset:         70
        .size:           2
        .value_kind:     hidden_remainder_z
      - .offset:         88
        .size:           8
        .value_kind:     hidden_global_offset_x
      - .offset:         96
        .size:           8
        .value_kind:     hidden_global_offset_y
      - .offset:         104
        .size:           8
        .value_kind:     hidden_global_offset_z
      - .offset:         112
        .size:           2
        .value_kind:     hidden_grid_dims
    .group_segment_fixed_size: 0
    .kernarg_segment_align: 8
    .kernarg_segment_size: 304
    .language:       OpenCL C
    .language_version:
      - 2
      - 0
    .max_flat_workgroup_size: 1024
    .name:           _ZN5aiter23act_and_mul_bias_kernelIfDF16_ifTnPFfRKT2_EXadL_ZNS_11silu_kernelIfEEfRKT_EELi4EEEvPT0_PS8_PKT1_PS2_il
    .private_segment_fixed_size: 0
    .sgpr_count:     44
    .sgpr_spill_count: 0
    .symbol:         _ZN5aiter23act_and_mul_bias_kernelIfDF16_ifTnPFfRKT2_EXadL_ZNS_11silu_kernelIfEEfRKT_EELi4EEEvPT0_PS8_PKT1_PS2_il.kd
    .uniform_work_group_size: 1
    .uses_dynamic_stack: false
    .vgpr_count:     24
    .vgpr_spill_count: 0
    .wavefront_size: 64
  - .agpr_count:     0
    .args:
      - .actual_access:  write_only
        .address_space:  global
        .offset:         0
        .size:           8
        .value_kind:     global_buffer
      - .actual_access:  read_only
        .address_space:  global
        .offset:         8
        .size:           8
        .value_kind:     global_buffer
      - .actual_access:  read_only
        .address_space:  global
        .offset:         16
        .size:           8
        .value_kind:     global_buffer
      - .actual_access:  read_only
        .address_space:  global
        .offset:         24
        .size:           8
        .value_kind:     global_buffer
      - .offset:         32
        .size:           4
        .value_kind:     by_value
      - .offset:         40
        .size:           8
        .value_kind:     by_value
      - .offset:         48
        .size:           4
        .value_kind:     hidden_block_count_x
      - .offset:         52
        .size:           4
        .value_kind:     hidden_block_count_y
      - .offset:         56
        .size:           4
        .value_kind:     hidden_block_count_z
      - .offset:         60
        .size:           2
        .value_kind:     hidden_group_size_x
      - .offset:         62
        .size:           2
        .value_kind:     hidden_group_size_y
      - .offset:         64
        .size:           2
        .value_kind:     hidden_group_size_z
      - .offset:         66
        .size:           2
        .value_kind:     hidden_remainder_x
      - .offset:         68
        .size:           2
        .value_kind:     hidden_remainder_y
      - .offset:         70
        .size:           2
        .value_kind:     hidden_remainder_z
      - .offset:         88
        .size:           8
        .value_kind:     hidden_global_offset_x
      - .offset:         96
        .size:           8
        .value_kind:     hidden_global_offset_y
      - .offset:         104
        .size:           8
        .value_kind:     hidden_global_offset_z
      - .offset:         112
        .size:           2
        .value_kind:     hidden_grid_dims
    .group_segment_fixed_size: 0
    .kernarg_segment_align: 8
    .kernarg_segment_size: 304
    .language:       OpenCL C
    .language_version:
      - 2
      - 0
    .max_flat_workgroup_size: 1024
    .name:           _ZN5aiter23act_and_mul_bias_kernelIfDF16_ifTnPFfRKT2_EXadL_ZNS_11silu_kernelIfEEfRKT_EELi2EEEvPT0_PS8_PKT1_PS2_il
    .private_segment_fixed_size: 0
    .sgpr_count:     40
    .sgpr_spill_count: 0
    .symbol:         _ZN5aiter23act_and_mul_bias_kernelIfDF16_ifTnPFfRKT2_EXadL_ZNS_11silu_kernelIfEEfRKT_EELi2EEEvPT0_PS8_PKT1_PS2_il.kd
    .uniform_work_group_size: 1
    .uses_dynamic_stack: false
    .vgpr_count:     14
    .vgpr_spill_count: 0
    .wavefront_size: 64
  - .agpr_count:     0
    .args:
      - .actual_access:  write_only
        .address_space:  global
        .offset:         0
        .size:           8
        .value_kind:     global_buffer
      - .actual_access:  read_only
        .address_space:  global
        .offset:         8
        .size:           8
        .value_kind:     global_buffer
      - .actual_access:  read_only
        .address_space:  global
        .offset:         16
        .size:           8
        .value_kind:     global_buffer
      - .actual_access:  read_only
        .address_space:  global
        .offset:         24
        .size:           8
        .value_kind:     global_buffer
      - .offset:         32
        .size:           4
        .value_kind:     by_value
      - .offset:         40
        .size:           8
        .value_kind:     by_value
      - .offset:         48
        .size:           4
        .value_kind:     hidden_block_count_x
      - .offset:         52
        .size:           4
        .value_kind:     hidden_block_count_y
      - .offset:         56
        .size:           4
        .value_kind:     hidden_block_count_z
      - .offset:         60
        .size:           2
        .value_kind:     hidden_group_size_x
      - .offset:         62
        .size:           2
        .value_kind:     hidden_group_size_y
      - .offset:         64
        .size:           2
        .value_kind:     hidden_group_size_z
      - .offset:         66
        .size:           2
        .value_kind:     hidden_remainder_x
      - .offset:         68
        .size:           2
        .value_kind:     hidden_remainder_y
      - .offset:         70
        .size:           2
        .value_kind:     hidden_remainder_z
      - .offset:         88
        .size:           8
        .value_kind:     hidden_global_offset_x
      - .offset:         96
        .size:           8
        .value_kind:     hidden_global_offset_y
      - .offset:         104
        .size:           8
        .value_kind:     hidden_global_offset_z
      - .offset:         112
        .size:           2
        .value_kind:     hidden_grid_dims
    .group_segment_fixed_size: 0
    .kernarg_segment_align: 8
    .kernarg_segment_size: 304
    .language:       OpenCL C
    .language_version:
      - 2
      - 0
    .max_flat_workgroup_size: 1024
    .name:           _ZN5aiter23act_and_mul_bias_kernelIfDF16_ifTnPFfRKT2_EXadL_ZNS_11silu_kernelIfEEfRKT_EELi1EEEvPT0_PS8_PKT1_PS2_il
    .private_segment_fixed_size: 0
    .sgpr_count:     37
    .sgpr_spill_count: 0
    .symbol:         _ZN5aiter23act_and_mul_bias_kernelIfDF16_ifTnPFfRKT2_EXadL_ZNS_11silu_kernelIfEEfRKT_EELi1EEEvPT0_PS8_PKT1_PS2_il.kd
    .uniform_work_group_size: 1
    .uses_dynamic_stack: false
    .vgpr_count:     10
    .vgpr_spill_count: 0
    .wavefront_size: 64
  - .agpr_count:     0
    .args:
      - .actual_access:  write_only
        .address_space:  global
        .offset:         0
        .size:           8
        .value_kind:     global_buffer
      - .actual_access:  read_only
        .address_space:  global
        .offset:         8
        .size:           8
        .value_kind:     global_buffer
      - .actual_access:  read_only
        .address_space:  global
        .offset:         16
        .size:           8
        .value_kind:     global_buffer
      - .actual_access:  read_only
        .address_space:  global
        .offset:         24
        .size:           8
        .value_kind:     global_buffer
      - .offset:         32
        .size:           4
        .value_kind:     by_value
      - .offset:         40
        .size:           8
        .value_kind:     by_value
      - .offset:         48
        .size:           4
        .value_kind:     hidden_block_count_x
      - .offset:         52
        .size:           4
        .value_kind:     hidden_block_count_y
      - .offset:         56
        .size:           4
        .value_kind:     hidden_block_count_z
      - .offset:         60
        .size:           2
        .value_kind:     hidden_group_size_x
      - .offset:         62
        .size:           2
        .value_kind:     hidden_group_size_y
      - .offset:         64
        .size:           2
        .value_kind:     hidden_group_size_z
      - .offset:         66
        .size:           2
        .value_kind:     hidden_remainder_x
      - .offset:         68
        .size:           2
        .value_kind:     hidden_remainder_y
      - .offset:         70
        .size:           2
        .value_kind:     hidden_remainder_z
      - .offset:         88
        .size:           8
        .value_kind:     hidden_global_offset_x
      - .offset:         96
        .size:           8
        .value_kind:     hidden_global_offset_y
      - .offset:         104
        .size:           8
        .value_kind:     hidden_global_offset_z
      - .offset:         112
        .size:           2
        .value_kind:     hidden_grid_dims
    .group_segment_fixed_size: 0
    .kernarg_segment_align: 8
    .kernarg_segment_size: 304
    .language:       OpenCL C
    .language_version:
      - 2
      - 0
    .max_flat_workgroup_size: 1024
    .name:           _ZN5aiter23act_and_mul_bias_kernelIffifTnPFfRKT2_EXadL_ZNS_11silu_kernelIfEEfRKT_EELi16EEEvPT0_PS8_PKT1_PS2_il
    .private_segment_fixed_size: 0
    .sgpr_count:     68
    .sgpr_spill_count: 0
    .symbol:         _ZN5aiter23act_and_mul_bias_kernelIffifTnPFfRKT2_EXadL_ZNS_11silu_kernelIfEEfRKT_EELi16EEEvPT0_PS8_PKT1_PS2_il.kd
    .uniform_work_group_size: 1
    .uses_dynamic_stack: false
    .vgpr_count:     69
    .vgpr_spill_count: 0
    .wavefront_size: 64
  - .agpr_count:     0
    .args:
      - .actual_access:  write_only
        .address_space:  global
        .offset:         0
        .size:           8
        .value_kind:     global_buffer
      - .actual_access:  read_only
        .address_space:  global
        .offset:         8
        .size:           8
        .value_kind:     global_buffer
      - .actual_access:  read_only
        .address_space:  global
        .offset:         16
        .size:           8
        .value_kind:     global_buffer
      - .actual_access:  read_only
        .address_space:  global
        .offset:         24
        .size:           8
        .value_kind:     global_buffer
      - .offset:         32
        .size:           4
        .value_kind:     by_value
      - .offset:         40
        .size:           8
        .value_kind:     by_value
      - .offset:         48
        .size:           4
        .value_kind:     hidden_block_count_x
      - .offset:         52
        .size:           4
        .value_kind:     hidden_block_count_y
      - .offset:         56
        .size:           4
        .value_kind:     hidden_block_count_z
      - .offset:         60
        .size:           2
        .value_kind:     hidden_group_size_x
      - .offset:         62
        .size:           2
        .value_kind:     hidden_group_size_y
      - .offset:         64
        .size:           2
        .value_kind:     hidden_group_size_z
      - .offset:         66
        .size:           2
        .value_kind:     hidden_remainder_x
      - .offset:         68
        .size:           2
        .value_kind:     hidden_remainder_y
      - .offset:         70
        .size:           2
        .value_kind:     hidden_remainder_z
      - .offset:         88
        .size:           8
        .value_kind:     hidden_global_offset_x
      - .offset:         96
        .size:           8
        .value_kind:     hidden_global_offset_y
      - .offset:         104
        .size:           8
        .value_kind:     hidden_global_offset_z
      - .offset:         112
        .size:           2
        .value_kind:     hidden_grid_dims
    .group_segment_fixed_size: 0
    .kernarg_segment_align: 8
    .kernarg_segment_size: 304
    .language:       OpenCL C
    .language_version:
      - 2
      - 0
    .max_flat_workgroup_size: 1024
    .name:           _ZN5aiter23act_and_mul_bias_kernelIffifTnPFfRKT2_EXadL_ZNS_11silu_kernelIfEEfRKT_EELi8EEEvPT0_PS8_PKT1_PS2_il
    .private_segment_fixed_size: 0
    .sgpr_count:     52
    .sgpr_spill_count: 0
    .symbol:         _ZN5aiter23act_and_mul_bias_kernelIffifTnPFfRKT2_EXadL_ZNS_11silu_kernelIfEEfRKT_EELi8EEEvPT0_PS8_PKT1_PS2_il.kd
    .uniform_work_group_size: 1
    .uses_dynamic_stack: false
    .vgpr_count:     44
    .vgpr_spill_count: 0
    .wavefront_size: 64
  - .agpr_count:     0
    .args:
      - .actual_access:  write_only
        .address_space:  global
        .offset:         0
        .size:           8
        .value_kind:     global_buffer
      - .actual_access:  read_only
        .address_space:  global
        .offset:         8
        .size:           8
        .value_kind:     global_buffer
      - .actual_access:  read_only
        .address_space:  global
        .offset:         16
        .size:           8
        .value_kind:     global_buffer
      - .actual_access:  read_only
        .address_space:  global
        .offset:         24
        .size:           8
        .value_kind:     global_buffer
      - .offset:         32
        .size:           4
        .value_kind:     by_value
      - .offset:         40
        .size:           8
        .value_kind:     by_value
      - .offset:         48
        .size:           4
        .value_kind:     hidden_block_count_x
      - .offset:         52
        .size:           4
        .value_kind:     hidden_block_count_y
      - .offset:         56
        .size:           4
        .value_kind:     hidden_block_count_z
      - .offset:         60
        .size:           2
        .value_kind:     hidden_group_size_x
      - .offset:         62
        .size:           2
        .value_kind:     hidden_group_size_y
      - .offset:         64
        .size:           2
        .value_kind:     hidden_group_size_z
      - .offset:         66
        .size:           2
        .value_kind:     hidden_remainder_x
      - .offset:         68
        .size:           2
        .value_kind:     hidden_remainder_y
      - .offset:         70
        .size:           2
        .value_kind:     hidden_remainder_z
      - .offset:         88
        .size:           8
        .value_kind:     hidden_global_offset_x
      - .offset:         96
        .size:           8
        .value_kind:     hidden_global_offset_y
      - .offset:         104
        .size:           8
        .value_kind:     hidden_global_offset_z
      - .offset:         112
        .size:           2
        .value_kind:     hidden_grid_dims
    .group_segment_fixed_size: 0
    .kernarg_segment_align: 8
    .kernarg_segment_size: 304
    .language:       OpenCL C
    .language_version:
      - 2
      - 0
    .max_flat_workgroup_size: 1024
    .name:           _ZN5aiter23act_and_mul_bias_kernelIffifTnPFfRKT2_EXadL_ZNS_11silu_kernelIfEEfRKT_EELi4EEEvPT0_PS8_PKT1_PS2_il
    .private_segment_fixed_size: 0
    .sgpr_count:     44
    .sgpr_spill_count: 0
    .symbol:         _ZN5aiter23act_and_mul_bias_kernelIffifTnPFfRKT2_EXadL_ZNS_11silu_kernelIfEEfRKT_EELi4EEEvPT0_PS8_PKT1_PS2_il.kd
    .uniform_work_group_size: 1
    .uses_dynamic_stack: false
    .vgpr_count:     24
    .vgpr_spill_count: 0
    .wavefront_size: 64
  - .agpr_count:     0
    .args:
      - .actual_access:  write_only
        .address_space:  global
        .offset:         0
        .size:           8
        .value_kind:     global_buffer
      - .actual_access:  read_only
        .address_space:  global
        .offset:         8
        .size:           8
        .value_kind:     global_buffer
      - .actual_access:  read_only
        .address_space:  global
        .offset:         16
        .size:           8
        .value_kind:     global_buffer
      - .actual_access:  read_only
        .address_space:  global
        .offset:         24
        .size:           8
        .value_kind:     global_buffer
      - .offset:         32
        .size:           4
        .value_kind:     by_value
      - .offset:         40
        .size:           8
        .value_kind:     by_value
      - .offset:         48
        .size:           4
        .value_kind:     hidden_block_count_x
      - .offset:         52
        .size:           4
        .value_kind:     hidden_block_count_y
      - .offset:         56
        .size:           4
        .value_kind:     hidden_block_count_z
      - .offset:         60
        .size:           2
        .value_kind:     hidden_group_size_x
      - .offset:         62
        .size:           2
        .value_kind:     hidden_group_size_y
      - .offset:         64
        .size:           2
        .value_kind:     hidden_group_size_z
      - .offset:         66
        .size:           2
        .value_kind:     hidden_remainder_x
      - .offset:         68
        .size:           2
        .value_kind:     hidden_remainder_y
      - .offset:         70
        .size:           2
        .value_kind:     hidden_remainder_z
      - .offset:         88
        .size:           8
        .value_kind:     hidden_global_offset_x
      - .offset:         96
        .size:           8
        .value_kind:     hidden_global_offset_y
      - .offset:         104
        .size:           8
        .value_kind:     hidden_global_offset_z
      - .offset:         112
        .size:           2
        .value_kind:     hidden_grid_dims
    .group_segment_fixed_size: 0
    .kernarg_segment_align: 8
    .kernarg_segment_size: 304
    .language:       OpenCL C
    .language_version:
      - 2
      - 0
    .max_flat_workgroup_size: 1024
    .name:           _ZN5aiter23act_and_mul_bias_kernelIffifTnPFfRKT2_EXadL_ZNS_11silu_kernelIfEEfRKT_EELi2EEEvPT0_PS8_PKT1_PS2_il
    .private_segment_fixed_size: 0
    .sgpr_count:     40
    .sgpr_spill_count: 0
    .symbol:         _ZN5aiter23act_and_mul_bias_kernelIffifTnPFfRKT2_EXadL_ZNS_11silu_kernelIfEEfRKT_EELi2EEEvPT0_PS8_PKT1_PS2_il.kd
    .uniform_work_group_size: 1
    .uses_dynamic_stack: false
    .vgpr_count:     16
    .vgpr_spill_count: 0
    .wavefront_size: 64
  - .agpr_count:     0
    .args:
      - .actual_access:  write_only
        .address_space:  global
        .offset:         0
        .size:           8
        .value_kind:     global_buffer
      - .actual_access:  read_only
        .address_space:  global
        .offset:         8
        .size:           8
        .value_kind:     global_buffer
      - .actual_access:  read_only
        .address_space:  global
        .offset:         16
        .size:           8
        .value_kind:     global_buffer
      - .actual_access:  read_only
        .address_space:  global
        .offset:         24
        .size:           8
        .value_kind:     global_buffer
      - .offset:         32
        .size:           4
        .value_kind:     by_value
      - .offset:         40
        .size:           8
        .value_kind:     by_value
      - .offset:         48
        .size:           4
        .value_kind:     hidden_block_count_x
      - .offset:         52
        .size:           4
        .value_kind:     hidden_block_count_y
      - .offset:         56
        .size:           4
        .value_kind:     hidden_block_count_z
      - .offset:         60
        .size:           2
        .value_kind:     hidden_group_size_x
      - .offset:         62
        .size:           2
        .value_kind:     hidden_group_size_y
      - .offset:         64
        .size:           2
        .value_kind:     hidden_group_size_z
      - .offset:         66
        .size:           2
        .value_kind:     hidden_remainder_x
      - .offset:         68
        .size:           2
        .value_kind:     hidden_remainder_y
      - .offset:         70
        .size:           2
        .value_kind:     hidden_remainder_z
      - .offset:         88
        .size:           8
        .value_kind:     hidden_global_offset_x
      - .offset:         96
        .size:           8
        .value_kind:     hidden_global_offset_y
      - .offset:         104
        .size:           8
        .value_kind:     hidden_global_offset_z
      - .offset:         112
        .size:           2
        .value_kind:     hidden_grid_dims
    .group_segment_fixed_size: 0
    .kernarg_segment_align: 8
    .kernarg_segment_size: 304
    .language:       OpenCL C
    .language_version:
      - 2
      - 0
    .max_flat_workgroup_size: 1024
    .name:           _ZN5aiter23act_and_mul_bias_kernelIffifTnPFfRKT2_EXadL_ZNS_11silu_kernelIfEEfRKT_EELi1EEEvPT0_PS8_PKT1_PS2_il
    .private_segment_fixed_size: 0
    .sgpr_count:     36
    .sgpr_spill_count: 0
    .symbol:         _ZN5aiter23act_and_mul_bias_kernelIffifTnPFfRKT2_EXadL_ZNS_11silu_kernelIfEEfRKT_EELi1EEEvPT0_PS8_PKT1_PS2_il.kd
    .uniform_work_group_size: 1
    .uses_dynamic_stack: false
    .vgpr_count:     9
    .vgpr_spill_count: 0
    .wavefront_size: 64
  - .agpr_count:     0
    .args:
      - .actual_access:  write_only
        .address_space:  global
        .offset:         0
        .size:           8
        .value_kind:     global_buffer
      - .actual_access:  read_only
        .address_space:  global
        .offset:         8
        .size:           8
        .value_kind:     global_buffer
      - .actual_access:  read_only
        .address_space:  global
        .offset:         16
        .size:           8
        .value_kind:     global_buffer
      - .actual_access:  read_only
        .address_space:  global
        .offset:         24
        .size:           8
        .value_kind:     global_buffer
      - .offset:         32
        .size:           4
        .value_kind:     by_value
      - .offset:         40
        .size:           8
        .value_kind:     by_value
      - .offset:         48
        .size:           4
        .value_kind:     hidden_block_count_x
      - .offset:         52
        .size:           4
        .value_kind:     hidden_block_count_y
      - .offset:         56
        .size:           4
        .value_kind:     hidden_block_count_z
      - .offset:         60
        .size:           2
        .value_kind:     hidden_group_size_x
      - .offset:         62
        .size:           2
        .value_kind:     hidden_group_size_y
      - .offset:         64
        .size:           2
        .value_kind:     hidden_group_size_z
      - .offset:         66
        .size:           2
        .value_kind:     hidden_remainder_x
      - .offset:         68
        .size:           2
        .value_kind:     hidden_remainder_y
      - .offset:         70
        .size:           2
        .value_kind:     hidden_remainder_z
      - .offset:         88
        .size:           8
        .value_kind:     hidden_global_offset_x
      - .offset:         96
        .size:           8
        .value_kind:     hidden_global_offset_y
      - .offset:         104
        .size:           8
        .value_kind:     hidden_global_offset_z
      - .offset:         112
        .size:           2
        .value_kind:     hidden_grid_dims
    .group_segment_fixed_size: 0
    .kernarg_segment_align: 8
    .kernarg_segment_size: 304
    .language:       OpenCL C
    .language_version:
      - 2
      - 0
    .max_flat_workgroup_size: 1024
    .name:           _ZN5aiter23act_and_mul_bias_kernelIDF16_DF16_ifTnPFfRKT2_EXadL_ZNS_11silu_kernelIfEEfRKT_EELi32EEEvPT0_PS8_PKT1_PS2_il
    .private_segment_fixed_size: 0
    .sgpr_count:     47
    .sgpr_spill_count: 0
    .symbol:         _ZN5aiter23act_and_mul_bias_kernelIDF16_DF16_ifTnPFfRKT2_EXadL_ZNS_11silu_kernelIfEEfRKT_EELi32EEEvPT0_PS8_PKT1_PS2_il.kd
    .uniform_work_group_size: 1
    .uses_dynamic_stack: false
    .vgpr_count:     83
    .vgpr_spill_count: 0
    .wavefront_size: 64
  - .agpr_count:     0
    .args:
      - .actual_access:  write_only
        .address_space:  global
        .offset:         0
        .size:           8
        .value_kind:     global_buffer
      - .actual_access:  read_only
        .address_space:  global
        .offset:         8
        .size:           8
        .value_kind:     global_buffer
      - .actual_access:  read_only
        .address_space:  global
        .offset:         16
        .size:           8
        .value_kind:     global_buffer
      - .actual_access:  read_only
        .address_space:  global
        .offset:         24
        .size:           8
        .value_kind:     global_buffer
      - .offset:         32
        .size:           4
        .value_kind:     by_value
      - .offset:         40
        .size:           8
        .value_kind:     by_value
      - .offset:         48
        .size:           4
        .value_kind:     hidden_block_count_x
      - .offset:         52
        .size:           4
        .value_kind:     hidden_block_count_y
      - .offset:         56
        .size:           4
        .value_kind:     hidden_block_count_z
      - .offset:         60
        .size:           2
        .value_kind:     hidden_group_size_x
      - .offset:         62
        .size:           2
        .value_kind:     hidden_group_size_y
      - .offset:         64
        .size:           2
        .value_kind:     hidden_group_size_z
      - .offset:         66
        .size:           2
        .value_kind:     hidden_remainder_x
      - .offset:         68
        .size:           2
        .value_kind:     hidden_remainder_y
      - .offset:         70
        .size:           2
        .value_kind:     hidden_remainder_z
      - .offset:         88
        .size:           8
        .value_kind:     hidden_global_offset_x
      - .offset:         96
        .size:           8
        .value_kind:     hidden_global_offset_y
      - .offset:         104
        .size:           8
        .value_kind:     hidden_global_offset_z
      - .offset:         112
        .size:           2
        .value_kind:     hidden_grid_dims
    .group_segment_fixed_size: 0
    .kernarg_segment_align: 8
    .kernarg_segment_size: 304
    .language:       OpenCL C
    .language_version:
      - 2
      - 0
    .max_flat_workgroup_size: 1024
    .name:           _ZN5aiter23act_and_mul_bias_kernelIDF16_DF16_ifTnPFfRKT2_EXadL_ZNS_11silu_kernelIfEEfRKT_EELi16EEEvPT0_PS8_PKT1_PS2_il
    .private_segment_fixed_size: 0
    .sgpr_count:     37
    .sgpr_spill_count: 0
    .symbol:         _ZN5aiter23act_and_mul_bias_kernelIDF16_DF16_ifTnPFfRKT2_EXadL_ZNS_11silu_kernelIfEEfRKT_EELi16EEEvPT0_PS8_PKT1_PS2_il.kd
    .uniform_work_group_size: 1
    .uses_dynamic_stack: false
    .vgpr_count:     54
    .vgpr_spill_count: 0
    .wavefront_size: 64
  - .agpr_count:     0
    .args:
      - .actual_access:  write_only
        .address_space:  global
        .offset:         0
        .size:           8
        .value_kind:     global_buffer
      - .actual_access:  read_only
        .address_space:  global
        .offset:         8
        .size:           8
        .value_kind:     global_buffer
      - .actual_access:  read_only
        .address_space:  global
        .offset:         16
        .size:           8
        .value_kind:     global_buffer
      - .actual_access:  read_only
        .address_space:  global
        .offset:         24
        .size:           8
        .value_kind:     global_buffer
      - .offset:         32
        .size:           4
        .value_kind:     by_value
      - .offset:         40
        .size:           8
        .value_kind:     by_value
      - .offset:         48
        .size:           4
        .value_kind:     hidden_block_count_x
      - .offset:         52
        .size:           4
        .value_kind:     hidden_block_count_y
      - .offset:         56
        .size:           4
        .value_kind:     hidden_block_count_z
      - .offset:         60
        .size:           2
        .value_kind:     hidden_group_size_x
      - .offset:         62
        .size:           2
        .value_kind:     hidden_group_size_y
      - .offset:         64
        .size:           2
        .value_kind:     hidden_group_size_z
      - .offset:         66
        .size:           2
        .value_kind:     hidden_remainder_x
      - .offset:         68
        .size:           2
        .value_kind:     hidden_remainder_y
      - .offset:         70
        .size:           2
        .value_kind:     hidden_remainder_z
      - .offset:         88
        .size:           8
        .value_kind:     hidden_global_offset_x
      - .offset:         96
        .size:           8
        .value_kind:     hidden_global_offset_y
      - .offset:         104
        .size:           8
        .value_kind:     hidden_global_offset_z
      - .offset:         112
        .size:           2
        .value_kind:     hidden_grid_dims
    .group_segment_fixed_size: 0
    .kernarg_segment_align: 8
    .kernarg_segment_size: 304
    .language:       OpenCL C
    .language_version:
      - 2
      - 0
    .max_flat_workgroup_size: 1024
    .name:           _ZN5aiter23act_and_mul_bias_kernelIDF16_DF16_ifTnPFfRKT2_EXadL_ZNS_11silu_kernelIfEEfRKT_EELi8EEEvPT0_PS8_PKT1_PS2_il
    .private_segment_fixed_size: 0
    .sgpr_count:     52
    .sgpr_spill_count: 0
    .symbol:         _ZN5aiter23act_and_mul_bias_kernelIDF16_DF16_ifTnPFfRKT2_EXadL_ZNS_11silu_kernelIfEEfRKT_EELi8EEEvPT0_PS8_PKT1_PS2_il.kd
    .uniform_work_group_size: 1
    .uses_dynamic_stack: false
    .vgpr_count:     44
    .vgpr_spill_count: 0
    .wavefront_size: 64
  - .agpr_count:     0
    .args:
      - .actual_access:  write_only
        .address_space:  global
        .offset:         0
        .size:           8
        .value_kind:     global_buffer
      - .actual_access:  read_only
        .address_space:  global
        .offset:         8
        .size:           8
        .value_kind:     global_buffer
      - .actual_access:  read_only
        .address_space:  global
        .offset:         16
        .size:           8
        .value_kind:     global_buffer
      - .actual_access:  read_only
        .address_space:  global
        .offset:         24
        .size:           8
        .value_kind:     global_buffer
      - .offset:         32
        .size:           4
        .value_kind:     by_value
      - .offset:         40
        .size:           8
        .value_kind:     by_value
      - .offset:         48
        .size:           4
        .value_kind:     hidden_block_count_x
      - .offset:         52
        .size:           4
        .value_kind:     hidden_block_count_y
      - .offset:         56
        .size:           4
        .value_kind:     hidden_block_count_z
      - .offset:         60
        .size:           2
        .value_kind:     hidden_group_size_x
      - .offset:         62
        .size:           2
        .value_kind:     hidden_group_size_y
      - .offset:         64
        .size:           2
        .value_kind:     hidden_group_size_z
      - .offset:         66
        .size:           2
        .value_kind:     hidden_remainder_x
      - .offset:         68
        .size:           2
        .value_kind:     hidden_remainder_y
      - .offset:         70
        .size:           2
        .value_kind:     hidden_remainder_z
      - .offset:         88
        .size:           8
        .value_kind:     hidden_global_offset_x
      - .offset:         96
        .size:           8
        .value_kind:     hidden_global_offset_y
      - .offset:         104
        .size:           8
        .value_kind:     hidden_global_offset_z
      - .offset:         112
        .size:           2
        .value_kind:     hidden_grid_dims
    .group_segment_fixed_size: 0
    .kernarg_segment_align: 8
    .kernarg_segment_size: 304
    .language:       OpenCL C
    .language_version:
      - 2
      - 0
    .max_flat_workgroup_size: 1024
    .name:           _ZN5aiter23act_and_mul_bias_kernelIDF16_DF16_ifTnPFfRKT2_EXadL_ZNS_11silu_kernelIfEEfRKT_EELi4EEEvPT0_PS8_PKT1_PS2_il
    .private_segment_fixed_size: 0
    .sgpr_count:     44
    .sgpr_spill_count: 0
    .symbol:         _ZN5aiter23act_and_mul_bias_kernelIDF16_DF16_ifTnPFfRKT2_EXadL_ZNS_11silu_kernelIfEEfRKT_EELi4EEEvPT0_PS8_PKT1_PS2_il.kd
    .uniform_work_group_size: 1
    .uses_dynamic_stack: false
    .vgpr_count:     24
    .vgpr_spill_count: 0
    .wavefront_size: 64
  - .agpr_count:     0
    .args:
      - .actual_access:  write_only
        .address_space:  global
        .offset:         0
        .size:           8
        .value_kind:     global_buffer
      - .actual_access:  read_only
        .address_space:  global
        .offset:         8
        .size:           8
        .value_kind:     global_buffer
      - .actual_access:  read_only
        .address_space:  global
        .offset:         16
        .size:           8
        .value_kind:     global_buffer
      - .actual_access:  read_only
        .address_space:  global
        .offset:         24
        .size:           8
        .value_kind:     global_buffer
      - .offset:         32
        .size:           4
        .value_kind:     by_value
      - .offset:         40
        .size:           8
        .value_kind:     by_value
      - .offset:         48
        .size:           4
        .value_kind:     hidden_block_count_x
      - .offset:         52
        .size:           4
        .value_kind:     hidden_block_count_y
      - .offset:         56
        .size:           4
        .value_kind:     hidden_block_count_z
      - .offset:         60
        .size:           2
        .value_kind:     hidden_group_size_x
      - .offset:         62
        .size:           2
        .value_kind:     hidden_group_size_y
      - .offset:         64
        .size:           2
        .value_kind:     hidden_group_size_z
      - .offset:         66
        .size:           2
        .value_kind:     hidden_remainder_x
      - .offset:         68
        .size:           2
        .value_kind:     hidden_remainder_y
      - .offset:         70
        .size:           2
        .value_kind:     hidden_remainder_z
      - .offset:         88
        .size:           8
        .value_kind:     hidden_global_offset_x
      - .offset:         96
        .size:           8
        .value_kind:     hidden_global_offset_y
      - .offset:         104
        .size:           8
        .value_kind:     hidden_global_offset_z
      - .offset:         112
        .size:           2
        .value_kind:     hidden_grid_dims
    .group_segment_fixed_size: 0
    .kernarg_segment_align: 8
    .kernarg_segment_size: 304
    .language:       OpenCL C
    .language_version:
      - 2
      - 0
    .max_flat_workgroup_size: 1024
    .name:           _ZN5aiter23act_and_mul_bias_kernelIDF16_DF16_ifTnPFfRKT2_EXadL_ZNS_11silu_kernelIfEEfRKT_EELi2EEEvPT0_PS8_PKT1_PS2_il
    .private_segment_fixed_size: 0
    .sgpr_count:     40
    .sgpr_spill_count: 0
    .symbol:         _ZN5aiter23act_and_mul_bias_kernelIDF16_DF16_ifTnPFfRKT2_EXadL_ZNS_11silu_kernelIfEEfRKT_EELi2EEEvPT0_PS8_PKT1_PS2_il.kd
    .uniform_work_group_size: 1
    .uses_dynamic_stack: false
    .vgpr_count:     14
    .vgpr_spill_count: 0
    .wavefront_size: 64
  - .agpr_count:     0
    .args:
      - .actual_access:  write_only
        .address_space:  global
        .offset:         0
        .size:           8
        .value_kind:     global_buffer
      - .actual_access:  read_only
        .address_space:  global
        .offset:         8
        .size:           8
        .value_kind:     global_buffer
      - .actual_access:  read_only
        .address_space:  global
        .offset:         16
        .size:           8
        .value_kind:     global_buffer
      - .actual_access:  read_only
        .address_space:  global
        .offset:         24
        .size:           8
        .value_kind:     global_buffer
      - .offset:         32
        .size:           4
        .value_kind:     by_value
      - .offset:         40
        .size:           8
        .value_kind:     by_value
      - .offset:         48
        .size:           4
        .value_kind:     hidden_block_count_x
      - .offset:         52
        .size:           4
        .value_kind:     hidden_block_count_y
      - .offset:         56
        .size:           4
        .value_kind:     hidden_block_count_z
      - .offset:         60
        .size:           2
        .value_kind:     hidden_group_size_x
      - .offset:         62
        .size:           2
        .value_kind:     hidden_group_size_y
      - .offset:         64
        .size:           2
        .value_kind:     hidden_group_size_z
      - .offset:         66
        .size:           2
        .value_kind:     hidden_remainder_x
      - .offset:         68
        .size:           2
        .value_kind:     hidden_remainder_y
      - .offset:         70
        .size:           2
        .value_kind:     hidden_remainder_z
      - .offset:         88
        .size:           8
        .value_kind:     hidden_global_offset_x
      - .offset:         96
        .size:           8
        .value_kind:     hidden_global_offset_y
      - .offset:         104
        .size:           8
        .value_kind:     hidden_global_offset_z
      - .offset:         112
        .size:           2
        .value_kind:     hidden_grid_dims
    .group_segment_fixed_size: 0
    .kernarg_segment_align: 8
    .kernarg_segment_size: 304
    .language:       OpenCL C
    .language_version:
      - 2
      - 0
    .max_flat_workgroup_size: 1024
    .name:           _ZN5aiter23act_and_mul_bias_kernelIDF16_DF16_ifTnPFfRKT2_EXadL_ZNS_11silu_kernelIfEEfRKT_EELi1EEEvPT0_PS8_PKT1_PS2_il
    .private_segment_fixed_size: 0
    .sgpr_count:     37
    .sgpr_spill_count: 0
    .symbol:         _ZN5aiter23act_and_mul_bias_kernelIDF16_DF16_ifTnPFfRKT2_EXadL_ZNS_11silu_kernelIfEEfRKT_EELi1EEEvPT0_PS8_PKT1_PS2_il.kd
    .uniform_work_group_size: 1
    .uses_dynamic_stack: false
    .vgpr_count:     10
    .vgpr_spill_count: 0
    .wavefront_size: 64
  - .agpr_count:     0
    .args:
      - .actual_access:  write_only
        .address_space:  global
        .offset:         0
        .size:           8
        .value_kind:     global_buffer
      - .actual_access:  read_only
        .address_space:  global
        .offset:         8
        .size:           8
        .value_kind:     global_buffer
      - .actual_access:  read_only
        .address_space:  global
        .offset:         16
        .size:           8
        .value_kind:     global_buffer
      - .actual_access:  read_only
        .address_space:  global
        .offset:         24
        .size:           8
        .value_kind:     global_buffer
      - .offset:         32
        .size:           4
        .value_kind:     by_value
      - .offset:         40
        .size:           8
        .value_kind:     by_value
      - .offset:         48
        .size:           4
        .value_kind:     hidden_block_count_x
      - .offset:         52
        .size:           4
        .value_kind:     hidden_block_count_y
      - .offset:         56
        .size:           4
        .value_kind:     hidden_block_count_z
      - .offset:         60
        .size:           2
        .value_kind:     hidden_group_size_x
      - .offset:         62
        .size:           2
        .value_kind:     hidden_group_size_y
      - .offset:         64
        .size:           2
        .value_kind:     hidden_group_size_z
      - .offset:         66
        .size:           2
        .value_kind:     hidden_remainder_x
      - .offset:         68
        .size:           2
        .value_kind:     hidden_remainder_y
      - .offset:         70
        .size:           2
        .value_kind:     hidden_remainder_z
      - .offset:         88
        .size:           8
        .value_kind:     hidden_global_offset_x
      - .offset:         96
        .size:           8
        .value_kind:     hidden_global_offset_y
      - .offset:         104
        .size:           8
        .value_kind:     hidden_global_offset_z
      - .offset:         112
        .size:           2
        .value_kind:     hidden_grid_dims
    .group_segment_fixed_size: 0
    .kernarg_segment_align: 8
    .kernarg_segment_size: 304
    .language:       OpenCL C
    .language_version:
      - 2
      - 0
    .max_flat_workgroup_size: 1024
    .name:           _ZN5aiter23act_and_mul_bias_kernelIttifTnPFfRKT2_EXadL_ZNS_11silu_kernelIfEEfRKT_EELi32EEEvPT0_PS8_PKT1_PS2_il
    .private_segment_fixed_size: 0
    .sgpr_count:     48
    .sgpr_spill_count: 0
    .symbol:         _ZN5aiter23act_and_mul_bias_kernelIttifTnPFfRKT2_EXadL_ZNS_11silu_kernelIfEEfRKT_EELi32EEEvPT0_PS8_PKT1_PS2_il.kd
    .uniform_work_group_size: 1
    .uses_dynamic_stack: false
    .vgpr_count:     83
    .vgpr_spill_count: 0
    .wavefront_size: 64
  - .agpr_count:     0
    .args:
      - .actual_access:  write_only
        .address_space:  global
        .offset:         0
        .size:           8
        .value_kind:     global_buffer
      - .actual_access:  read_only
        .address_space:  global
        .offset:         8
        .size:           8
        .value_kind:     global_buffer
      - .actual_access:  read_only
        .address_space:  global
        .offset:         16
        .size:           8
        .value_kind:     global_buffer
      - .actual_access:  read_only
        .address_space:  global
        .offset:         24
        .size:           8
        .value_kind:     global_buffer
      - .offset:         32
        .size:           4
        .value_kind:     by_value
      - .offset:         40
        .size:           8
        .value_kind:     by_value
      - .offset:         48
        .size:           4
        .value_kind:     hidden_block_count_x
      - .offset:         52
        .size:           4
        .value_kind:     hidden_block_count_y
      - .offset:         56
        .size:           4
        .value_kind:     hidden_block_count_z
      - .offset:         60
        .size:           2
        .value_kind:     hidden_group_size_x
      - .offset:         62
        .size:           2
        .value_kind:     hidden_group_size_y
      - .offset:         64
        .size:           2
        .value_kind:     hidden_group_size_z
      - .offset:         66
        .size:           2
        .value_kind:     hidden_remainder_x
      - .offset:         68
        .size:           2
        .value_kind:     hidden_remainder_y
      - .offset:         70
        .size:           2
        .value_kind:     hidden_remainder_z
      - .offset:         88
        .size:           8
        .value_kind:     hidden_global_offset_x
      - .offset:         96
        .size:           8
        .value_kind:     hidden_global_offset_y
      - .offset:         104
        .size:           8
        .value_kind:     hidden_global_offset_z
      - .offset:         112
        .size:           2
        .value_kind:     hidden_grid_dims
    .group_segment_fixed_size: 0
    .kernarg_segment_align: 8
    .kernarg_segment_size: 304
    .language:       OpenCL C
    .language_version:
      - 2
      - 0
    .max_flat_workgroup_size: 1024
    .name:           _ZN5aiter23act_and_mul_bias_kernelIttifTnPFfRKT2_EXadL_ZNS_11silu_kernelIfEEfRKT_EELi16EEEvPT0_PS8_PKT1_PS2_il
    .private_segment_fixed_size: 0
    .sgpr_count:     38
    .sgpr_spill_count: 0
    .symbol:         _ZN5aiter23act_and_mul_bias_kernelIttifTnPFfRKT2_EXadL_ZNS_11silu_kernelIfEEfRKT_EELi16EEEvPT0_PS8_PKT1_PS2_il.kd
    .uniform_work_group_size: 1
    .uses_dynamic_stack: false
    .vgpr_count:     54
    .vgpr_spill_count: 0
    .wavefront_size: 64
  - .agpr_count:     0
    .args:
      - .actual_access:  write_only
        .address_space:  global
        .offset:         0
        .size:           8
        .value_kind:     global_buffer
      - .actual_access:  read_only
        .address_space:  global
        .offset:         8
        .size:           8
        .value_kind:     global_buffer
      - .actual_access:  read_only
        .address_space:  global
        .offset:         16
        .size:           8
        .value_kind:     global_buffer
      - .actual_access:  read_only
        .address_space:  global
        .offset:         24
        .size:           8
        .value_kind:     global_buffer
      - .offset:         32
        .size:           4
        .value_kind:     by_value
      - .offset:         40
        .size:           8
        .value_kind:     by_value
      - .offset:         48
        .size:           4
        .value_kind:     hidden_block_count_x
      - .offset:         52
        .size:           4
        .value_kind:     hidden_block_count_y
      - .offset:         56
        .size:           4
        .value_kind:     hidden_block_count_z
      - .offset:         60
        .size:           2
        .value_kind:     hidden_group_size_x
      - .offset:         62
        .size:           2
        .value_kind:     hidden_group_size_y
      - .offset:         64
        .size:           2
        .value_kind:     hidden_group_size_z
      - .offset:         66
        .size:           2
        .value_kind:     hidden_remainder_x
      - .offset:         68
        .size:           2
        .value_kind:     hidden_remainder_y
      - .offset:         70
        .size:           2
        .value_kind:     hidden_remainder_z
      - .offset:         88
        .size:           8
        .value_kind:     hidden_global_offset_x
      - .offset:         96
        .size:           8
        .value_kind:     hidden_global_offset_y
      - .offset:         104
        .size:           8
        .value_kind:     hidden_global_offset_z
      - .offset:         112
        .size:           2
        .value_kind:     hidden_grid_dims
    .group_segment_fixed_size: 0
    .kernarg_segment_align: 8
    .kernarg_segment_size: 304
    .language:       OpenCL C
    .language_version:
      - 2
      - 0
    .max_flat_workgroup_size: 1024
    .name:           _ZN5aiter23act_and_mul_bias_kernelIttifTnPFfRKT2_EXadL_ZNS_11silu_kernelIfEEfRKT_EELi8EEEvPT0_PS8_PKT1_PS2_il
    .private_segment_fixed_size: 0
    .sgpr_count:     53
    .sgpr_spill_count: 0
    .symbol:         _ZN5aiter23act_and_mul_bias_kernelIttifTnPFfRKT2_EXadL_ZNS_11silu_kernelIfEEfRKT_EELi8EEEvPT0_PS8_PKT1_PS2_il.kd
    .uniform_work_group_size: 1
    .uses_dynamic_stack: false
    .vgpr_count:     44
    .vgpr_spill_count: 0
    .wavefront_size: 64
  - .agpr_count:     0
    .args:
      - .actual_access:  write_only
        .address_space:  global
        .offset:         0
        .size:           8
        .value_kind:     global_buffer
      - .actual_access:  read_only
        .address_space:  global
        .offset:         8
        .size:           8
        .value_kind:     global_buffer
      - .actual_access:  read_only
        .address_space:  global
        .offset:         16
        .size:           8
        .value_kind:     global_buffer
      - .actual_access:  read_only
        .address_space:  global
        .offset:         24
        .size:           8
        .value_kind:     global_buffer
      - .offset:         32
        .size:           4
        .value_kind:     by_value
      - .offset:         40
        .size:           8
        .value_kind:     by_value
      - .offset:         48
        .size:           4
        .value_kind:     hidden_block_count_x
      - .offset:         52
        .size:           4
        .value_kind:     hidden_block_count_y
      - .offset:         56
        .size:           4
        .value_kind:     hidden_block_count_z
      - .offset:         60
        .size:           2
        .value_kind:     hidden_group_size_x
      - .offset:         62
        .size:           2
        .value_kind:     hidden_group_size_y
      - .offset:         64
        .size:           2
        .value_kind:     hidden_group_size_z
      - .offset:         66
        .size:           2
        .value_kind:     hidden_remainder_x
      - .offset:         68
        .size:           2
        .value_kind:     hidden_remainder_y
      - .offset:         70
        .size:           2
        .value_kind:     hidden_remainder_z
      - .offset:         88
        .size:           8
        .value_kind:     hidden_global_offset_x
      - .offset:         96
        .size:           8
        .value_kind:     hidden_global_offset_y
      - .offset:         104
        .size:           8
        .value_kind:     hidden_global_offset_z
      - .offset:         112
        .size:           2
        .value_kind:     hidden_grid_dims
    .group_segment_fixed_size: 0
    .kernarg_segment_align: 8
    .kernarg_segment_size: 304
    .language:       OpenCL C
    .language_version:
      - 2
      - 0
    .max_flat_workgroup_size: 1024
    .name:           _ZN5aiter23act_and_mul_bias_kernelIttifTnPFfRKT2_EXadL_ZNS_11silu_kernelIfEEfRKT_EELi4EEEvPT0_PS8_PKT1_PS2_il
    .private_segment_fixed_size: 0
    .sgpr_count:     45
    .sgpr_spill_count: 0
    .symbol:         _ZN5aiter23act_and_mul_bias_kernelIttifTnPFfRKT2_EXadL_ZNS_11silu_kernelIfEEfRKT_EELi4EEEvPT0_PS8_PKT1_PS2_il.kd
    .uniform_work_group_size: 1
    .uses_dynamic_stack: false
    .vgpr_count:     24
    .vgpr_spill_count: 0
    .wavefront_size: 64
  - .agpr_count:     0
    .args:
      - .actual_access:  write_only
        .address_space:  global
        .offset:         0
        .size:           8
        .value_kind:     global_buffer
      - .actual_access:  read_only
        .address_space:  global
        .offset:         8
        .size:           8
        .value_kind:     global_buffer
      - .actual_access:  read_only
        .address_space:  global
        .offset:         16
        .size:           8
        .value_kind:     global_buffer
      - .actual_access:  read_only
        .address_space:  global
        .offset:         24
        .size:           8
        .value_kind:     global_buffer
      - .offset:         32
        .size:           4
        .value_kind:     by_value
      - .offset:         40
        .size:           8
        .value_kind:     by_value
      - .offset:         48
        .size:           4
        .value_kind:     hidden_block_count_x
      - .offset:         52
        .size:           4
        .value_kind:     hidden_block_count_y
      - .offset:         56
        .size:           4
        .value_kind:     hidden_block_count_z
      - .offset:         60
        .size:           2
        .value_kind:     hidden_group_size_x
      - .offset:         62
        .size:           2
        .value_kind:     hidden_group_size_y
      - .offset:         64
        .size:           2
        .value_kind:     hidden_group_size_z
      - .offset:         66
        .size:           2
        .value_kind:     hidden_remainder_x
      - .offset:         68
        .size:           2
        .value_kind:     hidden_remainder_y
      - .offset:         70
        .size:           2
        .value_kind:     hidden_remainder_z
      - .offset:         88
        .size:           8
        .value_kind:     hidden_global_offset_x
      - .offset:         96
        .size:           8
        .value_kind:     hidden_global_offset_y
      - .offset:         104
        .size:           8
        .value_kind:     hidden_global_offset_z
      - .offset:         112
        .size:           2
        .value_kind:     hidden_grid_dims
    .group_segment_fixed_size: 0
    .kernarg_segment_align: 8
    .kernarg_segment_size: 304
    .language:       OpenCL C
    .language_version:
      - 2
      - 0
    .max_flat_workgroup_size: 1024
    .name:           _ZN5aiter23act_and_mul_bias_kernelIttifTnPFfRKT2_EXadL_ZNS_11silu_kernelIfEEfRKT_EELi2EEEvPT0_PS8_PKT1_PS2_il
    .private_segment_fixed_size: 0
    .sgpr_count:     41
    .sgpr_spill_count: 0
    .symbol:         _ZN5aiter23act_and_mul_bias_kernelIttifTnPFfRKT2_EXadL_ZNS_11silu_kernelIfEEfRKT_EELi2EEEvPT0_PS8_PKT1_PS2_il.kd
    .uniform_work_group_size: 1
    .uses_dynamic_stack: false
    .vgpr_count:     16
    .vgpr_spill_count: 0
    .wavefront_size: 64
  - .agpr_count:     0
    .args:
      - .actual_access:  write_only
        .address_space:  global
        .offset:         0
        .size:           8
        .value_kind:     global_buffer
      - .actual_access:  read_only
        .address_space:  global
        .offset:         8
        .size:           8
        .value_kind:     global_buffer
      - .actual_access:  read_only
        .address_space:  global
        .offset:         16
        .size:           8
        .value_kind:     global_buffer
      - .actual_access:  read_only
        .address_space:  global
        .offset:         24
        .size:           8
        .value_kind:     global_buffer
      - .offset:         32
        .size:           4
        .value_kind:     by_value
      - .offset:         40
        .size:           8
        .value_kind:     by_value
      - .offset:         48
        .size:           4
        .value_kind:     hidden_block_count_x
      - .offset:         52
        .size:           4
        .value_kind:     hidden_block_count_y
      - .offset:         56
        .size:           4
        .value_kind:     hidden_block_count_z
      - .offset:         60
        .size:           2
        .value_kind:     hidden_group_size_x
      - .offset:         62
        .size:           2
        .value_kind:     hidden_group_size_y
      - .offset:         64
        .size:           2
        .value_kind:     hidden_group_size_z
      - .offset:         66
        .size:           2
        .value_kind:     hidden_remainder_x
      - .offset:         68
        .size:           2
        .value_kind:     hidden_remainder_y
      - .offset:         70
        .size:           2
        .value_kind:     hidden_remainder_z
      - .offset:         88
        .size:           8
        .value_kind:     hidden_global_offset_x
      - .offset:         96
        .size:           8
        .value_kind:     hidden_global_offset_y
      - .offset:         104
        .size:           8
        .value_kind:     hidden_global_offset_z
      - .offset:         112
        .size:           2
        .value_kind:     hidden_grid_dims
    .group_segment_fixed_size: 0
    .kernarg_segment_align: 8
    .kernarg_segment_size: 304
    .language:       OpenCL C
    .language_version:
      - 2
      - 0
    .max_flat_workgroup_size: 1024
    .name:           _ZN5aiter23act_and_mul_bias_kernelIttifTnPFfRKT2_EXadL_ZNS_11silu_kernelIfEEfRKT_EELi1EEEvPT0_PS8_PKT1_PS2_il
    .private_segment_fixed_size: 0
    .sgpr_count:     37
    .sgpr_spill_count: 0
    .symbol:         _ZN5aiter23act_and_mul_bias_kernelIttifTnPFfRKT2_EXadL_ZNS_11silu_kernelIfEEfRKT_EELi1EEEvPT0_PS8_PKT1_PS2_il.kd
    .uniform_work_group_size: 1
    .uses_dynamic_stack: false
    .vgpr_count:     10
    .vgpr_spill_count: 0
    .wavefront_size: 64
  - .agpr_count:     0
    .args:
      - .actual_access:  write_only
        .address_space:  global
        .offset:         0
        .size:           8
        .value_kind:     global_buffer
      - .actual_access:  read_only
        .address_space:  global
        .offset:         8
        .size:           8
        .value_kind:     global_buffer
      - .actual_access:  read_only
        .address_space:  global
        .offset:         16
        .size:           8
        .value_kind:     global_buffer
      - .actual_access:  read_only
        .address_space:  global
        .offset:         24
        .size:           8
        .value_kind:     global_buffer
      - .offset:         32
        .size:           4
        .value_kind:     by_value
      - .offset:         40
        .size:           8
        .value_kind:     by_value
      - .offset:         48
        .size:           4
        .value_kind:     hidden_block_count_x
      - .offset:         52
        .size:           4
        .value_kind:     hidden_block_count_y
      - .offset:         56
        .size:           4
        .value_kind:     hidden_block_count_z
      - .offset:         60
        .size:           2
        .value_kind:     hidden_group_size_x
      - .offset:         62
        .size:           2
        .value_kind:     hidden_group_size_y
      - .offset:         64
        .size:           2
        .value_kind:     hidden_group_size_z
      - .offset:         66
        .size:           2
        .value_kind:     hidden_remainder_x
      - .offset:         68
        .size:           2
        .value_kind:     hidden_remainder_y
      - .offset:         70
        .size:           2
        .value_kind:     hidden_remainder_z
      - .offset:         88
        .size:           8
        .value_kind:     hidden_global_offset_x
      - .offset:         96
        .size:           8
        .value_kind:     hidden_global_offset_y
      - .offset:         104
        .size:           8
        .value_kind:     hidden_global_offset_z
      - .offset:         112
        .size:           2
        .value_kind:     hidden_grid_dims
    .group_segment_fixed_size: 0
    .kernarg_segment_align: 8
    .kernarg_segment_size: 304
    .language:       OpenCL C
    .language_version:
      - 2
      - 0
    .max_flat_workgroup_size: 1024
    .name:           _ZN5aiter23act_and_mul_bias_kernelIftlfTnPFfRKT2_EXadL_ZNS_11silu_kernelIfEEfRKT_EELi16EEEvPT0_PS8_PKT1_PS2_il
    .private_segment_fixed_size: 0
    .sgpr_count:     69
    .sgpr_spill_count: 0
    .symbol:         _ZN5aiter23act_and_mul_bias_kernelIftlfTnPFfRKT2_EXadL_ZNS_11silu_kernelIfEEfRKT_EELi16EEEvPT0_PS8_PKT1_PS2_il.kd
    .uniform_work_group_size: 1
    .uses_dynamic_stack: false
    .vgpr_count:     68
    .vgpr_spill_count: 0
    .wavefront_size: 64
  - .agpr_count:     0
    .args:
      - .actual_access:  write_only
        .address_space:  global
        .offset:         0
        .size:           8
        .value_kind:     global_buffer
      - .actual_access:  read_only
        .address_space:  global
        .offset:         8
        .size:           8
        .value_kind:     global_buffer
      - .actual_access:  read_only
        .address_space:  global
        .offset:         16
        .size:           8
        .value_kind:     global_buffer
      - .actual_access:  read_only
        .address_space:  global
        .offset:         24
        .size:           8
        .value_kind:     global_buffer
      - .offset:         32
        .size:           4
        .value_kind:     by_value
      - .offset:         40
        .size:           8
        .value_kind:     by_value
      - .offset:         48
        .size:           4
        .value_kind:     hidden_block_count_x
      - .offset:         52
        .size:           4
        .value_kind:     hidden_block_count_y
      - .offset:         56
        .size:           4
        .value_kind:     hidden_block_count_z
      - .offset:         60
        .size:           2
        .value_kind:     hidden_group_size_x
      - .offset:         62
        .size:           2
        .value_kind:     hidden_group_size_y
      - .offset:         64
        .size:           2
        .value_kind:     hidden_group_size_z
      - .offset:         66
        .size:           2
        .value_kind:     hidden_remainder_x
      - .offset:         68
        .size:           2
        .value_kind:     hidden_remainder_y
      - .offset:         70
        .size:           2
        .value_kind:     hidden_remainder_z
      - .offset:         88
        .size:           8
        .value_kind:     hidden_global_offset_x
      - .offset:         96
        .size:           8
        .value_kind:     hidden_global_offset_y
      - .offset:         104
        .size:           8
        .value_kind:     hidden_global_offset_z
      - .offset:         112
        .size:           2
        .value_kind:     hidden_grid_dims
    .group_segment_fixed_size: 0
    .kernarg_segment_align: 8
    .kernarg_segment_size: 304
    .language:       OpenCL C
    .language_version:
      - 2
      - 0
    .max_flat_workgroup_size: 1024
    .name:           _ZN5aiter23act_and_mul_bias_kernelIftlfTnPFfRKT2_EXadL_ZNS_11silu_kernelIfEEfRKT_EELi8EEEvPT0_PS8_PKT1_PS2_il
    .private_segment_fixed_size: 0
    .sgpr_count:     53
    .sgpr_spill_count: 0
    .symbol:         _ZN5aiter23act_and_mul_bias_kernelIftlfTnPFfRKT2_EXadL_ZNS_11silu_kernelIfEEfRKT_EELi8EEEvPT0_PS8_PKT1_PS2_il.kd
    .uniform_work_group_size: 1
    .uses_dynamic_stack: false
    .vgpr_count:     44
    .vgpr_spill_count: 0
    .wavefront_size: 64
  - .agpr_count:     0
    .args:
      - .actual_access:  write_only
        .address_space:  global
        .offset:         0
        .size:           8
        .value_kind:     global_buffer
      - .actual_access:  read_only
        .address_space:  global
        .offset:         8
        .size:           8
        .value_kind:     global_buffer
      - .actual_access:  read_only
        .address_space:  global
        .offset:         16
        .size:           8
        .value_kind:     global_buffer
      - .actual_access:  read_only
        .address_space:  global
        .offset:         24
        .size:           8
        .value_kind:     global_buffer
      - .offset:         32
        .size:           4
        .value_kind:     by_value
      - .offset:         40
        .size:           8
        .value_kind:     by_value
      - .offset:         48
        .size:           4
        .value_kind:     hidden_block_count_x
      - .offset:         52
        .size:           4
        .value_kind:     hidden_block_count_y
      - .offset:         56
        .size:           4
        .value_kind:     hidden_block_count_z
      - .offset:         60
        .size:           2
        .value_kind:     hidden_group_size_x
      - .offset:         62
        .size:           2
        .value_kind:     hidden_group_size_y
      - .offset:         64
        .size:           2
        .value_kind:     hidden_group_size_z
      - .offset:         66
        .size:           2
        .value_kind:     hidden_remainder_x
      - .offset:         68
        .size:           2
        .value_kind:     hidden_remainder_y
      - .offset:         70
        .size:           2
        .value_kind:     hidden_remainder_z
      - .offset:         88
        .size:           8
        .value_kind:     hidden_global_offset_x
      - .offset:         96
        .size:           8
        .value_kind:     hidden_global_offset_y
      - .offset:         104
        .size:           8
        .value_kind:     hidden_global_offset_z
      - .offset:         112
        .size:           2
        .value_kind:     hidden_grid_dims
    .group_segment_fixed_size: 0
    .kernarg_segment_align: 8
    .kernarg_segment_size: 304
    .language:       OpenCL C
    .language_version:
      - 2
      - 0
    .max_flat_workgroup_size: 1024
    .name:           _ZN5aiter23act_and_mul_bias_kernelIftlfTnPFfRKT2_EXadL_ZNS_11silu_kernelIfEEfRKT_EELi4EEEvPT0_PS8_PKT1_PS2_il
    .private_segment_fixed_size: 0
    .sgpr_count:     45
    .sgpr_spill_count: 0
    .symbol:         _ZN5aiter23act_and_mul_bias_kernelIftlfTnPFfRKT2_EXadL_ZNS_11silu_kernelIfEEfRKT_EELi4EEEvPT0_PS8_PKT1_PS2_il.kd
    .uniform_work_group_size: 1
    .uses_dynamic_stack: false
    .vgpr_count:     23
    .vgpr_spill_count: 0
    .wavefront_size: 64
  - .agpr_count:     0
    .args:
      - .actual_access:  write_only
        .address_space:  global
        .offset:         0
        .size:           8
        .value_kind:     global_buffer
      - .actual_access:  read_only
        .address_space:  global
        .offset:         8
        .size:           8
        .value_kind:     global_buffer
      - .actual_access:  read_only
        .address_space:  global
        .offset:         16
        .size:           8
        .value_kind:     global_buffer
      - .actual_access:  read_only
        .address_space:  global
        .offset:         24
        .size:           8
        .value_kind:     global_buffer
      - .offset:         32
        .size:           4
        .value_kind:     by_value
      - .offset:         40
        .size:           8
        .value_kind:     by_value
      - .offset:         48
        .size:           4
        .value_kind:     hidden_block_count_x
      - .offset:         52
        .size:           4
        .value_kind:     hidden_block_count_y
      - .offset:         56
        .size:           4
        .value_kind:     hidden_block_count_z
      - .offset:         60
        .size:           2
        .value_kind:     hidden_group_size_x
      - .offset:         62
        .size:           2
        .value_kind:     hidden_group_size_y
      - .offset:         64
        .size:           2
        .value_kind:     hidden_group_size_z
      - .offset:         66
        .size:           2
        .value_kind:     hidden_remainder_x
      - .offset:         68
        .size:           2
        .value_kind:     hidden_remainder_y
      - .offset:         70
        .size:           2
        .value_kind:     hidden_remainder_z
      - .offset:         88
        .size:           8
        .value_kind:     hidden_global_offset_x
      - .offset:         96
        .size:           8
        .value_kind:     hidden_global_offset_y
      - .offset:         104
        .size:           8
        .value_kind:     hidden_global_offset_z
      - .offset:         112
        .size:           2
        .value_kind:     hidden_grid_dims
    .group_segment_fixed_size: 0
    .kernarg_segment_align: 8
    .kernarg_segment_size: 304
    .language:       OpenCL C
    .language_version:
      - 2
      - 0
    .max_flat_workgroup_size: 1024
    .name:           _ZN5aiter23act_and_mul_bias_kernelIftlfTnPFfRKT2_EXadL_ZNS_11silu_kernelIfEEfRKT_EELi2EEEvPT0_PS8_PKT1_PS2_il
    .private_segment_fixed_size: 0
    .sgpr_count:     41
    .sgpr_spill_count: 0
    .symbol:         _ZN5aiter23act_and_mul_bias_kernelIftlfTnPFfRKT2_EXadL_ZNS_11silu_kernelIfEEfRKT_EELi2EEEvPT0_PS8_PKT1_PS2_il.kd
    .uniform_work_group_size: 1
    .uses_dynamic_stack: false
    .vgpr_count:     15
    .vgpr_spill_count: 0
    .wavefront_size: 64
  - .agpr_count:     0
    .args:
      - .actual_access:  write_only
        .address_space:  global
        .offset:         0
        .size:           8
        .value_kind:     global_buffer
      - .actual_access:  read_only
        .address_space:  global
        .offset:         8
        .size:           8
        .value_kind:     global_buffer
      - .actual_access:  read_only
        .address_space:  global
        .offset:         16
        .size:           8
        .value_kind:     global_buffer
      - .actual_access:  read_only
        .address_space:  global
        .offset:         24
        .size:           8
        .value_kind:     global_buffer
      - .offset:         32
        .size:           4
        .value_kind:     by_value
      - .offset:         40
        .size:           8
        .value_kind:     by_value
      - .offset:         48
        .size:           4
        .value_kind:     hidden_block_count_x
      - .offset:         52
        .size:           4
        .value_kind:     hidden_block_count_y
      - .offset:         56
        .size:           4
        .value_kind:     hidden_block_count_z
      - .offset:         60
        .size:           2
        .value_kind:     hidden_group_size_x
      - .offset:         62
        .size:           2
        .value_kind:     hidden_group_size_y
      - .offset:         64
        .size:           2
        .value_kind:     hidden_group_size_z
      - .offset:         66
        .size:           2
        .value_kind:     hidden_remainder_x
      - .offset:         68
        .size:           2
        .value_kind:     hidden_remainder_y
      - .offset:         70
        .size:           2
        .value_kind:     hidden_remainder_z
      - .offset:         88
        .size:           8
        .value_kind:     hidden_global_offset_x
      - .offset:         96
        .size:           8
        .value_kind:     hidden_global_offset_y
      - .offset:         104
        .size:           8
        .value_kind:     hidden_global_offset_z
      - .offset:         112
        .size:           2
        .value_kind:     hidden_grid_dims
    .group_segment_fixed_size: 0
    .kernarg_segment_align: 8
    .kernarg_segment_size: 304
    .language:       OpenCL C
    .language_version:
      - 2
      - 0
    .max_flat_workgroup_size: 1024
    .name:           _ZN5aiter23act_and_mul_bias_kernelIftlfTnPFfRKT2_EXadL_ZNS_11silu_kernelIfEEfRKT_EELi1EEEvPT0_PS8_PKT1_PS2_il
    .private_segment_fixed_size: 0
    .sgpr_count:     37
    .sgpr_spill_count: 0
    .symbol:         _ZN5aiter23act_and_mul_bias_kernelIftlfTnPFfRKT2_EXadL_ZNS_11silu_kernelIfEEfRKT_EELi1EEEvPT0_PS8_PKT1_PS2_il.kd
    .uniform_work_group_size: 1
    .uses_dynamic_stack: false
    .vgpr_count:     10
    .vgpr_spill_count: 0
    .wavefront_size: 64
  - .agpr_count:     0
    .args:
      - .actual_access:  write_only
        .address_space:  global
        .offset:         0
        .size:           8
        .value_kind:     global_buffer
      - .actual_access:  read_only
        .address_space:  global
        .offset:         8
        .size:           8
        .value_kind:     global_buffer
      - .actual_access:  read_only
        .address_space:  global
        .offset:         16
        .size:           8
        .value_kind:     global_buffer
      - .actual_access:  read_only
        .address_space:  global
        .offset:         24
        .size:           8
        .value_kind:     global_buffer
      - .offset:         32
        .size:           4
        .value_kind:     by_value
      - .offset:         40
        .size:           8
        .value_kind:     by_value
      - .offset:         48
        .size:           4
        .value_kind:     hidden_block_count_x
      - .offset:         52
        .size:           4
        .value_kind:     hidden_block_count_y
      - .offset:         56
        .size:           4
        .value_kind:     hidden_block_count_z
      - .offset:         60
        .size:           2
        .value_kind:     hidden_group_size_x
      - .offset:         62
        .size:           2
        .value_kind:     hidden_group_size_y
      - .offset:         64
        .size:           2
        .value_kind:     hidden_group_size_z
      - .offset:         66
        .size:           2
        .value_kind:     hidden_remainder_x
      - .offset:         68
        .size:           2
        .value_kind:     hidden_remainder_y
      - .offset:         70
        .size:           2
        .value_kind:     hidden_remainder_z
      - .offset:         88
        .size:           8
        .value_kind:     hidden_global_offset_x
      - .offset:         96
        .size:           8
        .value_kind:     hidden_global_offset_y
      - .offset:         104
        .size:           8
        .value_kind:     hidden_global_offset_z
      - .offset:         112
        .size:           2
        .value_kind:     hidden_grid_dims
    .group_segment_fixed_size: 0
    .kernarg_segment_align: 8
    .kernarg_segment_size: 304
    .language:       OpenCL C
    .language_version:
      - 2
      - 0
    .max_flat_workgroup_size: 1024
    .name:           _ZN5aiter23act_and_mul_bias_kernelIfDF16_lfTnPFfRKT2_EXadL_ZNS_11silu_kernelIfEEfRKT_EELi16EEEvPT0_PS8_PKT1_PS2_il
    .private_segment_fixed_size: 0
    .sgpr_count:     68
    .sgpr_spill_count: 0
    .symbol:         _ZN5aiter23act_and_mul_bias_kernelIfDF16_lfTnPFfRKT2_EXadL_ZNS_11silu_kernelIfEEfRKT_EELi16EEEvPT0_PS8_PKT1_PS2_il.kd
    .uniform_work_group_size: 1
    .uses_dynamic_stack: false
    .vgpr_count:     69
    .vgpr_spill_count: 0
    .wavefront_size: 64
  - .agpr_count:     0
    .args:
      - .actual_access:  write_only
        .address_space:  global
        .offset:         0
        .size:           8
        .value_kind:     global_buffer
      - .actual_access:  read_only
        .address_space:  global
        .offset:         8
        .size:           8
        .value_kind:     global_buffer
      - .actual_access:  read_only
        .address_space:  global
        .offset:         16
        .size:           8
        .value_kind:     global_buffer
      - .actual_access:  read_only
        .address_space:  global
        .offset:         24
        .size:           8
        .value_kind:     global_buffer
      - .offset:         32
        .size:           4
        .value_kind:     by_value
      - .offset:         40
        .size:           8
        .value_kind:     by_value
      - .offset:         48
        .size:           4
        .value_kind:     hidden_block_count_x
      - .offset:         52
        .size:           4
        .value_kind:     hidden_block_count_y
      - .offset:         56
        .size:           4
        .value_kind:     hidden_block_count_z
      - .offset:         60
        .size:           2
        .value_kind:     hidden_group_size_x
      - .offset:         62
        .size:           2
        .value_kind:     hidden_group_size_y
      - .offset:         64
        .size:           2
        .value_kind:     hidden_group_size_z
      - .offset:         66
        .size:           2
        .value_kind:     hidden_remainder_x
      - .offset:         68
        .size:           2
        .value_kind:     hidden_remainder_y
      - .offset:         70
        .size:           2
        .value_kind:     hidden_remainder_z
      - .offset:         88
        .size:           8
        .value_kind:     hidden_global_offset_x
      - .offset:         96
        .size:           8
        .value_kind:     hidden_global_offset_y
      - .offset:         104
        .size:           8
        .value_kind:     hidden_global_offset_z
      - .offset:         112
        .size:           2
        .value_kind:     hidden_grid_dims
    .group_segment_fixed_size: 0
    .kernarg_segment_align: 8
    .kernarg_segment_size: 304
    .language:       OpenCL C
    .language_version:
      - 2
      - 0
    .max_flat_workgroup_size: 1024
    .name:           _ZN5aiter23act_and_mul_bias_kernelIfDF16_lfTnPFfRKT2_EXadL_ZNS_11silu_kernelIfEEfRKT_EELi8EEEvPT0_PS8_PKT1_PS2_il
    .private_segment_fixed_size: 0
    .sgpr_count:     52
    .sgpr_spill_count: 0
    .symbol:         _ZN5aiter23act_and_mul_bias_kernelIfDF16_lfTnPFfRKT2_EXadL_ZNS_11silu_kernelIfEEfRKT_EELi8EEEvPT0_PS8_PKT1_PS2_il.kd
    .uniform_work_group_size: 1
    .uses_dynamic_stack: false
    .vgpr_count:     44
    .vgpr_spill_count: 0
    .wavefront_size: 64
  - .agpr_count:     0
    .args:
      - .actual_access:  write_only
        .address_space:  global
        .offset:         0
        .size:           8
        .value_kind:     global_buffer
      - .actual_access:  read_only
        .address_space:  global
        .offset:         8
        .size:           8
        .value_kind:     global_buffer
      - .actual_access:  read_only
        .address_space:  global
        .offset:         16
        .size:           8
        .value_kind:     global_buffer
      - .actual_access:  read_only
        .address_space:  global
        .offset:         24
        .size:           8
        .value_kind:     global_buffer
      - .offset:         32
        .size:           4
        .value_kind:     by_value
      - .offset:         40
        .size:           8
        .value_kind:     by_value
      - .offset:         48
        .size:           4
        .value_kind:     hidden_block_count_x
      - .offset:         52
        .size:           4
        .value_kind:     hidden_block_count_y
      - .offset:         56
        .size:           4
        .value_kind:     hidden_block_count_z
      - .offset:         60
        .size:           2
        .value_kind:     hidden_group_size_x
      - .offset:         62
        .size:           2
        .value_kind:     hidden_group_size_y
      - .offset:         64
        .size:           2
        .value_kind:     hidden_group_size_z
      - .offset:         66
        .size:           2
        .value_kind:     hidden_remainder_x
      - .offset:         68
        .size:           2
        .value_kind:     hidden_remainder_y
      - .offset:         70
        .size:           2
        .value_kind:     hidden_remainder_z
      - .offset:         88
        .size:           8
        .value_kind:     hidden_global_offset_x
      - .offset:         96
        .size:           8
        .value_kind:     hidden_global_offset_y
      - .offset:         104
        .size:           8
        .value_kind:     hidden_global_offset_z
      - .offset:         112
        .size:           2
        .value_kind:     hidden_grid_dims
    .group_segment_fixed_size: 0
    .kernarg_segment_align: 8
    .kernarg_segment_size: 304
    .language:       OpenCL C
    .language_version:
      - 2
      - 0
    .max_flat_workgroup_size: 1024
    .name:           _ZN5aiter23act_and_mul_bias_kernelIfDF16_lfTnPFfRKT2_EXadL_ZNS_11silu_kernelIfEEfRKT_EELi4EEEvPT0_PS8_PKT1_PS2_il
    .private_segment_fixed_size: 0
    .sgpr_count:     44
    .sgpr_spill_count: 0
    .symbol:         _ZN5aiter23act_and_mul_bias_kernelIfDF16_lfTnPFfRKT2_EXadL_ZNS_11silu_kernelIfEEfRKT_EELi4EEEvPT0_PS8_PKT1_PS2_il.kd
    .uniform_work_group_size: 1
    .uses_dynamic_stack: false
    .vgpr_count:     24
    .vgpr_spill_count: 0
    .wavefront_size: 64
  - .agpr_count:     0
    .args:
      - .actual_access:  write_only
        .address_space:  global
        .offset:         0
        .size:           8
        .value_kind:     global_buffer
      - .actual_access:  read_only
        .address_space:  global
        .offset:         8
        .size:           8
        .value_kind:     global_buffer
      - .actual_access:  read_only
        .address_space:  global
        .offset:         16
        .size:           8
        .value_kind:     global_buffer
      - .actual_access:  read_only
        .address_space:  global
        .offset:         24
        .size:           8
        .value_kind:     global_buffer
      - .offset:         32
        .size:           4
        .value_kind:     by_value
      - .offset:         40
        .size:           8
        .value_kind:     by_value
      - .offset:         48
        .size:           4
        .value_kind:     hidden_block_count_x
      - .offset:         52
        .size:           4
        .value_kind:     hidden_block_count_y
      - .offset:         56
        .size:           4
        .value_kind:     hidden_block_count_z
      - .offset:         60
        .size:           2
        .value_kind:     hidden_group_size_x
      - .offset:         62
        .size:           2
        .value_kind:     hidden_group_size_y
      - .offset:         64
        .size:           2
        .value_kind:     hidden_group_size_z
      - .offset:         66
        .size:           2
        .value_kind:     hidden_remainder_x
      - .offset:         68
        .size:           2
        .value_kind:     hidden_remainder_y
      - .offset:         70
        .size:           2
        .value_kind:     hidden_remainder_z
      - .offset:         88
        .size:           8
        .value_kind:     hidden_global_offset_x
      - .offset:         96
        .size:           8
        .value_kind:     hidden_global_offset_y
      - .offset:         104
        .size:           8
        .value_kind:     hidden_global_offset_z
      - .offset:         112
        .size:           2
        .value_kind:     hidden_grid_dims
    .group_segment_fixed_size: 0
    .kernarg_segment_align: 8
    .kernarg_segment_size: 304
    .language:       OpenCL C
    .language_version:
      - 2
      - 0
    .max_flat_workgroup_size: 1024
    .name:           _ZN5aiter23act_and_mul_bias_kernelIfDF16_lfTnPFfRKT2_EXadL_ZNS_11silu_kernelIfEEfRKT_EELi2EEEvPT0_PS8_PKT1_PS2_il
    .private_segment_fixed_size: 0
    .sgpr_count:     40
    .sgpr_spill_count: 0
    .symbol:         _ZN5aiter23act_and_mul_bias_kernelIfDF16_lfTnPFfRKT2_EXadL_ZNS_11silu_kernelIfEEfRKT_EELi2EEEvPT0_PS8_PKT1_PS2_il.kd
    .uniform_work_group_size: 1
    .uses_dynamic_stack: false
    .vgpr_count:     14
    .vgpr_spill_count: 0
    .wavefront_size: 64
  - .agpr_count:     0
    .args:
      - .actual_access:  write_only
        .address_space:  global
        .offset:         0
        .size:           8
        .value_kind:     global_buffer
      - .actual_access:  read_only
        .address_space:  global
        .offset:         8
        .size:           8
        .value_kind:     global_buffer
      - .actual_access:  read_only
        .address_space:  global
        .offset:         16
        .size:           8
        .value_kind:     global_buffer
      - .actual_access:  read_only
        .address_space:  global
        .offset:         24
        .size:           8
        .value_kind:     global_buffer
      - .offset:         32
        .size:           4
        .value_kind:     by_value
      - .offset:         40
        .size:           8
        .value_kind:     by_value
      - .offset:         48
        .size:           4
        .value_kind:     hidden_block_count_x
      - .offset:         52
        .size:           4
        .value_kind:     hidden_block_count_y
      - .offset:         56
        .size:           4
        .value_kind:     hidden_block_count_z
      - .offset:         60
        .size:           2
        .value_kind:     hidden_group_size_x
      - .offset:         62
        .size:           2
        .value_kind:     hidden_group_size_y
      - .offset:         64
        .size:           2
        .value_kind:     hidden_group_size_z
      - .offset:         66
        .size:           2
        .value_kind:     hidden_remainder_x
      - .offset:         68
        .size:           2
        .value_kind:     hidden_remainder_y
      - .offset:         70
        .size:           2
        .value_kind:     hidden_remainder_z
      - .offset:         88
        .size:           8
        .value_kind:     hidden_global_offset_x
      - .offset:         96
        .size:           8
        .value_kind:     hidden_global_offset_y
      - .offset:         104
        .size:           8
        .value_kind:     hidden_global_offset_z
      - .offset:         112
        .size:           2
        .value_kind:     hidden_grid_dims
    .group_segment_fixed_size: 0
    .kernarg_segment_align: 8
    .kernarg_segment_size: 304
    .language:       OpenCL C
    .language_version:
      - 2
      - 0
    .max_flat_workgroup_size: 1024
    .name:           _ZN5aiter23act_and_mul_bias_kernelIfDF16_lfTnPFfRKT2_EXadL_ZNS_11silu_kernelIfEEfRKT_EELi1EEEvPT0_PS8_PKT1_PS2_il
    .private_segment_fixed_size: 0
    .sgpr_count:     37
    .sgpr_spill_count: 0
    .symbol:         _ZN5aiter23act_and_mul_bias_kernelIfDF16_lfTnPFfRKT2_EXadL_ZNS_11silu_kernelIfEEfRKT_EELi1EEEvPT0_PS8_PKT1_PS2_il.kd
    .uniform_work_group_size: 1
    .uses_dynamic_stack: false
    .vgpr_count:     10
    .vgpr_spill_count: 0
    .wavefront_size: 64
  - .agpr_count:     0
    .args:
      - .actual_access:  write_only
        .address_space:  global
        .offset:         0
        .size:           8
        .value_kind:     global_buffer
      - .actual_access:  read_only
        .address_space:  global
        .offset:         8
        .size:           8
        .value_kind:     global_buffer
      - .actual_access:  read_only
        .address_space:  global
        .offset:         16
        .size:           8
        .value_kind:     global_buffer
      - .actual_access:  read_only
        .address_space:  global
        .offset:         24
        .size:           8
        .value_kind:     global_buffer
      - .offset:         32
        .size:           4
        .value_kind:     by_value
      - .offset:         40
        .size:           8
        .value_kind:     by_value
      - .offset:         48
        .size:           4
        .value_kind:     hidden_block_count_x
      - .offset:         52
        .size:           4
        .value_kind:     hidden_block_count_y
      - .offset:         56
        .size:           4
        .value_kind:     hidden_block_count_z
      - .offset:         60
        .size:           2
        .value_kind:     hidden_group_size_x
      - .offset:         62
        .size:           2
        .value_kind:     hidden_group_size_y
      - .offset:         64
        .size:           2
        .value_kind:     hidden_group_size_z
      - .offset:         66
        .size:           2
        .value_kind:     hidden_remainder_x
      - .offset:         68
        .size:           2
        .value_kind:     hidden_remainder_y
      - .offset:         70
        .size:           2
        .value_kind:     hidden_remainder_z
      - .offset:         88
        .size:           8
        .value_kind:     hidden_global_offset_x
      - .offset:         96
        .size:           8
        .value_kind:     hidden_global_offset_y
      - .offset:         104
        .size:           8
        .value_kind:     hidden_global_offset_z
      - .offset:         112
        .size:           2
        .value_kind:     hidden_grid_dims
    .group_segment_fixed_size: 0
    .kernarg_segment_align: 8
    .kernarg_segment_size: 304
    .language:       OpenCL C
    .language_version:
      - 2
      - 0
    .max_flat_workgroup_size: 1024
    .name:           _ZN5aiter23act_and_mul_bias_kernelIfflfTnPFfRKT2_EXadL_ZNS_11silu_kernelIfEEfRKT_EELi16EEEvPT0_PS8_PKT1_PS2_il
    .private_segment_fixed_size: 0
    .sgpr_count:     68
    .sgpr_spill_count: 0
    .symbol:         _ZN5aiter23act_and_mul_bias_kernelIfflfTnPFfRKT2_EXadL_ZNS_11silu_kernelIfEEfRKT_EELi16EEEvPT0_PS8_PKT1_PS2_il.kd
    .uniform_work_group_size: 1
    .uses_dynamic_stack: false
    .vgpr_count:     69
    .vgpr_spill_count: 0
    .wavefront_size: 64
  - .agpr_count:     0
    .args:
      - .actual_access:  write_only
        .address_space:  global
        .offset:         0
        .size:           8
        .value_kind:     global_buffer
      - .actual_access:  read_only
        .address_space:  global
        .offset:         8
        .size:           8
        .value_kind:     global_buffer
      - .actual_access:  read_only
        .address_space:  global
        .offset:         16
        .size:           8
        .value_kind:     global_buffer
      - .actual_access:  read_only
        .address_space:  global
        .offset:         24
        .size:           8
        .value_kind:     global_buffer
      - .offset:         32
        .size:           4
        .value_kind:     by_value
      - .offset:         40
        .size:           8
        .value_kind:     by_value
      - .offset:         48
        .size:           4
        .value_kind:     hidden_block_count_x
      - .offset:         52
        .size:           4
        .value_kind:     hidden_block_count_y
      - .offset:         56
        .size:           4
        .value_kind:     hidden_block_count_z
      - .offset:         60
        .size:           2
        .value_kind:     hidden_group_size_x
      - .offset:         62
        .size:           2
        .value_kind:     hidden_group_size_y
      - .offset:         64
        .size:           2
        .value_kind:     hidden_group_size_z
      - .offset:         66
        .size:           2
        .value_kind:     hidden_remainder_x
      - .offset:         68
        .size:           2
        .value_kind:     hidden_remainder_y
      - .offset:         70
        .size:           2
        .value_kind:     hidden_remainder_z
      - .offset:         88
        .size:           8
        .value_kind:     hidden_global_offset_x
      - .offset:         96
        .size:           8
        .value_kind:     hidden_global_offset_y
      - .offset:         104
        .size:           8
        .value_kind:     hidden_global_offset_z
      - .offset:         112
        .size:           2
        .value_kind:     hidden_grid_dims
    .group_segment_fixed_size: 0
    .kernarg_segment_align: 8
    .kernarg_segment_size: 304
    .language:       OpenCL C
    .language_version:
      - 2
      - 0
    .max_flat_workgroup_size: 1024
    .name:           _ZN5aiter23act_and_mul_bias_kernelIfflfTnPFfRKT2_EXadL_ZNS_11silu_kernelIfEEfRKT_EELi8EEEvPT0_PS8_PKT1_PS2_il
    .private_segment_fixed_size: 0
    .sgpr_count:     52
    .sgpr_spill_count: 0
    .symbol:         _ZN5aiter23act_and_mul_bias_kernelIfflfTnPFfRKT2_EXadL_ZNS_11silu_kernelIfEEfRKT_EELi8EEEvPT0_PS8_PKT1_PS2_il.kd
    .uniform_work_group_size: 1
    .uses_dynamic_stack: false
    .vgpr_count:     44
    .vgpr_spill_count: 0
    .wavefront_size: 64
  - .agpr_count:     0
    .args:
      - .actual_access:  write_only
        .address_space:  global
        .offset:         0
        .size:           8
        .value_kind:     global_buffer
      - .actual_access:  read_only
        .address_space:  global
        .offset:         8
        .size:           8
        .value_kind:     global_buffer
      - .actual_access:  read_only
        .address_space:  global
        .offset:         16
        .size:           8
        .value_kind:     global_buffer
      - .actual_access:  read_only
        .address_space:  global
        .offset:         24
        .size:           8
        .value_kind:     global_buffer
      - .offset:         32
        .size:           4
        .value_kind:     by_value
      - .offset:         40
        .size:           8
        .value_kind:     by_value
      - .offset:         48
        .size:           4
        .value_kind:     hidden_block_count_x
      - .offset:         52
        .size:           4
        .value_kind:     hidden_block_count_y
      - .offset:         56
        .size:           4
        .value_kind:     hidden_block_count_z
      - .offset:         60
        .size:           2
        .value_kind:     hidden_group_size_x
      - .offset:         62
        .size:           2
        .value_kind:     hidden_group_size_y
      - .offset:         64
        .size:           2
        .value_kind:     hidden_group_size_z
      - .offset:         66
        .size:           2
        .value_kind:     hidden_remainder_x
      - .offset:         68
        .size:           2
        .value_kind:     hidden_remainder_y
      - .offset:         70
        .size:           2
        .value_kind:     hidden_remainder_z
      - .offset:         88
        .size:           8
        .value_kind:     hidden_global_offset_x
      - .offset:         96
        .size:           8
        .value_kind:     hidden_global_offset_y
      - .offset:         104
        .size:           8
        .value_kind:     hidden_global_offset_z
      - .offset:         112
        .size:           2
        .value_kind:     hidden_grid_dims
    .group_segment_fixed_size: 0
    .kernarg_segment_align: 8
    .kernarg_segment_size: 304
    .language:       OpenCL C
    .language_version:
      - 2
      - 0
    .max_flat_workgroup_size: 1024
    .name:           _ZN5aiter23act_and_mul_bias_kernelIfflfTnPFfRKT2_EXadL_ZNS_11silu_kernelIfEEfRKT_EELi4EEEvPT0_PS8_PKT1_PS2_il
    .private_segment_fixed_size: 0
    .sgpr_count:     44
    .sgpr_spill_count: 0
    .symbol:         _ZN5aiter23act_and_mul_bias_kernelIfflfTnPFfRKT2_EXadL_ZNS_11silu_kernelIfEEfRKT_EELi4EEEvPT0_PS8_PKT1_PS2_il.kd
    .uniform_work_group_size: 1
    .uses_dynamic_stack: false
    .vgpr_count:     24
    .vgpr_spill_count: 0
    .wavefront_size: 64
  - .agpr_count:     0
    .args:
      - .actual_access:  write_only
        .address_space:  global
        .offset:         0
        .size:           8
        .value_kind:     global_buffer
      - .actual_access:  read_only
        .address_space:  global
        .offset:         8
        .size:           8
        .value_kind:     global_buffer
      - .actual_access:  read_only
        .address_space:  global
        .offset:         16
        .size:           8
        .value_kind:     global_buffer
      - .actual_access:  read_only
        .address_space:  global
        .offset:         24
        .size:           8
        .value_kind:     global_buffer
      - .offset:         32
        .size:           4
        .value_kind:     by_value
      - .offset:         40
        .size:           8
        .value_kind:     by_value
      - .offset:         48
        .size:           4
        .value_kind:     hidden_block_count_x
      - .offset:         52
        .size:           4
        .value_kind:     hidden_block_count_y
      - .offset:         56
        .size:           4
        .value_kind:     hidden_block_count_z
      - .offset:         60
        .size:           2
        .value_kind:     hidden_group_size_x
      - .offset:         62
        .size:           2
        .value_kind:     hidden_group_size_y
      - .offset:         64
        .size:           2
        .value_kind:     hidden_group_size_z
      - .offset:         66
        .size:           2
        .value_kind:     hidden_remainder_x
      - .offset:         68
        .size:           2
        .value_kind:     hidden_remainder_y
      - .offset:         70
        .size:           2
        .value_kind:     hidden_remainder_z
      - .offset:         88
        .size:           8
        .value_kind:     hidden_global_offset_x
      - .offset:         96
        .size:           8
        .value_kind:     hidden_global_offset_y
      - .offset:         104
        .size:           8
        .value_kind:     hidden_global_offset_z
      - .offset:         112
        .size:           2
        .value_kind:     hidden_grid_dims
    .group_segment_fixed_size: 0
    .kernarg_segment_align: 8
    .kernarg_segment_size: 304
    .language:       OpenCL C
    .language_version:
      - 2
      - 0
    .max_flat_workgroup_size: 1024
    .name:           _ZN5aiter23act_and_mul_bias_kernelIfflfTnPFfRKT2_EXadL_ZNS_11silu_kernelIfEEfRKT_EELi2EEEvPT0_PS8_PKT1_PS2_il
    .private_segment_fixed_size: 0
    .sgpr_count:     40
    .sgpr_spill_count: 0
    .symbol:         _ZN5aiter23act_and_mul_bias_kernelIfflfTnPFfRKT2_EXadL_ZNS_11silu_kernelIfEEfRKT_EELi2EEEvPT0_PS8_PKT1_PS2_il.kd
    .uniform_work_group_size: 1
    .uses_dynamic_stack: false
    .vgpr_count:     16
    .vgpr_spill_count: 0
    .wavefront_size: 64
  - .agpr_count:     0
    .args:
      - .actual_access:  write_only
        .address_space:  global
        .offset:         0
        .size:           8
        .value_kind:     global_buffer
      - .actual_access:  read_only
        .address_space:  global
        .offset:         8
        .size:           8
        .value_kind:     global_buffer
      - .actual_access:  read_only
        .address_space:  global
        .offset:         16
        .size:           8
        .value_kind:     global_buffer
      - .actual_access:  read_only
        .address_space:  global
        .offset:         24
        .size:           8
        .value_kind:     global_buffer
      - .offset:         32
        .size:           4
        .value_kind:     by_value
      - .offset:         40
        .size:           8
        .value_kind:     by_value
      - .offset:         48
        .size:           4
        .value_kind:     hidden_block_count_x
      - .offset:         52
        .size:           4
        .value_kind:     hidden_block_count_y
      - .offset:         56
        .size:           4
        .value_kind:     hidden_block_count_z
      - .offset:         60
        .size:           2
        .value_kind:     hidden_group_size_x
      - .offset:         62
        .size:           2
        .value_kind:     hidden_group_size_y
      - .offset:         64
        .size:           2
        .value_kind:     hidden_group_size_z
      - .offset:         66
        .size:           2
        .value_kind:     hidden_remainder_x
      - .offset:         68
        .size:           2
        .value_kind:     hidden_remainder_y
      - .offset:         70
        .size:           2
        .value_kind:     hidden_remainder_z
      - .offset:         88
        .size:           8
        .value_kind:     hidden_global_offset_x
      - .offset:         96
        .size:           8
        .value_kind:     hidden_global_offset_y
      - .offset:         104
        .size:           8
        .value_kind:     hidden_global_offset_z
      - .offset:         112
        .size:           2
        .value_kind:     hidden_grid_dims
    .group_segment_fixed_size: 0
    .kernarg_segment_align: 8
    .kernarg_segment_size: 304
    .language:       OpenCL C
    .language_version:
      - 2
      - 0
    .max_flat_workgroup_size: 1024
    .name:           _ZN5aiter23act_and_mul_bias_kernelIfflfTnPFfRKT2_EXadL_ZNS_11silu_kernelIfEEfRKT_EELi1EEEvPT0_PS8_PKT1_PS2_il
    .private_segment_fixed_size: 0
    .sgpr_count:     36
    .sgpr_spill_count: 0
    .symbol:         _ZN5aiter23act_and_mul_bias_kernelIfflfTnPFfRKT2_EXadL_ZNS_11silu_kernelIfEEfRKT_EELi1EEEvPT0_PS8_PKT1_PS2_il.kd
    .uniform_work_group_size: 1
    .uses_dynamic_stack: false
    .vgpr_count:     9
    .vgpr_spill_count: 0
    .wavefront_size: 64
  - .agpr_count:     0
    .args:
      - .actual_access:  write_only
        .address_space:  global
        .offset:         0
        .size:           8
        .value_kind:     global_buffer
      - .actual_access:  read_only
        .address_space:  global
        .offset:         8
        .size:           8
        .value_kind:     global_buffer
      - .actual_access:  read_only
        .address_space:  global
        .offset:         16
        .size:           8
        .value_kind:     global_buffer
      - .actual_access:  read_only
        .address_space:  global
        .offset:         24
        .size:           8
        .value_kind:     global_buffer
      - .offset:         32
        .size:           4
        .value_kind:     by_value
      - .offset:         40
        .size:           8
        .value_kind:     by_value
      - .offset:         48
        .size:           4
        .value_kind:     hidden_block_count_x
      - .offset:         52
        .size:           4
        .value_kind:     hidden_block_count_y
      - .offset:         56
        .size:           4
        .value_kind:     hidden_block_count_z
      - .offset:         60
        .size:           2
        .value_kind:     hidden_group_size_x
      - .offset:         62
        .size:           2
        .value_kind:     hidden_group_size_y
      - .offset:         64
        .size:           2
        .value_kind:     hidden_group_size_z
      - .offset:         66
        .size:           2
        .value_kind:     hidden_remainder_x
      - .offset:         68
        .size:           2
        .value_kind:     hidden_remainder_y
      - .offset:         70
        .size:           2
        .value_kind:     hidden_remainder_z
      - .offset:         88
        .size:           8
        .value_kind:     hidden_global_offset_x
      - .offset:         96
        .size:           8
        .value_kind:     hidden_global_offset_y
      - .offset:         104
        .size:           8
        .value_kind:     hidden_global_offset_z
      - .offset:         112
        .size:           2
        .value_kind:     hidden_grid_dims
    .group_segment_fixed_size: 0
    .kernarg_segment_align: 8
    .kernarg_segment_size: 304
    .language:       OpenCL C
    .language_version:
      - 2
      - 0
    .max_flat_workgroup_size: 1024
    .name:           _ZN5aiter23act_and_mul_bias_kernelIDF16_DF16_lfTnPFfRKT2_EXadL_ZNS_11silu_kernelIfEEfRKT_EELi32EEEvPT0_PS8_PKT1_PS2_il
    .private_segment_fixed_size: 0
    .sgpr_count:     47
    .sgpr_spill_count: 0
    .symbol:         _ZN5aiter23act_and_mul_bias_kernelIDF16_DF16_lfTnPFfRKT2_EXadL_ZNS_11silu_kernelIfEEfRKT_EELi32EEEvPT0_PS8_PKT1_PS2_il.kd
    .uniform_work_group_size: 1
    .uses_dynamic_stack: false
    .vgpr_count:     83
    .vgpr_spill_count: 0
    .wavefront_size: 64
  - .agpr_count:     0
    .args:
      - .actual_access:  write_only
        .address_space:  global
        .offset:         0
        .size:           8
        .value_kind:     global_buffer
      - .actual_access:  read_only
        .address_space:  global
        .offset:         8
        .size:           8
        .value_kind:     global_buffer
      - .actual_access:  read_only
        .address_space:  global
        .offset:         16
        .size:           8
        .value_kind:     global_buffer
      - .actual_access:  read_only
        .address_space:  global
        .offset:         24
        .size:           8
        .value_kind:     global_buffer
      - .offset:         32
        .size:           4
        .value_kind:     by_value
      - .offset:         40
        .size:           8
        .value_kind:     by_value
      - .offset:         48
        .size:           4
        .value_kind:     hidden_block_count_x
      - .offset:         52
        .size:           4
        .value_kind:     hidden_block_count_y
      - .offset:         56
        .size:           4
        .value_kind:     hidden_block_count_z
      - .offset:         60
        .size:           2
        .value_kind:     hidden_group_size_x
      - .offset:         62
        .size:           2
        .value_kind:     hidden_group_size_y
      - .offset:         64
        .size:           2
        .value_kind:     hidden_group_size_z
      - .offset:         66
        .size:           2
        .value_kind:     hidden_remainder_x
      - .offset:         68
        .size:           2
        .value_kind:     hidden_remainder_y
      - .offset:         70
        .size:           2
        .value_kind:     hidden_remainder_z
      - .offset:         88
        .size:           8
        .value_kind:     hidden_global_offset_x
      - .offset:         96
        .size:           8
        .value_kind:     hidden_global_offset_y
      - .offset:         104
        .size:           8
        .value_kind:     hidden_global_offset_z
      - .offset:         112
        .size:           2
        .value_kind:     hidden_grid_dims
    .group_segment_fixed_size: 0
    .kernarg_segment_align: 8
    .kernarg_segment_size: 304
    .language:       OpenCL C
    .language_version:
      - 2
      - 0
    .max_flat_workgroup_size: 1024
    .name:           _ZN5aiter23act_and_mul_bias_kernelIDF16_DF16_lfTnPFfRKT2_EXadL_ZNS_11silu_kernelIfEEfRKT_EELi16EEEvPT0_PS8_PKT1_PS2_il
    .private_segment_fixed_size: 0
    .sgpr_count:     37
    .sgpr_spill_count: 0
    .symbol:         _ZN5aiter23act_and_mul_bias_kernelIDF16_DF16_lfTnPFfRKT2_EXadL_ZNS_11silu_kernelIfEEfRKT_EELi16EEEvPT0_PS8_PKT1_PS2_il.kd
    .uniform_work_group_size: 1
    .uses_dynamic_stack: false
    .vgpr_count:     54
    .vgpr_spill_count: 0
    .wavefront_size: 64
  - .agpr_count:     0
    .args:
      - .actual_access:  write_only
        .address_space:  global
        .offset:         0
        .size:           8
        .value_kind:     global_buffer
      - .actual_access:  read_only
        .address_space:  global
        .offset:         8
        .size:           8
        .value_kind:     global_buffer
      - .actual_access:  read_only
        .address_space:  global
        .offset:         16
        .size:           8
        .value_kind:     global_buffer
      - .actual_access:  read_only
        .address_space:  global
        .offset:         24
        .size:           8
        .value_kind:     global_buffer
      - .offset:         32
        .size:           4
        .value_kind:     by_value
      - .offset:         40
        .size:           8
        .value_kind:     by_value
      - .offset:         48
        .size:           4
        .value_kind:     hidden_block_count_x
      - .offset:         52
        .size:           4
        .value_kind:     hidden_block_count_y
      - .offset:         56
        .size:           4
        .value_kind:     hidden_block_count_z
      - .offset:         60
        .size:           2
        .value_kind:     hidden_group_size_x
      - .offset:         62
        .size:           2
        .value_kind:     hidden_group_size_y
      - .offset:         64
        .size:           2
        .value_kind:     hidden_group_size_z
      - .offset:         66
        .size:           2
        .value_kind:     hidden_remainder_x
      - .offset:         68
        .size:           2
        .value_kind:     hidden_remainder_y
      - .offset:         70
        .size:           2
        .value_kind:     hidden_remainder_z
      - .offset:         88
        .size:           8
        .value_kind:     hidden_global_offset_x
      - .offset:         96
        .size:           8
        .value_kind:     hidden_global_offset_y
      - .offset:         104
        .size:           8
        .value_kind:     hidden_global_offset_z
      - .offset:         112
        .size:           2
        .value_kind:     hidden_grid_dims
    .group_segment_fixed_size: 0
    .kernarg_segment_align: 8
    .kernarg_segment_size: 304
    .language:       OpenCL C
    .language_version:
      - 2
      - 0
    .max_flat_workgroup_size: 1024
    .name:           _ZN5aiter23act_and_mul_bias_kernelIDF16_DF16_lfTnPFfRKT2_EXadL_ZNS_11silu_kernelIfEEfRKT_EELi8EEEvPT0_PS8_PKT1_PS2_il
    .private_segment_fixed_size: 0
    .sgpr_count:     52
    .sgpr_spill_count: 0
    .symbol:         _ZN5aiter23act_and_mul_bias_kernelIDF16_DF16_lfTnPFfRKT2_EXadL_ZNS_11silu_kernelIfEEfRKT_EELi8EEEvPT0_PS8_PKT1_PS2_il.kd
    .uniform_work_group_size: 1
    .uses_dynamic_stack: false
    .vgpr_count:     44
    .vgpr_spill_count: 0
    .wavefront_size: 64
  - .agpr_count:     0
    .args:
      - .actual_access:  write_only
        .address_space:  global
        .offset:         0
        .size:           8
        .value_kind:     global_buffer
      - .actual_access:  read_only
        .address_space:  global
        .offset:         8
        .size:           8
        .value_kind:     global_buffer
      - .actual_access:  read_only
        .address_space:  global
        .offset:         16
        .size:           8
        .value_kind:     global_buffer
      - .actual_access:  read_only
        .address_space:  global
        .offset:         24
        .size:           8
        .value_kind:     global_buffer
      - .offset:         32
        .size:           4
        .value_kind:     by_value
      - .offset:         40
        .size:           8
        .value_kind:     by_value
      - .offset:         48
        .size:           4
        .value_kind:     hidden_block_count_x
      - .offset:         52
        .size:           4
        .value_kind:     hidden_block_count_y
      - .offset:         56
        .size:           4
        .value_kind:     hidden_block_count_z
      - .offset:         60
        .size:           2
        .value_kind:     hidden_group_size_x
      - .offset:         62
        .size:           2
        .value_kind:     hidden_group_size_y
      - .offset:         64
        .size:           2
        .value_kind:     hidden_group_size_z
      - .offset:         66
        .size:           2
        .value_kind:     hidden_remainder_x
      - .offset:         68
        .size:           2
        .value_kind:     hidden_remainder_y
      - .offset:         70
        .size:           2
        .value_kind:     hidden_remainder_z
      - .offset:         88
        .size:           8
        .value_kind:     hidden_global_offset_x
      - .offset:         96
        .size:           8
        .value_kind:     hidden_global_offset_y
      - .offset:         104
        .size:           8
        .value_kind:     hidden_global_offset_z
      - .offset:         112
        .size:           2
        .value_kind:     hidden_grid_dims
    .group_segment_fixed_size: 0
    .kernarg_segment_align: 8
    .kernarg_segment_size: 304
    .language:       OpenCL C
    .language_version:
      - 2
      - 0
    .max_flat_workgroup_size: 1024
    .name:           _ZN5aiter23act_and_mul_bias_kernelIDF16_DF16_lfTnPFfRKT2_EXadL_ZNS_11silu_kernelIfEEfRKT_EELi4EEEvPT0_PS8_PKT1_PS2_il
    .private_segment_fixed_size: 0
    .sgpr_count:     44
    .sgpr_spill_count: 0
    .symbol:         _ZN5aiter23act_and_mul_bias_kernelIDF16_DF16_lfTnPFfRKT2_EXadL_ZNS_11silu_kernelIfEEfRKT_EELi4EEEvPT0_PS8_PKT1_PS2_il.kd
    .uniform_work_group_size: 1
    .uses_dynamic_stack: false
    .vgpr_count:     24
    .vgpr_spill_count: 0
    .wavefront_size: 64
  - .agpr_count:     0
    .args:
      - .actual_access:  write_only
        .address_space:  global
        .offset:         0
        .size:           8
        .value_kind:     global_buffer
      - .actual_access:  read_only
        .address_space:  global
        .offset:         8
        .size:           8
        .value_kind:     global_buffer
      - .actual_access:  read_only
        .address_space:  global
        .offset:         16
        .size:           8
        .value_kind:     global_buffer
      - .actual_access:  read_only
        .address_space:  global
        .offset:         24
        .size:           8
        .value_kind:     global_buffer
      - .offset:         32
        .size:           4
        .value_kind:     by_value
      - .offset:         40
        .size:           8
        .value_kind:     by_value
      - .offset:         48
        .size:           4
        .value_kind:     hidden_block_count_x
      - .offset:         52
        .size:           4
        .value_kind:     hidden_block_count_y
      - .offset:         56
        .size:           4
        .value_kind:     hidden_block_count_z
      - .offset:         60
        .size:           2
        .value_kind:     hidden_group_size_x
      - .offset:         62
        .size:           2
        .value_kind:     hidden_group_size_y
      - .offset:         64
        .size:           2
        .value_kind:     hidden_group_size_z
      - .offset:         66
        .size:           2
        .value_kind:     hidden_remainder_x
      - .offset:         68
        .size:           2
        .value_kind:     hidden_remainder_y
      - .offset:         70
        .size:           2
        .value_kind:     hidden_remainder_z
      - .offset:         88
        .size:           8
        .value_kind:     hidden_global_offset_x
      - .offset:         96
        .size:           8
        .value_kind:     hidden_global_offset_y
      - .offset:         104
        .size:           8
        .value_kind:     hidden_global_offset_z
      - .offset:         112
        .size:           2
        .value_kind:     hidden_grid_dims
    .group_segment_fixed_size: 0
    .kernarg_segment_align: 8
    .kernarg_segment_size: 304
    .language:       OpenCL C
    .language_version:
      - 2
      - 0
    .max_flat_workgroup_size: 1024
    .name:           _ZN5aiter23act_and_mul_bias_kernelIDF16_DF16_lfTnPFfRKT2_EXadL_ZNS_11silu_kernelIfEEfRKT_EELi2EEEvPT0_PS8_PKT1_PS2_il
    .private_segment_fixed_size: 0
    .sgpr_count:     40
    .sgpr_spill_count: 0
    .symbol:         _ZN5aiter23act_and_mul_bias_kernelIDF16_DF16_lfTnPFfRKT2_EXadL_ZNS_11silu_kernelIfEEfRKT_EELi2EEEvPT0_PS8_PKT1_PS2_il.kd
    .uniform_work_group_size: 1
    .uses_dynamic_stack: false
    .vgpr_count:     14
    .vgpr_spill_count: 0
    .wavefront_size: 64
  - .agpr_count:     0
    .args:
      - .actual_access:  write_only
        .address_space:  global
        .offset:         0
        .size:           8
        .value_kind:     global_buffer
      - .actual_access:  read_only
        .address_space:  global
        .offset:         8
        .size:           8
        .value_kind:     global_buffer
      - .actual_access:  read_only
        .address_space:  global
        .offset:         16
        .size:           8
        .value_kind:     global_buffer
      - .actual_access:  read_only
        .address_space:  global
        .offset:         24
        .size:           8
        .value_kind:     global_buffer
      - .offset:         32
        .size:           4
        .value_kind:     by_value
      - .offset:         40
        .size:           8
        .value_kind:     by_value
      - .offset:         48
        .size:           4
        .value_kind:     hidden_block_count_x
      - .offset:         52
        .size:           4
        .value_kind:     hidden_block_count_y
      - .offset:         56
        .size:           4
        .value_kind:     hidden_block_count_z
      - .offset:         60
        .size:           2
        .value_kind:     hidden_group_size_x
      - .offset:         62
        .size:           2
        .value_kind:     hidden_group_size_y
      - .offset:         64
        .size:           2
        .value_kind:     hidden_group_size_z
      - .offset:         66
        .size:           2
        .value_kind:     hidden_remainder_x
      - .offset:         68
        .size:           2
        .value_kind:     hidden_remainder_y
      - .offset:         70
        .size:           2
        .value_kind:     hidden_remainder_z
      - .offset:         88
        .size:           8
        .value_kind:     hidden_global_offset_x
      - .offset:         96
        .size:           8
        .value_kind:     hidden_global_offset_y
      - .offset:         104
        .size:           8
        .value_kind:     hidden_global_offset_z
      - .offset:         112
        .size:           2
        .value_kind:     hidden_grid_dims
    .group_segment_fixed_size: 0
    .kernarg_segment_align: 8
    .kernarg_segment_size: 304
    .language:       OpenCL C
    .language_version:
      - 2
      - 0
    .max_flat_workgroup_size: 1024
    .name:           _ZN5aiter23act_and_mul_bias_kernelIDF16_DF16_lfTnPFfRKT2_EXadL_ZNS_11silu_kernelIfEEfRKT_EELi1EEEvPT0_PS8_PKT1_PS2_il
    .private_segment_fixed_size: 0
    .sgpr_count:     37
    .sgpr_spill_count: 0
    .symbol:         _ZN5aiter23act_and_mul_bias_kernelIDF16_DF16_lfTnPFfRKT2_EXadL_ZNS_11silu_kernelIfEEfRKT_EELi1EEEvPT0_PS8_PKT1_PS2_il.kd
    .uniform_work_group_size: 1
    .uses_dynamic_stack: false
    .vgpr_count:     10
    .vgpr_spill_count: 0
    .wavefront_size: 64
  - .agpr_count:     0
    .args:
      - .actual_access:  write_only
        .address_space:  global
        .offset:         0
        .size:           8
        .value_kind:     global_buffer
      - .actual_access:  read_only
        .address_space:  global
        .offset:         8
        .size:           8
        .value_kind:     global_buffer
      - .actual_access:  read_only
        .address_space:  global
        .offset:         16
        .size:           8
        .value_kind:     global_buffer
      - .actual_access:  read_only
        .address_space:  global
        .offset:         24
        .size:           8
        .value_kind:     global_buffer
      - .offset:         32
        .size:           4
        .value_kind:     by_value
      - .offset:         40
        .size:           8
        .value_kind:     by_value
      - .offset:         48
        .size:           4
        .value_kind:     hidden_block_count_x
      - .offset:         52
        .size:           4
        .value_kind:     hidden_block_count_y
      - .offset:         56
        .size:           4
        .value_kind:     hidden_block_count_z
      - .offset:         60
        .size:           2
        .value_kind:     hidden_group_size_x
      - .offset:         62
        .size:           2
        .value_kind:     hidden_group_size_y
      - .offset:         64
        .size:           2
        .value_kind:     hidden_group_size_z
      - .offset:         66
        .size:           2
        .value_kind:     hidden_remainder_x
      - .offset:         68
        .size:           2
        .value_kind:     hidden_remainder_y
      - .offset:         70
        .size:           2
        .value_kind:     hidden_remainder_z
      - .offset:         88
        .size:           8
        .value_kind:     hidden_global_offset_x
      - .offset:         96
        .size:           8
        .value_kind:     hidden_global_offset_y
      - .offset:         104
        .size:           8
        .value_kind:     hidden_global_offset_z
      - .offset:         112
        .size:           2
        .value_kind:     hidden_grid_dims
    .group_segment_fixed_size: 0
    .kernarg_segment_align: 8
    .kernarg_segment_size: 304
    .language:       OpenCL C
    .language_version:
      - 2
      - 0
    .max_flat_workgroup_size: 1024
    .name:           _ZN5aiter23act_and_mul_bias_kernelIttlfTnPFfRKT2_EXadL_ZNS_11silu_kernelIfEEfRKT_EELi32EEEvPT0_PS8_PKT1_PS2_il
    .private_segment_fixed_size: 0
    .sgpr_count:     48
    .sgpr_spill_count: 0
    .symbol:         _ZN5aiter23act_and_mul_bias_kernelIttlfTnPFfRKT2_EXadL_ZNS_11silu_kernelIfEEfRKT_EELi32EEEvPT0_PS8_PKT1_PS2_il.kd
    .uniform_work_group_size: 1
    .uses_dynamic_stack: false
    .vgpr_count:     83
    .vgpr_spill_count: 0
    .wavefront_size: 64
  - .agpr_count:     0
    .args:
      - .actual_access:  write_only
        .address_space:  global
        .offset:         0
        .size:           8
        .value_kind:     global_buffer
      - .actual_access:  read_only
        .address_space:  global
        .offset:         8
        .size:           8
        .value_kind:     global_buffer
      - .actual_access:  read_only
        .address_space:  global
        .offset:         16
        .size:           8
        .value_kind:     global_buffer
      - .actual_access:  read_only
        .address_space:  global
        .offset:         24
        .size:           8
        .value_kind:     global_buffer
      - .offset:         32
        .size:           4
        .value_kind:     by_value
      - .offset:         40
        .size:           8
        .value_kind:     by_value
      - .offset:         48
        .size:           4
        .value_kind:     hidden_block_count_x
      - .offset:         52
        .size:           4
        .value_kind:     hidden_block_count_y
      - .offset:         56
        .size:           4
        .value_kind:     hidden_block_count_z
      - .offset:         60
        .size:           2
        .value_kind:     hidden_group_size_x
      - .offset:         62
        .size:           2
        .value_kind:     hidden_group_size_y
      - .offset:         64
        .size:           2
        .value_kind:     hidden_group_size_z
      - .offset:         66
        .size:           2
        .value_kind:     hidden_remainder_x
      - .offset:         68
        .size:           2
        .value_kind:     hidden_remainder_y
      - .offset:         70
        .size:           2
        .value_kind:     hidden_remainder_z
      - .offset:         88
        .size:           8
        .value_kind:     hidden_global_offset_x
      - .offset:         96
        .size:           8
        .value_kind:     hidden_global_offset_y
      - .offset:         104
        .size:           8
        .value_kind:     hidden_global_offset_z
      - .offset:         112
        .size:           2
        .value_kind:     hidden_grid_dims
    .group_segment_fixed_size: 0
    .kernarg_segment_align: 8
    .kernarg_segment_size: 304
    .language:       OpenCL C
    .language_version:
      - 2
      - 0
    .max_flat_workgroup_size: 1024
    .name:           _ZN5aiter23act_and_mul_bias_kernelIttlfTnPFfRKT2_EXadL_ZNS_11silu_kernelIfEEfRKT_EELi16EEEvPT0_PS8_PKT1_PS2_il
    .private_segment_fixed_size: 0
    .sgpr_count:     38
    .sgpr_spill_count: 0
    .symbol:         _ZN5aiter23act_and_mul_bias_kernelIttlfTnPFfRKT2_EXadL_ZNS_11silu_kernelIfEEfRKT_EELi16EEEvPT0_PS8_PKT1_PS2_il.kd
    .uniform_work_group_size: 1
    .uses_dynamic_stack: false
    .vgpr_count:     54
    .vgpr_spill_count: 0
    .wavefront_size: 64
  - .agpr_count:     0
    .args:
      - .actual_access:  write_only
        .address_space:  global
        .offset:         0
        .size:           8
        .value_kind:     global_buffer
      - .actual_access:  read_only
        .address_space:  global
        .offset:         8
        .size:           8
        .value_kind:     global_buffer
      - .actual_access:  read_only
        .address_space:  global
        .offset:         16
        .size:           8
        .value_kind:     global_buffer
      - .actual_access:  read_only
        .address_space:  global
        .offset:         24
        .size:           8
        .value_kind:     global_buffer
      - .offset:         32
        .size:           4
        .value_kind:     by_value
      - .offset:         40
        .size:           8
        .value_kind:     by_value
      - .offset:         48
        .size:           4
        .value_kind:     hidden_block_count_x
      - .offset:         52
        .size:           4
        .value_kind:     hidden_block_count_y
      - .offset:         56
        .size:           4
        .value_kind:     hidden_block_count_z
      - .offset:         60
        .size:           2
        .value_kind:     hidden_group_size_x
      - .offset:         62
        .size:           2
        .value_kind:     hidden_group_size_y
      - .offset:         64
        .size:           2
        .value_kind:     hidden_group_size_z
      - .offset:         66
        .size:           2
        .value_kind:     hidden_remainder_x
      - .offset:         68
        .size:           2
        .value_kind:     hidden_remainder_y
      - .offset:         70
        .size:           2
        .value_kind:     hidden_remainder_z
      - .offset:         88
        .size:           8
        .value_kind:     hidden_global_offset_x
      - .offset:         96
        .size:           8
        .value_kind:     hidden_global_offset_y
      - .offset:         104
        .size:           8
        .value_kind:     hidden_global_offset_z
      - .offset:         112
        .size:           2
        .value_kind:     hidden_grid_dims
    .group_segment_fixed_size: 0
    .kernarg_segment_align: 8
    .kernarg_segment_size: 304
    .language:       OpenCL C
    .language_version:
      - 2
      - 0
    .max_flat_workgroup_size: 1024
    .name:           _ZN5aiter23act_and_mul_bias_kernelIttlfTnPFfRKT2_EXadL_ZNS_11silu_kernelIfEEfRKT_EELi8EEEvPT0_PS8_PKT1_PS2_il
    .private_segment_fixed_size: 0
    .sgpr_count:     53
    .sgpr_spill_count: 0
    .symbol:         _ZN5aiter23act_and_mul_bias_kernelIttlfTnPFfRKT2_EXadL_ZNS_11silu_kernelIfEEfRKT_EELi8EEEvPT0_PS8_PKT1_PS2_il.kd
    .uniform_work_group_size: 1
    .uses_dynamic_stack: false
    .vgpr_count:     44
    .vgpr_spill_count: 0
    .wavefront_size: 64
  - .agpr_count:     0
    .args:
      - .actual_access:  write_only
        .address_space:  global
        .offset:         0
        .size:           8
        .value_kind:     global_buffer
      - .actual_access:  read_only
        .address_space:  global
        .offset:         8
        .size:           8
        .value_kind:     global_buffer
      - .actual_access:  read_only
        .address_space:  global
        .offset:         16
        .size:           8
        .value_kind:     global_buffer
      - .actual_access:  read_only
        .address_space:  global
        .offset:         24
        .size:           8
        .value_kind:     global_buffer
      - .offset:         32
        .size:           4
        .value_kind:     by_value
      - .offset:         40
        .size:           8
        .value_kind:     by_value
      - .offset:         48
        .size:           4
        .value_kind:     hidden_block_count_x
      - .offset:         52
        .size:           4
        .value_kind:     hidden_block_count_y
      - .offset:         56
        .size:           4
        .value_kind:     hidden_block_count_z
      - .offset:         60
        .size:           2
        .value_kind:     hidden_group_size_x
      - .offset:         62
        .size:           2
        .value_kind:     hidden_group_size_y
      - .offset:         64
        .size:           2
        .value_kind:     hidden_group_size_z
      - .offset:         66
        .size:           2
        .value_kind:     hidden_remainder_x
      - .offset:         68
        .size:           2
        .value_kind:     hidden_remainder_y
      - .offset:         70
        .size:           2
        .value_kind:     hidden_remainder_z
      - .offset:         88
        .size:           8
        .value_kind:     hidden_global_offset_x
      - .offset:         96
        .size:           8
        .value_kind:     hidden_global_offset_y
      - .offset:         104
        .size:           8
        .value_kind:     hidden_global_offset_z
      - .offset:         112
        .size:           2
        .value_kind:     hidden_grid_dims
    .group_segment_fixed_size: 0
    .kernarg_segment_align: 8
    .kernarg_segment_size: 304
    .language:       OpenCL C
    .language_version:
      - 2
      - 0
    .max_flat_workgroup_size: 1024
    .name:           _ZN5aiter23act_and_mul_bias_kernelIttlfTnPFfRKT2_EXadL_ZNS_11silu_kernelIfEEfRKT_EELi4EEEvPT0_PS8_PKT1_PS2_il
    .private_segment_fixed_size: 0
    .sgpr_count:     45
    .sgpr_spill_count: 0
    .symbol:         _ZN5aiter23act_and_mul_bias_kernelIttlfTnPFfRKT2_EXadL_ZNS_11silu_kernelIfEEfRKT_EELi4EEEvPT0_PS8_PKT1_PS2_il.kd
    .uniform_work_group_size: 1
    .uses_dynamic_stack: false
    .vgpr_count:     24
    .vgpr_spill_count: 0
    .wavefront_size: 64
  - .agpr_count:     0
    .args:
      - .actual_access:  write_only
        .address_space:  global
        .offset:         0
        .size:           8
        .value_kind:     global_buffer
      - .actual_access:  read_only
        .address_space:  global
        .offset:         8
        .size:           8
        .value_kind:     global_buffer
      - .actual_access:  read_only
        .address_space:  global
        .offset:         16
        .size:           8
        .value_kind:     global_buffer
      - .actual_access:  read_only
        .address_space:  global
        .offset:         24
        .size:           8
        .value_kind:     global_buffer
      - .offset:         32
        .size:           4
        .value_kind:     by_value
      - .offset:         40
        .size:           8
        .value_kind:     by_value
      - .offset:         48
        .size:           4
        .value_kind:     hidden_block_count_x
      - .offset:         52
        .size:           4
        .value_kind:     hidden_block_count_y
      - .offset:         56
        .size:           4
        .value_kind:     hidden_block_count_z
      - .offset:         60
        .size:           2
        .value_kind:     hidden_group_size_x
      - .offset:         62
        .size:           2
        .value_kind:     hidden_group_size_y
      - .offset:         64
        .size:           2
        .value_kind:     hidden_group_size_z
      - .offset:         66
        .size:           2
        .value_kind:     hidden_remainder_x
      - .offset:         68
        .size:           2
        .value_kind:     hidden_remainder_y
      - .offset:         70
        .size:           2
        .value_kind:     hidden_remainder_z
      - .offset:         88
        .size:           8
        .value_kind:     hidden_global_offset_x
      - .offset:         96
        .size:           8
        .value_kind:     hidden_global_offset_y
      - .offset:         104
        .size:           8
        .value_kind:     hidden_global_offset_z
      - .offset:         112
        .size:           2
        .value_kind:     hidden_grid_dims
    .group_segment_fixed_size: 0
    .kernarg_segment_align: 8
    .kernarg_segment_size: 304
    .language:       OpenCL C
    .language_version:
      - 2
      - 0
    .max_flat_workgroup_size: 1024
    .name:           _ZN5aiter23act_and_mul_bias_kernelIttlfTnPFfRKT2_EXadL_ZNS_11silu_kernelIfEEfRKT_EELi2EEEvPT0_PS8_PKT1_PS2_il
    .private_segment_fixed_size: 0
    .sgpr_count:     41
    .sgpr_spill_count: 0
    .symbol:         _ZN5aiter23act_and_mul_bias_kernelIttlfTnPFfRKT2_EXadL_ZNS_11silu_kernelIfEEfRKT_EELi2EEEvPT0_PS8_PKT1_PS2_il.kd
    .uniform_work_group_size: 1
    .uses_dynamic_stack: false
    .vgpr_count:     16
    .vgpr_spill_count: 0
    .wavefront_size: 64
  - .agpr_count:     0
    .args:
      - .actual_access:  write_only
        .address_space:  global
        .offset:         0
        .size:           8
        .value_kind:     global_buffer
      - .actual_access:  read_only
        .address_space:  global
        .offset:         8
        .size:           8
        .value_kind:     global_buffer
      - .actual_access:  read_only
        .address_space:  global
        .offset:         16
        .size:           8
        .value_kind:     global_buffer
      - .actual_access:  read_only
        .address_space:  global
        .offset:         24
        .size:           8
        .value_kind:     global_buffer
      - .offset:         32
        .size:           4
        .value_kind:     by_value
      - .offset:         40
        .size:           8
        .value_kind:     by_value
      - .offset:         48
        .size:           4
        .value_kind:     hidden_block_count_x
      - .offset:         52
        .size:           4
        .value_kind:     hidden_block_count_y
      - .offset:         56
        .size:           4
        .value_kind:     hidden_block_count_z
      - .offset:         60
        .size:           2
        .value_kind:     hidden_group_size_x
      - .offset:         62
        .size:           2
        .value_kind:     hidden_group_size_y
      - .offset:         64
        .size:           2
        .value_kind:     hidden_group_size_z
      - .offset:         66
        .size:           2
        .value_kind:     hidden_remainder_x
      - .offset:         68
        .size:           2
        .value_kind:     hidden_remainder_y
      - .offset:         70
        .size:           2
        .value_kind:     hidden_remainder_z
      - .offset:         88
        .size:           8
        .value_kind:     hidden_global_offset_x
      - .offset:         96
        .size:           8
        .value_kind:     hidden_global_offset_y
      - .offset:         104
        .size:           8
        .value_kind:     hidden_global_offset_z
      - .offset:         112
        .size:           2
        .value_kind:     hidden_grid_dims
    .group_segment_fixed_size: 0
    .kernarg_segment_align: 8
    .kernarg_segment_size: 304
    .language:       OpenCL C
    .language_version:
      - 2
      - 0
    .max_flat_workgroup_size: 1024
    .name:           _ZN5aiter23act_and_mul_bias_kernelIttlfTnPFfRKT2_EXadL_ZNS_11silu_kernelIfEEfRKT_EELi1EEEvPT0_PS8_PKT1_PS2_il
    .private_segment_fixed_size: 0
    .sgpr_count:     37
    .sgpr_spill_count: 0
    .symbol:         _ZN5aiter23act_and_mul_bias_kernelIttlfTnPFfRKT2_EXadL_ZNS_11silu_kernelIfEEfRKT_EELi1EEEvPT0_PS8_PKT1_PS2_il.kd
    .uniform_work_group_size: 1
    .uses_dynamic_stack: false
    .vgpr_count:     10
    .vgpr_spill_count: 0
    .wavefront_size: 64
  - .agpr_count:     0
    .args:
      - .actual_access:  write_only
        .address_space:  global
        .offset:         0
        .size:           8
        .value_kind:     global_buffer
      - .actual_access:  read_only
        .address_space:  global
        .offset:         8
        .size:           8
        .value_kind:     global_buffer
      - .actual_access:  read_only
        .address_space:  global
        .offset:         16
        .size:           8
        .value_kind:     global_buffer
      - .actual_access:  read_only
        .address_space:  global
        .offset:         24
        .size:           8
        .value_kind:     global_buffer
      - .offset:         32
        .size:           4
        .value_kind:     by_value
      - .offset:         40
        .size:           8
        .value_kind:     by_value
      - .offset:         48
        .size:           4
        .value_kind:     hidden_block_count_x
      - .offset:         52
        .size:           4
        .value_kind:     hidden_block_count_y
      - .offset:         56
        .size:           4
        .value_kind:     hidden_block_count_z
      - .offset:         60
        .size:           2
        .value_kind:     hidden_group_size_x
      - .offset:         62
        .size:           2
        .value_kind:     hidden_group_size_y
      - .offset:         64
        .size:           2
        .value_kind:     hidden_group_size_z
      - .offset:         66
        .size:           2
        .value_kind:     hidden_remainder_x
      - .offset:         68
        .size:           2
        .value_kind:     hidden_remainder_y
      - .offset:         70
        .size:           2
        .value_kind:     hidden_remainder_z
      - .offset:         88
        .size:           8
        .value_kind:     hidden_global_offset_x
      - .offset:         96
        .size:           8
        .value_kind:     hidden_global_offset_y
      - .offset:         104
        .size:           8
        .value_kind:     hidden_global_offset_z
      - .offset:         112
        .size:           2
        .value_kind:     hidden_grid_dims
    .group_segment_fixed_size: 0
    .kernarg_segment_align: 8
    .kernarg_segment_size: 304
    .language:       OpenCL C
    .language_version:
      - 2
      - 0
    .max_flat_workgroup_size: 1024
    .name:           _ZN5aiter30swiglu_act_and_mul_bias_kernelIfthfLi16EEEvPT0_PKT_PKT1_PKT2_il
    .private_segment_fixed_size: 0
    .sgpr_count:     96
    .sgpr_spill_count: 0
    .symbol:         _ZN5aiter30swiglu_act_and_mul_bias_kernelIfthfLi16EEEvPT0_PKT_PKT1_PKT2_il.kd
    .uniform_work_group_size: 1
    .uses_dynamic_stack: false
    .vgpr_count:     76
    .vgpr_spill_count: 0
    .wavefront_size: 64
  - .agpr_count:     0
    .args:
      - .actual_access:  write_only
        .address_space:  global
        .offset:         0
        .size:           8
        .value_kind:     global_buffer
      - .actual_access:  read_only
        .address_space:  global
        .offset:         8
        .size:           8
        .value_kind:     global_buffer
      - .actual_access:  read_only
        .address_space:  global
        .offset:         16
        .size:           8
        .value_kind:     global_buffer
      - .actual_access:  read_only
        .address_space:  global
        .offset:         24
        .size:           8
        .value_kind:     global_buffer
      - .offset:         32
        .size:           4
        .value_kind:     by_value
      - .offset:         40
        .size:           8
        .value_kind:     by_value
      - .offset:         48
        .size:           4
        .value_kind:     hidden_block_count_x
      - .offset:         52
        .size:           4
        .value_kind:     hidden_block_count_y
      - .offset:         56
        .size:           4
        .value_kind:     hidden_block_count_z
      - .offset:         60
        .size:           2
        .value_kind:     hidden_group_size_x
      - .offset:         62
        .size:           2
        .value_kind:     hidden_group_size_y
      - .offset:         64
        .size:           2
        .value_kind:     hidden_group_size_z
      - .offset:         66
        .size:           2
        .value_kind:     hidden_remainder_x
      - .offset:         68
        .size:           2
        .value_kind:     hidden_remainder_y
      - .offset:         70
        .size:           2
        .value_kind:     hidden_remainder_z
      - .offset:         88
        .size:           8
        .value_kind:     hidden_global_offset_x
      - .offset:         96
        .size:           8
        .value_kind:     hidden_global_offset_y
      - .offset:         104
        .size:           8
        .value_kind:     hidden_global_offset_z
      - .offset:         112
        .size:           2
        .value_kind:     hidden_grid_dims
    .group_segment_fixed_size: 0
    .kernarg_segment_align: 8
    .kernarg_segment_size: 304
    .language:       OpenCL C
    .language_version:
      - 2
      - 0
    .max_flat_workgroup_size: 1024
    .name:           _ZN5aiter30swiglu_act_and_mul_bias_kernelIfthfLi8EEEvPT0_PKT_PKT1_PKT2_il
    .private_segment_fixed_size: 0
    .sgpr_count:     54
    .sgpr_spill_count: 0
    .symbol:         _ZN5aiter30swiglu_act_and_mul_bias_kernelIfthfLi8EEEvPT0_PKT_PKT1_PKT2_il.kd
    .uniform_work_group_size: 1
    .uses_dynamic_stack: false
    .vgpr_count:     54
    .vgpr_spill_count: 0
    .wavefront_size: 64
  - .agpr_count:     0
    .args:
      - .actual_access:  write_only
        .address_space:  global
        .offset:         0
        .size:           8
        .value_kind:     global_buffer
      - .actual_access:  read_only
        .address_space:  global
        .offset:         8
        .size:           8
        .value_kind:     global_buffer
      - .actual_access:  read_only
        .address_space:  global
        .offset:         16
        .size:           8
        .value_kind:     global_buffer
      - .actual_access:  read_only
        .address_space:  global
        .offset:         24
        .size:           8
        .value_kind:     global_buffer
      - .offset:         32
        .size:           4
        .value_kind:     by_value
      - .offset:         40
        .size:           8
        .value_kind:     by_value
      - .offset:         48
        .size:           4
        .value_kind:     hidden_block_count_x
      - .offset:         52
        .size:           4
        .value_kind:     hidden_block_count_y
      - .offset:         56
        .size:           4
        .value_kind:     hidden_block_count_z
      - .offset:         60
        .size:           2
        .value_kind:     hidden_group_size_x
      - .offset:         62
        .size:           2
        .value_kind:     hidden_group_size_y
      - .offset:         64
        .size:           2
        .value_kind:     hidden_group_size_z
      - .offset:         66
        .size:           2
        .value_kind:     hidden_remainder_x
      - .offset:         68
        .size:           2
        .value_kind:     hidden_remainder_y
      - .offset:         70
        .size:           2
        .value_kind:     hidden_remainder_z
      - .offset:         88
        .size:           8
        .value_kind:     hidden_global_offset_x
      - .offset:         96
        .size:           8
        .value_kind:     hidden_global_offset_y
      - .offset:         104
        .size:           8
        .value_kind:     hidden_global_offset_z
      - .offset:         112
        .size:           2
        .value_kind:     hidden_grid_dims
    .group_segment_fixed_size: 0
    .kernarg_segment_align: 8
    .kernarg_segment_size: 304
    .language:       OpenCL C
    .language_version:
      - 2
      - 0
    .max_flat_workgroup_size: 1024
    .name:           _ZN5aiter30swiglu_act_and_mul_bias_kernelIfthfLi4EEEvPT0_PKT_PKT1_PKT2_il
    .private_segment_fixed_size: 0
    .sgpr_count:     46
    .sgpr_spill_count: 0
    .symbol:         _ZN5aiter30swiglu_act_and_mul_bias_kernelIfthfLi4EEEvPT0_PKT_PKT1_PKT2_il.kd
    .uniform_work_group_size: 1
    .uses_dynamic_stack: false
    .vgpr_count:     30
    .vgpr_spill_count: 0
    .wavefront_size: 64
  - .agpr_count:     0
    .args:
      - .actual_access:  write_only
        .address_space:  global
        .offset:         0
        .size:           8
        .value_kind:     global_buffer
      - .actual_access:  read_only
        .address_space:  global
        .offset:         8
        .size:           8
        .value_kind:     global_buffer
      - .actual_access:  read_only
        .address_space:  global
        .offset:         16
        .size:           8
        .value_kind:     global_buffer
      - .actual_access:  read_only
        .address_space:  global
        .offset:         24
        .size:           8
        .value_kind:     global_buffer
      - .offset:         32
        .size:           4
        .value_kind:     by_value
      - .offset:         40
        .size:           8
        .value_kind:     by_value
      - .offset:         48
        .size:           4
        .value_kind:     hidden_block_count_x
      - .offset:         52
        .size:           4
        .value_kind:     hidden_block_count_y
      - .offset:         56
        .size:           4
        .value_kind:     hidden_block_count_z
      - .offset:         60
        .size:           2
        .value_kind:     hidden_group_size_x
      - .offset:         62
        .size:           2
        .value_kind:     hidden_group_size_y
      - .offset:         64
        .size:           2
        .value_kind:     hidden_group_size_z
      - .offset:         66
        .size:           2
        .value_kind:     hidden_remainder_x
      - .offset:         68
        .size:           2
        .value_kind:     hidden_remainder_y
      - .offset:         70
        .size:           2
        .value_kind:     hidden_remainder_z
      - .offset:         88
        .size:           8
        .value_kind:     hidden_global_offset_x
      - .offset:         96
        .size:           8
        .value_kind:     hidden_global_offset_y
      - .offset:         104
        .size:           8
        .value_kind:     hidden_global_offset_z
      - .offset:         112
        .size:           2
        .value_kind:     hidden_grid_dims
    .group_segment_fixed_size: 0
    .kernarg_segment_align: 8
    .kernarg_segment_size: 304
    .language:       OpenCL C
    .language_version:
      - 2
      - 0
    .max_flat_workgroup_size: 1024
    .name:           _ZN5aiter30swiglu_act_and_mul_bias_kernelIfthfLi2EEEvPT0_PKT_PKT1_PKT2_il
    .private_segment_fixed_size: 0
    .sgpr_count:     42
    .sgpr_spill_count: 0
    .symbol:         _ZN5aiter30swiglu_act_and_mul_bias_kernelIfthfLi2EEEvPT0_PKT_PKT1_PKT2_il.kd
    .uniform_work_group_size: 1
    .uses_dynamic_stack: false
    .vgpr_count:     18
    .vgpr_spill_count: 0
    .wavefront_size: 64
  - .agpr_count:     0
    .args:
      - .actual_access:  write_only
        .address_space:  global
        .offset:         0
        .size:           8
        .value_kind:     global_buffer
      - .actual_access:  read_only
        .address_space:  global
        .offset:         8
        .size:           8
        .value_kind:     global_buffer
      - .actual_access:  read_only
        .address_space:  global
        .offset:         16
        .size:           8
        .value_kind:     global_buffer
      - .actual_access:  read_only
        .address_space:  global
        .offset:         24
        .size:           8
        .value_kind:     global_buffer
      - .offset:         32
        .size:           4
        .value_kind:     by_value
      - .offset:         40
        .size:           8
        .value_kind:     by_value
      - .offset:         48
        .size:           4
        .value_kind:     hidden_block_count_x
      - .offset:         52
        .size:           4
        .value_kind:     hidden_block_count_y
      - .offset:         56
        .size:           4
        .value_kind:     hidden_block_count_z
      - .offset:         60
        .size:           2
        .value_kind:     hidden_group_size_x
      - .offset:         62
        .size:           2
        .value_kind:     hidden_group_size_y
      - .offset:         64
        .size:           2
        .value_kind:     hidden_group_size_z
      - .offset:         66
        .size:           2
        .value_kind:     hidden_remainder_x
      - .offset:         68
        .size:           2
        .value_kind:     hidden_remainder_y
      - .offset:         70
        .size:           2
        .value_kind:     hidden_remainder_z
      - .offset:         88
        .size:           8
        .value_kind:     hidden_global_offset_x
      - .offset:         96
        .size:           8
        .value_kind:     hidden_global_offset_y
      - .offset:         104
        .size:           8
        .value_kind:     hidden_global_offset_z
      - .offset:         112
        .size:           2
        .value_kind:     hidden_grid_dims
    .group_segment_fixed_size: 0
    .kernarg_segment_align: 8
    .kernarg_segment_size: 304
    .language:       OpenCL C
    .language_version:
      - 2
      - 0
    .max_flat_workgroup_size: 1024
    .name:           _ZN5aiter30swiglu_act_and_mul_bias_kernelIfthfLi1EEEvPT0_PKT_PKT1_PKT2_il
    .private_segment_fixed_size: 0
    .sgpr_count:     37
    .sgpr_spill_count: 0
    .symbol:         _ZN5aiter30swiglu_act_and_mul_bias_kernelIfthfLi1EEEvPT0_PKT_PKT1_PKT2_il.kd
    .uniform_work_group_size: 1
    .uses_dynamic_stack: false
    .vgpr_count:     11
    .vgpr_spill_count: 0
    .wavefront_size: 64
  - .agpr_count:     0
    .args:
      - .actual_access:  write_only
        .address_space:  global
        .offset:         0
        .size:           8
        .value_kind:     global_buffer
      - .actual_access:  read_only
        .address_space:  global
        .offset:         8
        .size:           8
        .value_kind:     global_buffer
      - .actual_access:  read_only
        .address_space:  global
        .offset:         16
        .size:           8
        .value_kind:     global_buffer
      - .actual_access:  read_only
        .address_space:  global
        .offset:         24
        .size:           8
        .value_kind:     global_buffer
      - .offset:         32
        .size:           4
        .value_kind:     by_value
      - .offset:         40
        .size:           8
        .value_kind:     by_value
      - .offset:         48
        .size:           4
        .value_kind:     hidden_block_count_x
      - .offset:         52
        .size:           4
        .value_kind:     hidden_block_count_y
      - .offset:         56
        .size:           4
        .value_kind:     hidden_block_count_z
      - .offset:         60
        .size:           2
        .value_kind:     hidden_group_size_x
      - .offset:         62
        .size:           2
        .value_kind:     hidden_group_size_y
      - .offset:         64
        .size:           2
        .value_kind:     hidden_group_size_z
      - .offset:         66
        .size:           2
        .value_kind:     hidden_remainder_x
      - .offset:         68
        .size:           2
        .value_kind:     hidden_remainder_y
      - .offset:         70
        .size:           2
        .value_kind:     hidden_remainder_z
      - .offset:         88
        .size:           8
        .value_kind:     hidden_global_offset_x
      - .offset:         96
        .size:           8
        .value_kind:     hidden_global_offset_y
      - .offset:         104
        .size:           8
        .value_kind:     hidden_global_offset_z
      - .offset:         112
        .size:           2
        .value_kind:     hidden_grid_dims
    .group_segment_fixed_size: 0
    .kernarg_segment_align: 8
    .kernarg_segment_size: 304
    .language:       OpenCL C
    .language_version:
      - 2
      - 0
    .max_flat_workgroup_size: 1024
    .name:           _ZN5aiter30swiglu_act_and_mul_bias_kernelIfDF16_hfLi16EEEvPT0_PKT_PKT1_PKT2_il
    .private_segment_fixed_size: 0
    .sgpr_count:     81
    .sgpr_spill_count: 0
    .symbol:         _ZN5aiter30swiglu_act_and_mul_bias_kernelIfDF16_hfLi16EEEvPT0_PKT_PKT1_PKT2_il.kd
    .uniform_work_group_size: 1
    .uses_dynamic_stack: false
    .vgpr_count:     61
    .vgpr_spill_count: 0
    .wavefront_size: 64
  - .agpr_count:     0
    .args:
      - .actual_access:  write_only
        .address_space:  global
        .offset:         0
        .size:           8
        .value_kind:     global_buffer
      - .actual_access:  read_only
        .address_space:  global
        .offset:         8
        .size:           8
        .value_kind:     global_buffer
      - .actual_access:  read_only
        .address_space:  global
        .offset:         16
        .size:           8
        .value_kind:     global_buffer
      - .actual_access:  read_only
        .address_space:  global
        .offset:         24
        .size:           8
        .value_kind:     global_buffer
      - .offset:         32
        .size:           4
        .value_kind:     by_value
      - .offset:         40
        .size:           8
        .value_kind:     by_value
      - .offset:         48
        .size:           4
        .value_kind:     hidden_block_count_x
      - .offset:         52
        .size:           4
        .value_kind:     hidden_block_count_y
      - .offset:         56
        .size:           4
        .value_kind:     hidden_block_count_z
      - .offset:         60
        .size:           2
        .value_kind:     hidden_group_size_x
      - .offset:         62
        .size:           2
        .value_kind:     hidden_group_size_y
      - .offset:         64
        .size:           2
        .value_kind:     hidden_group_size_z
      - .offset:         66
        .size:           2
        .value_kind:     hidden_remainder_x
      - .offset:         68
        .size:           2
        .value_kind:     hidden_remainder_y
      - .offset:         70
        .size:           2
        .value_kind:     hidden_remainder_z
      - .offset:         88
        .size:           8
        .value_kind:     hidden_global_offset_x
      - .offset:         96
        .size:           8
        .value_kind:     hidden_global_offset_y
      - .offset:         104
        .size:           8
        .value_kind:     hidden_global_offset_z
      - .offset:         112
        .size:           2
        .value_kind:     hidden_grid_dims
    .group_segment_fixed_size: 0
    .kernarg_segment_align: 8
    .kernarg_segment_size: 304
    .language:       OpenCL C
    .language_version:
      - 2
      - 0
    .max_flat_workgroup_size: 1024
    .name:           _ZN5aiter30swiglu_act_and_mul_bias_kernelIfDF16_hfLi8EEEvPT0_PKT_PKT1_PKT2_il
    .private_segment_fixed_size: 0
    .sgpr_count:     53
    .sgpr_spill_count: 0
    .symbol:         _ZN5aiter30swiglu_act_and_mul_bias_kernelIfDF16_hfLi8EEEvPT0_PKT_PKT1_PKT2_il.kd
    .uniform_work_group_size: 1
    .uses_dynamic_stack: false
    .vgpr_count:     54
    .vgpr_spill_count: 0
    .wavefront_size: 64
  - .agpr_count:     0
    .args:
      - .actual_access:  write_only
        .address_space:  global
        .offset:         0
        .size:           8
        .value_kind:     global_buffer
      - .actual_access:  read_only
        .address_space:  global
        .offset:         8
        .size:           8
        .value_kind:     global_buffer
      - .actual_access:  read_only
        .address_space:  global
        .offset:         16
        .size:           8
        .value_kind:     global_buffer
      - .actual_access:  read_only
        .address_space:  global
        .offset:         24
        .size:           8
        .value_kind:     global_buffer
      - .offset:         32
        .size:           4
        .value_kind:     by_value
      - .offset:         40
        .size:           8
        .value_kind:     by_value
      - .offset:         48
        .size:           4
        .value_kind:     hidden_block_count_x
      - .offset:         52
        .size:           4
        .value_kind:     hidden_block_count_y
      - .offset:         56
        .size:           4
        .value_kind:     hidden_block_count_z
      - .offset:         60
        .size:           2
        .value_kind:     hidden_group_size_x
      - .offset:         62
        .size:           2
        .value_kind:     hidden_group_size_y
      - .offset:         64
        .size:           2
        .value_kind:     hidden_group_size_z
      - .offset:         66
        .size:           2
        .value_kind:     hidden_remainder_x
      - .offset:         68
        .size:           2
        .value_kind:     hidden_remainder_y
      - .offset:         70
        .size:           2
        .value_kind:     hidden_remainder_z
      - .offset:         88
        .size:           8
        .value_kind:     hidden_global_offset_x
      - .offset:         96
        .size:           8
        .value_kind:     hidden_global_offset_y
      - .offset:         104
        .size:           8
        .value_kind:     hidden_global_offset_z
      - .offset:         112
        .size:           2
        .value_kind:     hidden_grid_dims
    .group_segment_fixed_size: 0
    .kernarg_segment_align: 8
    .kernarg_segment_size: 304
    .language:       OpenCL C
    .language_version:
      - 2
      - 0
    .max_flat_workgroup_size: 1024
    .name:           _ZN5aiter30swiglu_act_and_mul_bias_kernelIfDF16_hfLi4EEEvPT0_PKT_PKT1_PKT2_il
    .private_segment_fixed_size: 0
    .sgpr_count:     47
    .sgpr_spill_count: 0
    .symbol:         _ZN5aiter30swiglu_act_and_mul_bias_kernelIfDF16_hfLi4EEEvPT0_PKT_PKT1_PKT2_il.kd
    .uniform_work_group_size: 1
    .uses_dynamic_stack: false
    .vgpr_count:     30
    .vgpr_spill_count: 0
    .wavefront_size: 64
  - .agpr_count:     0
    .args:
      - .actual_access:  write_only
        .address_space:  global
        .offset:         0
        .size:           8
        .value_kind:     global_buffer
      - .actual_access:  read_only
        .address_space:  global
        .offset:         8
        .size:           8
        .value_kind:     global_buffer
      - .actual_access:  read_only
        .address_space:  global
        .offset:         16
        .size:           8
        .value_kind:     global_buffer
      - .actual_access:  read_only
        .address_space:  global
        .offset:         24
        .size:           8
        .value_kind:     global_buffer
      - .offset:         32
        .size:           4
        .value_kind:     by_value
      - .offset:         40
        .size:           8
        .value_kind:     by_value
      - .offset:         48
        .size:           4
        .value_kind:     hidden_block_count_x
      - .offset:         52
        .size:           4
        .value_kind:     hidden_block_count_y
      - .offset:         56
        .size:           4
        .value_kind:     hidden_block_count_z
      - .offset:         60
        .size:           2
        .value_kind:     hidden_group_size_x
      - .offset:         62
        .size:           2
        .value_kind:     hidden_group_size_y
      - .offset:         64
        .size:           2
        .value_kind:     hidden_group_size_z
      - .offset:         66
        .size:           2
        .value_kind:     hidden_remainder_x
      - .offset:         68
        .size:           2
        .value_kind:     hidden_remainder_y
      - .offset:         70
        .size:           2
        .value_kind:     hidden_remainder_z
      - .offset:         88
        .size:           8
        .value_kind:     hidden_global_offset_x
      - .offset:         96
        .size:           8
        .value_kind:     hidden_global_offset_y
      - .offset:         104
        .size:           8
        .value_kind:     hidden_global_offset_z
      - .offset:         112
        .size:           2
        .value_kind:     hidden_grid_dims
    .group_segment_fixed_size: 0
    .kernarg_segment_align: 8
    .kernarg_segment_size: 304
    .language:       OpenCL C
    .language_version:
      - 2
      - 0
    .max_flat_workgroup_size: 1024
    .name:           _ZN5aiter30swiglu_act_and_mul_bias_kernelIfDF16_hfLi2EEEvPT0_PKT_PKT1_PKT2_il
    .private_segment_fixed_size: 0
    .sgpr_count:     41
    .sgpr_spill_count: 0
    .symbol:         _ZN5aiter30swiglu_act_and_mul_bias_kernelIfDF16_hfLi2EEEvPT0_PKT_PKT1_PKT2_il.kd
    .uniform_work_group_size: 1
    .uses_dynamic_stack: false
    .vgpr_count:     18
    .vgpr_spill_count: 0
    .wavefront_size: 64
  - .agpr_count:     0
    .args:
      - .actual_access:  write_only
        .address_space:  global
        .offset:         0
        .size:           8
        .value_kind:     global_buffer
      - .actual_access:  read_only
        .address_space:  global
        .offset:         8
        .size:           8
        .value_kind:     global_buffer
      - .actual_access:  read_only
        .address_space:  global
        .offset:         16
        .size:           8
        .value_kind:     global_buffer
      - .actual_access:  read_only
        .address_space:  global
        .offset:         24
        .size:           8
        .value_kind:     global_buffer
      - .offset:         32
        .size:           4
        .value_kind:     by_value
      - .offset:         40
        .size:           8
        .value_kind:     by_value
      - .offset:         48
        .size:           4
        .value_kind:     hidden_block_count_x
      - .offset:         52
        .size:           4
        .value_kind:     hidden_block_count_y
      - .offset:         56
        .size:           4
        .value_kind:     hidden_block_count_z
      - .offset:         60
        .size:           2
        .value_kind:     hidden_group_size_x
      - .offset:         62
        .size:           2
        .value_kind:     hidden_group_size_y
      - .offset:         64
        .size:           2
        .value_kind:     hidden_group_size_z
      - .offset:         66
        .size:           2
        .value_kind:     hidden_remainder_x
      - .offset:         68
        .size:           2
        .value_kind:     hidden_remainder_y
      - .offset:         70
        .size:           2
        .value_kind:     hidden_remainder_z
      - .offset:         88
        .size:           8
        .value_kind:     hidden_global_offset_x
      - .offset:         96
        .size:           8
        .value_kind:     hidden_global_offset_y
      - .offset:         104
        .size:           8
        .value_kind:     hidden_global_offset_z
      - .offset:         112
        .size:           2
        .value_kind:     hidden_grid_dims
    .group_segment_fixed_size: 0
    .kernarg_segment_align: 8
    .kernarg_segment_size: 304
    .language:       OpenCL C
    .language_version:
      - 2
      - 0
    .max_flat_workgroup_size: 1024
    .name:           _ZN5aiter30swiglu_act_and_mul_bias_kernelIfDF16_hfLi1EEEvPT0_PKT_PKT1_PKT2_il
    .private_segment_fixed_size: 0
    .sgpr_count:     37
    .sgpr_spill_count: 0
    .symbol:         _ZN5aiter30swiglu_act_and_mul_bias_kernelIfDF16_hfLi1EEEvPT0_PKT_PKT1_PKT2_il.kd
    .uniform_work_group_size: 1
    .uses_dynamic_stack: false
    .vgpr_count:     11
    .vgpr_spill_count: 0
    .wavefront_size: 64
  - .agpr_count:     0
    .args:
      - .actual_access:  write_only
        .address_space:  global
        .offset:         0
        .size:           8
        .value_kind:     global_buffer
      - .actual_access:  read_only
        .address_space:  global
        .offset:         8
        .size:           8
        .value_kind:     global_buffer
      - .actual_access:  read_only
        .address_space:  global
        .offset:         16
        .size:           8
        .value_kind:     global_buffer
      - .actual_access:  read_only
        .address_space:  global
        .offset:         24
        .size:           8
        .value_kind:     global_buffer
      - .offset:         32
        .size:           4
        .value_kind:     by_value
      - .offset:         40
        .size:           8
        .value_kind:     by_value
      - .offset:         48
        .size:           4
        .value_kind:     hidden_block_count_x
      - .offset:         52
        .size:           4
        .value_kind:     hidden_block_count_y
      - .offset:         56
        .size:           4
        .value_kind:     hidden_block_count_z
      - .offset:         60
        .size:           2
        .value_kind:     hidden_group_size_x
      - .offset:         62
        .size:           2
        .value_kind:     hidden_group_size_y
      - .offset:         64
        .size:           2
        .value_kind:     hidden_group_size_z
      - .offset:         66
        .size:           2
        .value_kind:     hidden_remainder_x
      - .offset:         68
        .size:           2
        .value_kind:     hidden_remainder_y
      - .offset:         70
        .size:           2
        .value_kind:     hidden_remainder_z
      - .offset:         88
        .size:           8
        .value_kind:     hidden_global_offset_x
      - .offset:         96
        .size:           8
        .value_kind:     hidden_global_offset_y
      - .offset:         104
        .size:           8
        .value_kind:     hidden_global_offset_z
      - .offset:         112
        .size:           2
        .value_kind:     hidden_grid_dims
    .group_segment_fixed_size: 0
    .kernarg_segment_align: 8
    .kernarg_segment_size: 304
    .language:       OpenCL C
    .language_version:
      - 2
      - 0
    .max_flat_workgroup_size: 1024
    .name:           _ZN5aiter30swiglu_act_and_mul_bias_kernelIffhfLi16EEEvPT0_PKT_PKT1_PKT2_il
    .private_segment_fixed_size: 0
    .sgpr_count:     40
    .sgpr_spill_count: 0
    .symbol:         _ZN5aiter30swiglu_act_and_mul_bias_kernelIffhfLi16EEEvPT0_PKT_PKT1_PKT2_il.kd
    .uniform_work_group_size: 1
    .uses_dynamic_stack: false
    .vgpr_count:     60
    .vgpr_spill_count: 0
    .wavefront_size: 64
  - .agpr_count:     0
    .args:
      - .actual_access:  write_only
        .address_space:  global
        .offset:         0
        .size:           8
        .value_kind:     global_buffer
      - .actual_access:  read_only
        .address_space:  global
        .offset:         8
        .size:           8
        .value_kind:     global_buffer
      - .actual_access:  read_only
        .address_space:  global
        .offset:         16
        .size:           8
        .value_kind:     global_buffer
      - .actual_access:  read_only
        .address_space:  global
        .offset:         24
        .size:           8
        .value_kind:     global_buffer
      - .offset:         32
        .size:           4
        .value_kind:     by_value
      - .offset:         40
        .size:           8
        .value_kind:     by_value
      - .offset:         48
        .size:           4
        .value_kind:     hidden_block_count_x
      - .offset:         52
        .size:           4
        .value_kind:     hidden_block_count_y
      - .offset:         56
        .size:           4
        .value_kind:     hidden_block_count_z
      - .offset:         60
        .size:           2
        .value_kind:     hidden_group_size_x
      - .offset:         62
        .size:           2
        .value_kind:     hidden_group_size_y
      - .offset:         64
        .size:           2
        .value_kind:     hidden_group_size_z
      - .offset:         66
        .size:           2
        .value_kind:     hidden_remainder_x
      - .offset:         68
        .size:           2
        .value_kind:     hidden_remainder_y
      - .offset:         70
        .size:           2
        .value_kind:     hidden_remainder_z
      - .offset:         88
        .size:           8
        .value_kind:     hidden_global_offset_x
      - .offset:         96
        .size:           8
        .value_kind:     hidden_global_offset_y
      - .offset:         104
        .size:           8
        .value_kind:     hidden_global_offset_z
      - .offset:         112
        .size:           2
        .value_kind:     hidden_grid_dims
    .group_segment_fixed_size: 0
    .kernarg_segment_align: 8
    .kernarg_segment_size: 304
    .language:       OpenCL C
    .language_version:
      - 2
      - 0
    .max_flat_workgroup_size: 1024
    .name:           _ZN5aiter30swiglu_act_and_mul_bias_kernelIffhfLi8EEEvPT0_PKT_PKT1_PKT2_il
    .private_segment_fixed_size: 0
    .sgpr_count:     37
    .sgpr_spill_count: 0
    .symbol:         _ZN5aiter30swiglu_act_and_mul_bias_kernelIffhfLi8EEEvPT0_PKT_PKT1_PKT2_il.kd
    .uniform_work_group_size: 1
    .uses_dynamic_stack: false
    .vgpr_count:     47
    .vgpr_spill_count: 0
    .wavefront_size: 64
  - .agpr_count:     0
    .args:
      - .actual_access:  write_only
        .address_space:  global
        .offset:         0
        .size:           8
        .value_kind:     global_buffer
      - .actual_access:  read_only
        .address_space:  global
        .offset:         8
        .size:           8
        .value_kind:     global_buffer
      - .actual_access:  read_only
        .address_space:  global
        .offset:         16
        .size:           8
        .value_kind:     global_buffer
      - .actual_access:  read_only
        .address_space:  global
        .offset:         24
        .size:           8
        .value_kind:     global_buffer
      - .offset:         32
        .size:           4
        .value_kind:     by_value
      - .offset:         40
        .size:           8
        .value_kind:     by_value
      - .offset:         48
        .size:           4
        .value_kind:     hidden_block_count_x
      - .offset:         52
        .size:           4
        .value_kind:     hidden_block_count_y
      - .offset:         56
        .size:           4
        .value_kind:     hidden_block_count_z
      - .offset:         60
        .size:           2
        .value_kind:     hidden_group_size_x
      - .offset:         62
        .size:           2
        .value_kind:     hidden_group_size_y
      - .offset:         64
        .size:           2
        .value_kind:     hidden_group_size_z
      - .offset:         66
        .size:           2
        .value_kind:     hidden_remainder_x
      - .offset:         68
        .size:           2
        .value_kind:     hidden_remainder_y
      - .offset:         70
        .size:           2
        .value_kind:     hidden_remainder_z
      - .offset:         88
        .size:           8
        .value_kind:     hidden_global_offset_x
      - .offset:         96
        .size:           8
        .value_kind:     hidden_global_offset_y
      - .offset:         104
        .size:           8
        .value_kind:     hidden_global_offset_z
      - .offset:         112
        .size:           2
        .value_kind:     hidden_grid_dims
    .group_segment_fixed_size: 0
    .kernarg_segment_align: 8
    .kernarg_segment_size: 304
    .language:       OpenCL C
    .language_version:
      - 2
      - 0
    .max_flat_workgroup_size: 1024
    .name:           _ZN5aiter30swiglu_act_and_mul_bias_kernelIffhfLi4EEEvPT0_PKT_PKT1_PKT2_il
    .private_segment_fixed_size: 0
    .sgpr_count:     37
    .sgpr_spill_count: 0
    .symbol:         _ZN5aiter30swiglu_act_and_mul_bias_kernelIffhfLi4EEEvPT0_PKT_PKT1_PKT2_il.kd
    .uniform_work_group_size: 1
    .uses_dynamic_stack: false
    .vgpr_count:     29
    .vgpr_spill_count: 0
    .wavefront_size: 64
  - .agpr_count:     0
    .args:
      - .actual_access:  write_only
        .address_space:  global
        .offset:         0
        .size:           8
        .value_kind:     global_buffer
      - .actual_access:  read_only
        .address_space:  global
        .offset:         8
        .size:           8
        .value_kind:     global_buffer
      - .actual_access:  read_only
        .address_space:  global
        .offset:         16
        .size:           8
        .value_kind:     global_buffer
      - .actual_access:  read_only
        .address_space:  global
        .offset:         24
        .size:           8
        .value_kind:     global_buffer
      - .offset:         32
        .size:           4
        .value_kind:     by_value
      - .offset:         40
        .size:           8
        .value_kind:     by_value
      - .offset:         48
        .size:           4
        .value_kind:     hidden_block_count_x
      - .offset:         52
        .size:           4
        .value_kind:     hidden_block_count_y
      - .offset:         56
        .size:           4
        .value_kind:     hidden_block_count_z
      - .offset:         60
        .size:           2
        .value_kind:     hidden_group_size_x
      - .offset:         62
        .size:           2
        .value_kind:     hidden_group_size_y
      - .offset:         64
        .size:           2
        .value_kind:     hidden_group_size_z
      - .offset:         66
        .size:           2
        .value_kind:     hidden_remainder_x
      - .offset:         68
        .size:           2
        .value_kind:     hidden_remainder_y
      - .offset:         70
        .size:           2
        .value_kind:     hidden_remainder_z
      - .offset:         88
        .size:           8
        .value_kind:     hidden_global_offset_x
      - .offset:         96
        .size:           8
        .value_kind:     hidden_global_offset_y
      - .offset:         104
        .size:           8
        .value_kind:     hidden_global_offset_z
      - .offset:         112
        .size:           2
        .value_kind:     hidden_grid_dims
    .group_segment_fixed_size: 0
    .kernarg_segment_align: 8
    .kernarg_segment_size: 304
    .language:       OpenCL C
    .language_version:
      - 2
      - 0
    .max_flat_workgroup_size: 1024
    .name:           _ZN5aiter30swiglu_act_and_mul_bias_kernelIffhfLi2EEEvPT0_PKT_PKT1_PKT2_il
    .private_segment_fixed_size: 0
    .sgpr_count:     37
    .sgpr_spill_count: 0
    .symbol:         _ZN5aiter30swiglu_act_and_mul_bias_kernelIffhfLi2EEEvPT0_PKT_PKT1_PKT2_il.kd
    .uniform_work_group_size: 1
    .uses_dynamic_stack: false
    .vgpr_count:     19
    .vgpr_spill_count: 0
    .wavefront_size: 64
  - .agpr_count:     0
    .args:
      - .actual_access:  write_only
        .address_space:  global
        .offset:         0
        .size:           8
        .value_kind:     global_buffer
      - .actual_access:  read_only
        .address_space:  global
        .offset:         8
        .size:           8
        .value_kind:     global_buffer
      - .actual_access:  read_only
        .address_space:  global
        .offset:         16
        .size:           8
        .value_kind:     global_buffer
      - .actual_access:  read_only
        .address_space:  global
        .offset:         24
        .size:           8
        .value_kind:     global_buffer
      - .offset:         32
        .size:           4
        .value_kind:     by_value
      - .offset:         40
        .size:           8
        .value_kind:     by_value
      - .offset:         48
        .size:           4
        .value_kind:     hidden_block_count_x
      - .offset:         52
        .size:           4
        .value_kind:     hidden_block_count_y
      - .offset:         56
        .size:           4
        .value_kind:     hidden_block_count_z
      - .offset:         60
        .size:           2
        .value_kind:     hidden_group_size_x
      - .offset:         62
        .size:           2
        .value_kind:     hidden_group_size_y
      - .offset:         64
        .size:           2
        .value_kind:     hidden_group_size_z
      - .offset:         66
        .size:           2
        .value_kind:     hidden_remainder_x
      - .offset:         68
        .size:           2
        .value_kind:     hidden_remainder_y
      - .offset:         70
        .size:           2
        .value_kind:     hidden_remainder_z
      - .offset:         88
        .size:           8
        .value_kind:     hidden_global_offset_x
      - .offset:         96
        .size:           8
        .value_kind:     hidden_global_offset_y
      - .offset:         104
        .size:           8
        .value_kind:     hidden_global_offset_z
      - .offset:         112
        .size:           2
        .value_kind:     hidden_grid_dims
    .group_segment_fixed_size: 0
    .kernarg_segment_align: 8
    .kernarg_segment_size: 304
    .language:       OpenCL C
    .language_version:
      - 2
      - 0
    .max_flat_workgroup_size: 1024
    .name:           _ZN5aiter30swiglu_act_and_mul_bias_kernelIffhfLi1EEEvPT0_PKT_PKT1_PKT2_il
    .private_segment_fixed_size: 0
    .sgpr_count:     36
    .sgpr_spill_count: 0
    .symbol:         _ZN5aiter30swiglu_act_and_mul_bias_kernelIffhfLi1EEEvPT0_PKT_PKT1_PKT2_il.kd
    .uniform_work_group_size: 1
    .uses_dynamic_stack: false
    .vgpr_count:     11
    .vgpr_spill_count: 0
    .wavefront_size: 64
  - .agpr_count:     0
    .args:
      - .actual_access:  write_only
        .address_space:  global
        .offset:         0
        .size:           8
        .value_kind:     global_buffer
      - .actual_access:  read_only
        .address_space:  global
        .offset:         8
        .size:           8
        .value_kind:     global_buffer
      - .actual_access:  read_only
        .address_space:  global
        .offset:         16
        .size:           8
        .value_kind:     global_buffer
      - .actual_access:  read_only
        .address_space:  global
        .offset:         24
        .size:           8
        .value_kind:     global_buffer
      - .offset:         32
        .size:           4
        .value_kind:     by_value
      - .offset:         40
        .size:           8
        .value_kind:     by_value
      - .offset:         48
        .size:           4
        .value_kind:     hidden_block_count_x
      - .offset:         52
        .size:           4
        .value_kind:     hidden_block_count_y
      - .offset:         56
        .size:           4
        .value_kind:     hidden_block_count_z
      - .offset:         60
        .size:           2
        .value_kind:     hidden_group_size_x
      - .offset:         62
        .size:           2
        .value_kind:     hidden_group_size_y
      - .offset:         64
        .size:           2
        .value_kind:     hidden_group_size_z
      - .offset:         66
        .size:           2
        .value_kind:     hidden_remainder_x
      - .offset:         68
        .size:           2
        .value_kind:     hidden_remainder_y
      - .offset:         70
        .size:           2
        .value_kind:     hidden_remainder_z
      - .offset:         88
        .size:           8
        .value_kind:     hidden_global_offset_x
      - .offset:         96
        .size:           8
        .value_kind:     hidden_global_offset_y
      - .offset:         104
        .size:           8
        .value_kind:     hidden_global_offset_z
      - .offset:         112
        .size:           2
        .value_kind:     hidden_grid_dims
    .group_segment_fixed_size: 0
    .kernarg_segment_align: 8
    .kernarg_segment_size: 304
    .language:       OpenCL C
    .language_version:
      - 2
      - 0
    .max_flat_workgroup_size: 1024
    .name:           _ZN5aiter30swiglu_act_and_mul_bias_kernelIDF16_DF16_hfLi32EEEvPT0_PKT_PKT1_PKT2_il
    .private_segment_fixed_size: 0
    .sgpr_count:     44
    .sgpr_spill_count: 0
    .symbol:         _ZN5aiter30swiglu_act_and_mul_bias_kernelIDF16_DF16_hfLi32EEEvPT0_PKT_PKT1_PKT2_il.kd
    .uniform_work_group_size: 1
    .uses_dynamic_stack: false
    .vgpr_count:     61
    .vgpr_spill_count: 0
    .wavefront_size: 64
  - .agpr_count:     0
    .args:
      - .actual_access:  write_only
        .address_space:  global
        .offset:         0
        .size:           8
        .value_kind:     global_buffer
      - .actual_access:  read_only
        .address_space:  global
        .offset:         8
        .size:           8
        .value_kind:     global_buffer
      - .actual_access:  read_only
        .address_space:  global
        .offset:         16
        .size:           8
        .value_kind:     global_buffer
      - .actual_access:  read_only
        .address_space:  global
        .offset:         24
        .size:           8
        .value_kind:     global_buffer
      - .offset:         32
        .size:           4
        .value_kind:     by_value
      - .offset:         40
        .size:           8
        .value_kind:     by_value
      - .offset:         48
        .size:           4
        .value_kind:     hidden_block_count_x
      - .offset:         52
        .size:           4
        .value_kind:     hidden_block_count_y
      - .offset:         56
        .size:           4
        .value_kind:     hidden_block_count_z
      - .offset:         60
        .size:           2
        .value_kind:     hidden_group_size_x
      - .offset:         62
        .size:           2
        .value_kind:     hidden_group_size_y
      - .offset:         64
        .size:           2
        .value_kind:     hidden_group_size_z
      - .offset:         66
        .size:           2
        .value_kind:     hidden_remainder_x
      - .offset:         68
        .size:           2
        .value_kind:     hidden_remainder_y
      - .offset:         70
        .size:           2
        .value_kind:     hidden_remainder_z
      - .offset:         88
        .size:           8
        .value_kind:     hidden_global_offset_x
      - .offset:         96
        .size:           8
        .value_kind:     hidden_global_offset_y
      - .offset:         104
        .size:           8
        .value_kind:     hidden_global_offset_z
      - .offset:         112
        .size:           2
        .value_kind:     hidden_grid_dims
    .group_segment_fixed_size: 0
    .kernarg_segment_align: 8
    .kernarg_segment_size: 304
    .language:       OpenCL C
    .language_version:
      - 2
      - 0
    .max_flat_workgroup_size: 1024
    .name:           _ZN5aiter30swiglu_act_and_mul_bias_kernelIDF16_DF16_hfLi16EEEvPT0_PKT_PKT1_PKT2_il
    .private_segment_fixed_size: 0
    .sgpr_count:     43
    .sgpr_spill_count: 0
    .symbol:         _ZN5aiter30swiglu_act_and_mul_bias_kernelIDF16_DF16_hfLi16EEEvPT0_PKT_PKT1_PKT2_il.kd
    .uniform_work_group_size: 1
    .uses_dynamic_stack: false
    .vgpr_count:     56
    .vgpr_spill_count: 0
    .wavefront_size: 64
  - .agpr_count:     0
    .args:
      - .actual_access:  write_only
        .address_space:  global
        .offset:         0
        .size:           8
        .value_kind:     global_buffer
      - .actual_access:  read_only
        .address_space:  global
        .offset:         8
        .size:           8
        .value_kind:     global_buffer
      - .actual_access:  read_only
        .address_space:  global
        .offset:         16
        .size:           8
        .value_kind:     global_buffer
      - .actual_access:  read_only
        .address_space:  global
        .offset:         24
        .size:           8
        .value_kind:     global_buffer
      - .offset:         32
        .size:           4
        .value_kind:     by_value
      - .offset:         40
        .size:           8
        .value_kind:     by_value
      - .offset:         48
        .size:           4
        .value_kind:     hidden_block_count_x
      - .offset:         52
        .size:           4
        .value_kind:     hidden_block_count_y
      - .offset:         56
        .size:           4
        .value_kind:     hidden_block_count_z
      - .offset:         60
        .size:           2
        .value_kind:     hidden_group_size_x
      - .offset:         62
        .size:           2
        .value_kind:     hidden_group_size_y
      - .offset:         64
        .size:           2
        .value_kind:     hidden_group_size_z
      - .offset:         66
        .size:           2
        .value_kind:     hidden_remainder_x
      - .offset:         68
        .size:           2
        .value_kind:     hidden_remainder_y
      - .offset:         70
        .size:           2
        .value_kind:     hidden_remainder_z
      - .offset:         88
        .size:           8
        .value_kind:     hidden_global_offset_x
      - .offset:         96
        .size:           8
        .value_kind:     hidden_global_offset_y
      - .offset:         104
        .size:           8
        .value_kind:     hidden_global_offset_z
      - .offset:         112
        .size:           2
        .value_kind:     hidden_grid_dims
    .group_segment_fixed_size: 0
    .kernarg_segment_align: 8
    .kernarg_segment_size: 304
    .language:       OpenCL C
    .language_version:
      - 2
      - 0
    .max_flat_workgroup_size: 1024
    .name:           _ZN5aiter30swiglu_act_and_mul_bias_kernelIDF16_DF16_hfLi8EEEvPT0_PKT_PKT1_PKT2_il
    .private_segment_fixed_size: 0
    .sgpr_count:     38
    .sgpr_spill_count: 0
    .symbol:         _ZN5aiter30swiglu_act_and_mul_bias_kernelIDF16_DF16_hfLi8EEEvPT0_PKT_PKT1_PKT2_il.kd
    .uniform_work_group_size: 1
    .uses_dynamic_stack: false
    .vgpr_count:     42
    .vgpr_spill_count: 0
    .wavefront_size: 64
  - .agpr_count:     0
    .args:
      - .actual_access:  write_only
        .address_space:  global
        .offset:         0
        .size:           8
        .value_kind:     global_buffer
      - .actual_access:  read_only
        .address_space:  global
        .offset:         8
        .size:           8
        .value_kind:     global_buffer
      - .actual_access:  read_only
        .address_space:  global
        .offset:         16
        .size:           8
        .value_kind:     global_buffer
      - .actual_access:  read_only
        .address_space:  global
        .offset:         24
        .size:           8
        .value_kind:     global_buffer
      - .offset:         32
        .size:           4
        .value_kind:     by_value
      - .offset:         40
        .size:           8
        .value_kind:     by_value
      - .offset:         48
        .size:           4
        .value_kind:     hidden_block_count_x
      - .offset:         52
        .size:           4
        .value_kind:     hidden_block_count_y
      - .offset:         56
        .size:           4
        .value_kind:     hidden_block_count_z
      - .offset:         60
        .size:           2
        .value_kind:     hidden_group_size_x
      - .offset:         62
        .size:           2
        .value_kind:     hidden_group_size_y
      - .offset:         64
        .size:           2
        .value_kind:     hidden_group_size_z
      - .offset:         66
        .size:           2
        .value_kind:     hidden_remainder_x
      - .offset:         68
        .size:           2
        .value_kind:     hidden_remainder_y
      - .offset:         70
        .size:           2
        .value_kind:     hidden_remainder_z
      - .offset:         88
        .size:           8
        .value_kind:     hidden_global_offset_x
      - .offset:         96
        .size:           8
        .value_kind:     hidden_global_offset_y
      - .offset:         104
        .size:           8
        .value_kind:     hidden_global_offset_z
      - .offset:         112
        .size:           2
        .value_kind:     hidden_grid_dims
    .group_segment_fixed_size: 0
    .kernarg_segment_align: 8
    .kernarg_segment_size: 304
    .language:       OpenCL C
    .language_version:
      - 2
      - 0
    .max_flat_workgroup_size: 1024
    .name:           _ZN5aiter30swiglu_act_and_mul_bias_kernelIDF16_DF16_hfLi4EEEvPT0_PKT_PKT1_PKT2_il
    .private_segment_fixed_size: 0
    .sgpr_count:     38
    .sgpr_spill_count: 0
    .symbol:         _ZN5aiter30swiglu_act_and_mul_bias_kernelIDF16_DF16_hfLi4EEEvPT0_PKT_PKT1_PKT2_il.kd
    .uniform_work_group_size: 1
    .uses_dynamic_stack: false
    .vgpr_count:     30
    .vgpr_spill_count: 0
    .wavefront_size: 64
  - .agpr_count:     0
    .args:
      - .actual_access:  write_only
        .address_space:  global
        .offset:         0
        .size:           8
        .value_kind:     global_buffer
      - .actual_access:  read_only
        .address_space:  global
        .offset:         8
        .size:           8
        .value_kind:     global_buffer
      - .actual_access:  read_only
        .address_space:  global
        .offset:         16
        .size:           8
        .value_kind:     global_buffer
      - .actual_access:  read_only
        .address_space:  global
        .offset:         24
        .size:           8
        .value_kind:     global_buffer
      - .offset:         32
        .size:           4
        .value_kind:     by_value
      - .offset:         40
        .size:           8
        .value_kind:     by_value
      - .offset:         48
        .size:           4
        .value_kind:     hidden_block_count_x
      - .offset:         52
        .size:           4
        .value_kind:     hidden_block_count_y
      - .offset:         56
        .size:           4
        .value_kind:     hidden_block_count_z
      - .offset:         60
        .size:           2
        .value_kind:     hidden_group_size_x
      - .offset:         62
        .size:           2
        .value_kind:     hidden_group_size_y
      - .offset:         64
        .size:           2
        .value_kind:     hidden_group_size_z
      - .offset:         66
        .size:           2
        .value_kind:     hidden_remainder_x
      - .offset:         68
        .size:           2
        .value_kind:     hidden_remainder_y
      - .offset:         70
        .size:           2
        .value_kind:     hidden_remainder_z
      - .offset:         88
        .size:           8
        .value_kind:     hidden_global_offset_x
      - .offset:         96
        .size:           8
        .value_kind:     hidden_global_offset_y
      - .offset:         104
        .size:           8
        .value_kind:     hidden_global_offset_z
      - .offset:         112
        .size:           2
        .value_kind:     hidden_grid_dims
    .group_segment_fixed_size: 0
    .kernarg_segment_align: 8
    .kernarg_segment_size: 304
    .language:       OpenCL C
    .language_version:
      - 2
      - 0
    .max_flat_workgroup_size: 1024
    .name:           _ZN5aiter30swiglu_act_and_mul_bias_kernelIDF16_DF16_hfLi2EEEvPT0_PKT_PKT1_PKT2_il
    .private_segment_fixed_size: 0
    .sgpr_count:     38
    .sgpr_spill_count: 0
    .symbol:         _ZN5aiter30swiglu_act_and_mul_bias_kernelIDF16_DF16_hfLi2EEEvPT0_PKT_PKT1_PKT2_il.kd
    .uniform_work_group_size: 1
    .uses_dynamic_stack: false
    .vgpr_count:     20
    .vgpr_spill_count: 0
    .wavefront_size: 64
  - .agpr_count:     0
    .args:
      - .actual_access:  write_only
        .address_space:  global
        .offset:         0
        .size:           8
        .value_kind:     global_buffer
      - .actual_access:  read_only
        .address_space:  global
        .offset:         8
        .size:           8
        .value_kind:     global_buffer
      - .actual_access:  read_only
        .address_space:  global
        .offset:         16
        .size:           8
        .value_kind:     global_buffer
      - .actual_access:  read_only
        .address_space:  global
        .offset:         24
        .size:           8
        .value_kind:     global_buffer
      - .offset:         32
        .size:           4
        .value_kind:     by_value
      - .offset:         40
        .size:           8
        .value_kind:     by_value
      - .offset:         48
        .size:           4
        .value_kind:     hidden_block_count_x
      - .offset:         52
        .size:           4
        .value_kind:     hidden_block_count_y
      - .offset:         56
        .size:           4
        .value_kind:     hidden_block_count_z
      - .offset:         60
        .size:           2
        .value_kind:     hidden_group_size_x
      - .offset:         62
        .size:           2
        .value_kind:     hidden_group_size_y
      - .offset:         64
        .size:           2
        .value_kind:     hidden_group_size_z
      - .offset:         66
        .size:           2
        .value_kind:     hidden_remainder_x
      - .offset:         68
        .size:           2
        .value_kind:     hidden_remainder_y
      - .offset:         70
        .size:           2
        .value_kind:     hidden_remainder_z
      - .offset:         88
        .size:           8
        .value_kind:     hidden_global_offset_x
      - .offset:         96
        .size:           8
        .value_kind:     hidden_global_offset_y
      - .offset:         104
        .size:           8
        .value_kind:     hidden_global_offset_z
      - .offset:         112
        .size:           2
        .value_kind:     hidden_grid_dims
    .group_segment_fixed_size: 0
    .kernarg_segment_align: 8
    .kernarg_segment_size: 304
    .language:       OpenCL C
    .language_version:
      - 2
      - 0
    .max_flat_workgroup_size: 1024
    .name:           _ZN5aiter30swiglu_act_and_mul_bias_kernelIDF16_DF16_hfLi1EEEvPT0_PKT_PKT1_PKT2_il
    .private_segment_fixed_size: 0
    .sgpr_count:     37
    .sgpr_spill_count: 0
    .symbol:         _ZN5aiter30swiglu_act_and_mul_bias_kernelIDF16_DF16_hfLi1EEEvPT0_PKT_PKT1_PKT2_il.kd
    .uniform_work_group_size: 1
    .uses_dynamic_stack: false
    .vgpr_count:     12
    .vgpr_spill_count: 0
    .wavefront_size: 64
  - .agpr_count:     0
    .args:
      - .actual_access:  write_only
        .address_space:  global
        .offset:         0
        .size:           8
        .value_kind:     global_buffer
      - .actual_access:  read_only
        .address_space:  global
        .offset:         8
        .size:           8
        .value_kind:     global_buffer
      - .actual_access:  read_only
        .address_space:  global
        .offset:         16
        .size:           8
        .value_kind:     global_buffer
      - .actual_access:  read_only
        .address_space:  global
        .offset:         24
        .size:           8
        .value_kind:     global_buffer
      - .offset:         32
        .size:           4
        .value_kind:     by_value
      - .offset:         40
        .size:           8
        .value_kind:     by_value
      - .offset:         48
        .size:           4
        .value_kind:     hidden_block_count_x
      - .offset:         52
        .size:           4
        .value_kind:     hidden_block_count_y
      - .offset:         56
        .size:           4
        .value_kind:     hidden_block_count_z
      - .offset:         60
        .size:           2
        .value_kind:     hidden_group_size_x
      - .offset:         62
        .size:           2
        .value_kind:     hidden_group_size_y
      - .offset:         64
        .size:           2
        .value_kind:     hidden_group_size_z
      - .offset:         66
        .size:           2
        .value_kind:     hidden_remainder_x
      - .offset:         68
        .size:           2
        .value_kind:     hidden_remainder_y
      - .offset:         70
        .size:           2
        .value_kind:     hidden_remainder_z
      - .offset:         88
        .size:           8
        .value_kind:     hidden_global_offset_x
      - .offset:         96
        .size:           8
        .value_kind:     hidden_global_offset_y
      - .offset:         104
        .size:           8
        .value_kind:     hidden_global_offset_z
      - .offset:         112
        .size:           2
        .value_kind:     hidden_grid_dims
    .group_segment_fixed_size: 0
    .kernarg_segment_align: 8
    .kernarg_segment_size: 304
    .language:       OpenCL C
    .language_version:
      - 2
      - 0
    .max_flat_workgroup_size: 1024
    .name:           _ZN5aiter30swiglu_act_and_mul_bias_kernelItthfLi32EEEvPT0_PKT_PKT1_PKT2_il
    .private_segment_fixed_size: 0
    .sgpr_count:     49
    .sgpr_spill_count: 0
    .symbol:         _ZN5aiter30swiglu_act_and_mul_bias_kernelItthfLi32EEEvPT0_PKT_PKT1_PKT2_il.kd
    .uniform_work_group_size: 1
    .uses_dynamic_stack: false
    .vgpr_count:     60
    .vgpr_spill_count: 0
    .wavefront_size: 64
  - .agpr_count:     0
    .args:
      - .actual_access:  write_only
        .address_space:  global
        .offset:         0
        .size:           8
        .value_kind:     global_buffer
      - .actual_access:  read_only
        .address_space:  global
        .offset:         8
        .size:           8
        .value_kind:     global_buffer
      - .actual_access:  read_only
        .address_space:  global
        .offset:         16
        .size:           8
        .value_kind:     global_buffer
      - .actual_access:  read_only
        .address_space:  global
        .offset:         24
        .size:           8
        .value_kind:     global_buffer
      - .offset:         32
        .size:           4
        .value_kind:     by_value
      - .offset:         40
        .size:           8
        .value_kind:     by_value
      - .offset:         48
        .size:           4
        .value_kind:     hidden_block_count_x
      - .offset:         52
        .size:           4
        .value_kind:     hidden_block_count_y
      - .offset:         56
        .size:           4
        .value_kind:     hidden_block_count_z
      - .offset:         60
        .size:           2
        .value_kind:     hidden_group_size_x
      - .offset:         62
        .size:           2
        .value_kind:     hidden_group_size_y
      - .offset:         64
        .size:           2
        .value_kind:     hidden_group_size_z
      - .offset:         66
        .size:           2
        .value_kind:     hidden_remainder_x
      - .offset:         68
        .size:           2
        .value_kind:     hidden_remainder_y
      - .offset:         70
        .size:           2
        .value_kind:     hidden_remainder_z
      - .offset:         88
        .size:           8
        .value_kind:     hidden_global_offset_x
      - .offset:         96
        .size:           8
        .value_kind:     hidden_global_offset_y
      - .offset:         104
        .size:           8
        .value_kind:     hidden_global_offset_z
      - .offset:         112
        .size:           2
        .value_kind:     hidden_grid_dims
    .group_segment_fixed_size: 0
    .kernarg_segment_align: 8
    .kernarg_segment_size: 304
    .language:       OpenCL C
    .language_version:
      - 2
      - 0
    .max_flat_workgroup_size: 1024
    .name:           _ZN5aiter30swiglu_act_and_mul_bias_kernelItthfLi16EEEvPT0_PKT_PKT1_PKT2_il
    .private_segment_fixed_size: 0
    .sgpr_count:     40
    .sgpr_spill_count: 0
    .symbol:         _ZN5aiter30swiglu_act_and_mul_bias_kernelItthfLi16EEEvPT0_PKT_PKT1_PKT2_il.kd
    .uniform_work_group_size: 1
    .uses_dynamic_stack: false
    .vgpr_count:     60
    .vgpr_spill_count: 0
    .wavefront_size: 64
  - .agpr_count:     0
    .args:
      - .actual_access:  write_only
        .address_space:  global
        .offset:         0
        .size:           8
        .value_kind:     global_buffer
      - .actual_access:  read_only
        .address_space:  global
        .offset:         8
        .size:           8
        .value_kind:     global_buffer
      - .actual_access:  read_only
        .address_space:  global
        .offset:         16
        .size:           8
        .value_kind:     global_buffer
      - .actual_access:  read_only
        .address_space:  global
        .offset:         24
        .size:           8
        .value_kind:     global_buffer
      - .offset:         32
        .size:           4
        .value_kind:     by_value
      - .offset:         40
        .size:           8
        .value_kind:     by_value
      - .offset:         48
        .size:           4
        .value_kind:     hidden_block_count_x
      - .offset:         52
        .size:           4
        .value_kind:     hidden_block_count_y
      - .offset:         56
        .size:           4
        .value_kind:     hidden_block_count_z
      - .offset:         60
        .size:           2
        .value_kind:     hidden_group_size_x
      - .offset:         62
        .size:           2
        .value_kind:     hidden_group_size_y
      - .offset:         64
        .size:           2
        .value_kind:     hidden_group_size_z
      - .offset:         66
        .size:           2
        .value_kind:     hidden_remainder_x
      - .offset:         68
        .size:           2
        .value_kind:     hidden_remainder_y
      - .offset:         70
        .size:           2
        .value_kind:     hidden_remainder_z
      - .offset:         88
        .size:           8
        .value_kind:     hidden_global_offset_x
      - .offset:         96
        .size:           8
        .value_kind:     hidden_global_offset_y
      - .offset:         104
        .size:           8
        .value_kind:     hidden_global_offset_z
      - .offset:         112
        .size:           2
        .value_kind:     hidden_grid_dims
    .group_segment_fixed_size: 0
    .kernarg_segment_align: 8
    .kernarg_segment_size: 304
    .language:       OpenCL C
    .language_version:
      - 2
      - 0
    .max_flat_workgroup_size: 1024
    .name:           _ZN5aiter30swiglu_act_and_mul_bias_kernelItthfLi8EEEvPT0_PKT_PKT1_PKT2_il
    .private_segment_fixed_size: 0
    .sgpr_count:     40
    .sgpr_spill_count: 0
    .symbol:         _ZN5aiter30swiglu_act_and_mul_bias_kernelItthfLi8EEEvPT0_PKT_PKT1_PKT2_il.kd
    .uniform_work_group_size: 1
    .uses_dynamic_stack: false
    .vgpr_count:     47
    .vgpr_spill_count: 0
    .wavefront_size: 64
  - .agpr_count:     0
    .args:
      - .actual_access:  write_only
        .address_space:  global
        .offset:         0
        .size:           8
        .value_kind:     global_buffer
      - .actual_access:  read_only
        .address_space:  global
        .offset:         8
        .size:           8
        .value_kind:     global_buffer
      - .actual_access:  read_only
        .address_space:  global
        .offset:         16
        .size:           8
        .value_kind:     global_buffer
      - .actual_access:  read_only
        .address_space:  global
        .offset:         24
        .size:           8
        .value_kind:     global_buffer
      - .offset:         32
        .size:           4
        .value_kind:     by_value
      - .offset:         40
        .size:           8
        .value_kind:     by_value
      - .offset:         48
        .size:           4
        .value_kind:     hidden_block_count_x
      - .offset:         52
        .size:           4
        .value_kind:     hidden_block_count_y
      - .offset:         56
        .size:           4
        .value_kind:     hidden_block_count_z
      - .offset:         60
        .size:           2
        .value_kind:     hidden_group_size_x
      - .offset:         62
        .size:           2
        .value_kind:     hidden_group_size_y
      - .offset:         64
        .size:           2
        .value_kind:     hidden_group_size_z
      - .offset:         66
        .size:           2
        .value_kind:     hidden_remainder_x
      - .offset:         68
        .size:           2
        .value_kind:     hidden_remainder_y
      - .offset:         70
        .size:           2
        .value_kind:     hidden_remainder_z
      - .offset:         88
        .size:           8
        .value_kind:     hidden_global_offset_x
      - .offset:         96
        .size:           8
        .value_kind:     hidden_global_offset_y
      - .offset:         104
        .size:           8
        .value_kind:     hidden_global_offset_z
      - .offset:         112
        .size:           2
        .value_kind:     hidden_grid_dims
    .group_segment_fixed_size: 0
    .kernarg_segment_align: 8
    .kernarg_segment_size: 304
    .language:       OpenCL C
    .language_version:
      - 2
      - 0
    .max_flat_workgroup_size: 1024
    .name:           _ZN5aiter30swiglu_act_and_mul_bias_kernelItthfLi4EEEvPT0_PKT_PKT1_PKT2_il
    .private_segment_fixed_size: 0
    .sgpr_count:     40
    .sgpr_spill_count: 0
    .symbol:         _ZN5aiter30swiglu_act_and_mul_bias_kernelItthfLi4EEEvPT0_PKT_PKT1_PKT2_il.kd
    .uniform_work_group_size: 1
    .uses_dynamic_stack: false
    .vgpr_count:     30
    .vgpr_spill_count: 0
    .wavefront_size: 64
  - .agpr_count:     0
    .args:
      - .actual_access:  write_only
        .address_space:  global
        .offset:         0
        .size:           8
        .value_kind:     global_buffer
      - .actual_access:  read_only
        .address_space:  global
        .offset:         8
        .size:           8
        .value_kind:     global_buffer
      - .actual_access:  read_only
        .address_space:  global
        .offset:         16
        .size:           8
        .value_kind:     global_buffer
      - .actual_access:  read_only
        .address_space:  global
        .offset:         24
        .size:           8
        .value_kind:     global_buffer
      - .offset:         32
        .size:           4
        .value_kind:     by_value
      - .offset:         40
        .size:           8
        .value_kind:     by_value
      - .offset:         48
        .size:           4
        .value_kind:     hidden_block_count_x
      - .offset:         52
        .size:           4
        .value_kind:     hidden_block_count_y
      - .offset:         56
        .size:           4
        .value_kind:     hidden_block_count_z
      - .offset:         60
        .size:           2
        .value_kind:     hidden_group_size_x
      - .offset:         62
        .size:           2
        .value_kind:     hidden_group_size_y
      - .offset:         64
        .size:           2
        .value_kind:     hidden_group_size_z
      - .offset:         66
        .size:           2
        .value_kind:     hidden_remainder_x
      - .offset:         68
        .size:           2
        .value_kind:     hidden_remainder_y
      - .offset:         70
        .size:           2
        .value_kind:     hidden_remainder_z
      - .offset:         88
        .size:           8
        .value_kind:     hidden_global_offset_x
      - .offset:         96
        .size:           8
        .value_kind:     hidden_global_offset_y
      - .offset:         104
        .size:           8
        .value_kind:     hidden_global_offset_z
      - .offset:         112
        .size:           2
        .value_kind:     hidden_grid_dims
    .group_segment_fixed_size: 0
    .kernarg_segment_align: 8
    .kernarg_segment_size: 304
    .language:       OpenCL C
    .language_version:
      - 2
      - 0
    .max_flat_workgroup_size: 1024
    .name:           _ZN5aiter30swiglu_act_and_mul_bias_kernelItthfLi2EEEvPT0_PKT_PKT1_PKT2_il
    .private_segment_fixed_size: 0
    .sgpr_count:     40
    .sgpr_spill_count: 0
    .symbol:         _ZN5aiter30swiglu_act_and_mul_bias_kernelItthfLi2EEEvPT0_PKT_PKT1_PKT2_il.kd
    .uniform_work_group_size: 1
    .uses_dynamic_stack: false
    .vgpr_count:     20
    .vgpr_spill_count: 0
    .wavefront_size: 64
  - .agpr_count:     0
    .args:
      - .actual_access:  write_only
        .address_space:  global
        .offset:         0
        .size:           8
        .value_kind:     global_buffer
      - .actual_access:  read_only
        .address_space:  global
        .offset:         8
        .size:           8
        .value_kind:     global_buffer
      - .actual_access:  read_only
        .address_space:  global
        .offset:         16
        .size:           8
        .value_kind:     global_buffer
      - .actual_access:  read_only
        .address_space:  global
        .offset:         24
        .size:           8
        .value_kind:     global_buffer
      - .offset:         32
        .size:           4
        .value_kind:     by_value
      - .offset:         40
        .size:           8
        .value_kind:     by_value
      - .offset:         48
        .size:           4
        .value_kind:     hidden_block_count_x
      - .offset:         52
        .size:           4
        .value_kind:     hidden_block_count_y
      - .offset:         56
        .size:           4
        .value_kind:     hidden_block_count_z
      - .offset:         60
        .size:           2
        .value_kind:     hidden_group_size_x
      - .offset:         62
        .size:           2
        .value_kind:     hidden_group_size_y
      - .offset:         64
        .size:           2
        .value_kind:     hidden_group_size_z
      - .offset:         66
        .size:           2
        .value_kind:     hidden_remainder_x
      - .offset:         68
        .size:           2
        .value_kind:     hidden_remainder_y
      - .offset:         70
        .size:           2
        .value_kind:     hidden_remainder_z
      - .offset:         88
        .size:           8
        .value_kind:     hidden_global_offset_x
      - .offset:         96
        .size:           8
        .value_kind:     hidden_global_offset_y
      - .offset:         104
        .size:           8
        .value_kind:     hidden_global_offset_z
      - .offset:         112
        .size:           2
        .value_kind:     hidden_grid_dims
    .group_segment_fixed_size: 0
    .kernarg_segment_align: 8
    .kernarg_segment_size: 304
    .language:       OpenCL C
    .language_version:
      - 2
      - 0
    .max_flat_workgroup_size: 1024
    .name:           _ZN5aiter30swiglu_act_and_mul_bias_kernelItthfLi1EEEvPT0_PKT_PKT1_PKT2_il
    .private_segment_fixed_size: 0
    .sgpr_count:     37
    .sgpr_spill_count: 0
    .symbol:         _ZN5aiter30swiglu_act_and_mul_bias_kernelItthfLi1EEEvPT0_PKT_PKT1_PKT2_il.kd
    .uniform_work_group_size: 1
    .uses_dynamic_stack: false
    .vgpr_count:     12
    .vgpr_spill_count: 0
    .wavefront_size: 64
  - .agpr_count:     0
    .args:
      - .actual_access:  write_only
        .address_space:  global
        .offset:         0
        .size:           8
        .value_kind:     global_buffer
      - .actual_access:  read_only
        .address_space:  global
        .offset:         8
        .size:           8
        .value_kind:     global_buffer
      - .actual_access:  read_only
        .address_space:  global
        .offset:         16
        .size:           8
        .value_kind:     global_buffer
      - .actual_access:  read_only
        .address_space:  global
        .offset:         24
        .size:           8
        .value_kind:     global_buffer
      - .offset:         32
        .size:           4
        .value_kind:     by_value
      - .offset:         40
        .size:           8
        .value_kind:     by_value
      - .offset:         48
        .size:           4
        .value_kind:     hidden_block_count_x
      - .offset:         52
        .size:           4
        .value_kind:     hidden_block_count_y
      - .offset:         56
        .size:           4
        .value_kind:     hidden_block_count_z
      - .offset:         60
        .size:           2
        .value_kind:     hidden_group_size_x
      - .offset:         62
        .size:           2
        .value_kind:     hidden_group_size_y
      - .offset:         64
        .size:           2
        .value_kind:     hidden_group_size_z
      - .offset:         66
        .size:           2
        .value_kind:     hidden_remainder_x
      - .offset:         68
        .size:           2
        .value_kind:     hidden_remainder_y
      - .offset:         70
        .size:           2
        .value_kind:     hidden_remainder_z
      - .offset:         88
        .size:           8
        .value_kind:     hidden_global_offset_x
      - .offset:         96
        .size:           8
        .value_kind:     hidden_global_offset_y
      - .offset:         104
        .size:           8
        .value_kind:     hidden_global_offset_z
      - .offset:         112
        .size:           2
        .value_kind:     hidden_grid_dims
    .group_segment_fixed_size: 0
    .kernarg_segment_align: 8
    .kernarg_segment_size: 304
    .language:       OpenCL C
    .language_version:
      - 2
      - 0
    .max_flat_workgroup_size: 1024
    .name:           _ZN5aiter30swiglu_act_and_mul_bias_kernelIftafLi16EEEvPT0_PKT_PKT1_PKT2_il
    .private_segment_fixed_size: 0
    .sgpr_count:     96
    .sgpr_spill_count: 0
    .symbol:         _ZN5aiter30swiglu_act_and_mul_bias_kernelIftafLi16EEEvPT0_PKT_PKT1_PKT2_il.kd
    .uniform_work_group_size: 1
    .uses_dynamic_stack: false
    .vgpr_count:     77
    .vgpr_spill_count: 0
    .wavefront_size: 64
  - .agpr_count:     0
    .args:
      - .actual_access:  write_only
        .address_space:  global
        .offset:         0
        .size:           8
        .value_kind:     global_buffer
      - .actual_access:  read_only
        .address_space:  global
        .offset:         8
        .size:           8
        .value_kind:     global_buffer
      - .actual_access:  read_only
        .address_space:  global
        .offset:         16
        .size:           8
        .value_kind:     global_buffer
      - .actual_access:  read_only
        .address_space:  global
        .offset:         24
        .size:           8
        .value_kind:     global_buffer
      - .offset:         32
        .size:           4
        .value_kind:     by_value
      - .offset:         40
        .size:           8
        .value_kind:     by_value
      - .offset:         48
        .size:           4
        .value_kind:     hidden_block_count_x
      - .offset:         52
        .size:           4
        .value_kind:     hidden_block_count_y
      - .offset:         56
        .size:           4
        .value_kind:     hidden_block_count_z
      - .offset:         60
        .size:           2
        .value_kind:     hidden_group_size_x
      - .offset:         62
        .size:           2
        .value_kind:     hidden_group_size_y
      - .offset:         64
        .size:           2
        .value_kind:     hidden_group_size_z
      - .offset:         66
        .size:           2
        .value_kind:     hidden_remainder_x
      - .offset:         68
        .size:           2
        .value_kind:     hidden_remainder_y
      - .offset:         70
        .size:           2
        .value_kind:     hidden_remainder_z
      - .offset:         88
        .size:           8
        .value_kind:     hidden_global_offset_x
      - .offset:         96
        .size:           8
        .value_kind:     hidden_global_offset_y
      - .offset:         104
        .size:           8
        .value_kind:     hidden_global_offset_z
      - .offset:         112
        .size:           2
        .value_kind:     hidden_grid_dims
    .group_segment_fixed_size: 0
    .kernarg_segment_align: 8
    .kernarg_segment_size: 304
    .language:       OpenCL C
    .language_version:
      - 2
      - 0
    .max_flat_workgroup_size: 1024
    .name:           _ZN5aiter30swiglu_act_and_mul_bias_kernelIftafLi8EEEvPT0_PKT_PKT1_PKT2_il
    .private_segment_fixed_size: 0
    .sgpr_count:     54
    .sgpr_spill_count: 0
    .symbol:         _ZN5aiter30swiglu_act_and_mul_bias_kernelIftafLi8EEEvPT0_PKT_PKT1_PKT2_il.kd
    .uniform_work_group_size: 1
    .uses_dynamic_stack: false
    .vgpr_count:     54
    .vgpr_spill_count: 0
    .wavefront_size: 64
  - .agpr_count:     0
    .args:
      - .actual_access:  write_only
        .address_space:  global
        .offset:         0
        .size:           8
        .value_kind:     global_buffer
      - .actual_access:  read_only
        .address_space:  global
        .offset:         8
        .size:           8
        .value_kind:     global_buffer
      - .actual_access:  read_only
        .address_space:  global
        .offset:         16
        .size:           8
        .value_kind:     global_buffer
      - .actual_access:  read_only
        .address_space:  global
        .offset:         24
        .size:           8
        .value_kind:     global_buffer
      - .offset:         32
        .size:           4
        .value_kind:     by_value
      - .offset:         40
        .size:           8
        .value_kind:     by_value
      - .offset:         48
        .size:           4
        .value_kind:     hidden_block_count_x
      - .offset:         52
        .size:           4
        .value_kind:     hidden_block_count_y
      - .offset:         56
        .size:           4
        .value_kind:     hidden_block_count_z
      - .offset:         60
        .size:           2
        .value_kind:     hidden_group_size_x
      - .offset:         62
        .size:           2
        .value_kind:     hidden_group_size_y
      - .offset:         64
        .size:           2
        .value_kind:     hidden_group_size_z
      - .offset:         66
        .size:           2
        .value_kind:     hidden_remainder_x
      - .offset:         68
        .size:           2
        .value_kind:     hidden_remainder_y
      - .offset:         70
        .size:           2
        .value_kind:     hidden_remainder_z
      - .offset:         88
        .size:           8
        .value_kind:     hidden_global_offset_x
      - .offset:         96
        .size:           8
        .value_kind:     hidden_global_offset_y
      - .offset:         104
        .size:           8
        .value_kind:     hidden_global_offset_z
      - .offset:         112
        .size:           2
        .value_kind:     hidden_grid_dims
    .group_segment_fixed_size: 0
    .kernarg_segment_align: 8
    .kernarg_segment_size: 304
    .language:       OpenCL C
    .language_version:
      - 2
      - 0
    .max_flat_workgroup_size: 1024
    .name:           _ZN5aiter30swiglu_act_and_mul_bias_kernelIftafLi4EEEvPT0_PKT_PKT1_PKT2_il
    .private_segment_fixed_size: 0
    .sgpr_count:     46
    .sgpr_spill_count: 0
    .symbol:         _ZN5aiter30swiglu_act_and_mul_bias_kernelIftafLi4EEEvPT0_PKT_PKT1_PKT2_il.kd
    .uniform_work_group_size: 1
    .uses_dynamic_stack: false
    .vgpr_count:     30
    .vgpr_spill_count: 0
    .wavefront_size: 64
  - .agpr_count:     0
    .args:
      - .actual_access:  write_only
        .address_space:  global
        .offset:         0
        .size:           8
        .value_kind:     global_buffer
      - .actual_access:  read_only
        .address_space:  global
        .offset:         8
        .size:           8
        .value_kind:     global_buffer
      - .actual_access:  read_only
        .address_space:  global
        .offset:         16
        .size:           8
        .value_kind:     global_buffer
      - .actual_access:  read_only
        .address_space:  global
        .offset:         24
        .size:           8
        .value_kind:     global_buffer
      - .offset:         32
        .size:           4
        .value_kind:     by_value
      - .offset:         40
        .size:           8
        .value_kind:     by_value
      - .offset:         48
        .size:           4
        .value_kind:     hidden_block_count_x
      - .offset:         52
        .size:           4
        .value_kind:     hidden_block_count_y
      - .offset:         56
        .size:           4
        .value_kind:     hidden_block_count_z
      - .offset:         60
        .size:           2
        .value_kind:     hidden_group_size_x
      - .offset:         62
        .size:           2
        .value_kind:     hidden_group_size_y
      - .offset:         64
        .size:           2
        .value_kind:     hidden_group_size_z
      - .offset:         66
        .size:           2
        .value_kind:     hidden_remainder_x
      - .offset:         68
        .size:           2
        .value_kind:     hidden_remainder_y
      - .offset:         70
        .size:           2
        .value_kind:     hidden_remainder_z
      - .offset:         88
        .size:           8
        .value_kind:     hidden_global_offset_x
      - .offset:         96
        .size:           8
        .value_kind:     hidden_global_offset_y
      - .offset:         104
        .size:           8
        .value_kind:     hidden_global_offset_z
      - .offset:         112
        .size:           2
        .value_kind:     hidden_grid_dims
    .group_segment_fixed_size: 0
    .kernarg_segment_align: 8
    .kernarg_segment_size: 304
    .language:       OpenCL C
    .language_version:
      - 2
      - 0
    .max_flat_workgroup_size: 1024
    .name:           _ZN5aiter30swiglu_act_and_mul_bias_kernelIftafLi2EEEvPT0_PKT_PKT1_PKT2_il
    .private_segment_fixed_size: 0
    .sgpr_count:     42
    .sgpr_spill_count: 0
    .symbol:         _ZN5aiter30swiglu_act_and_mul_bias_kernelIftafLi2EEEvPT0_PKT_PKT1_PKT2_il.kd
    .uniform_work_group_size: 1
    .uses_dynamic_stack: false
    .vgpr_count:     18
    .vgpr_spill_count: 0
    .wavefront_size: 64
  - .agpr_count:     0
    .args:
      - .actual_access:  write_only
        .address_space:  global
        .offset:         0
        .size:           8
        .value_kind:     global_buffer
      - .actual_access:  read_only
        .address_space:  global
        .offset:         8
        .size:           8
        .value_kind:     global_buffer
      - .actual_access:  read_only
        .address_space:  global
        .offset:         16
        .size:           8
        .value_kind:     global_buffer
      - .actual_access:  read_only
        .address_space:  global
        .offset:         24
        .size:           8
        .value_kind:     global_buffer
      - .offset:         32
        .size:           4
        .value_kind:     by_value
      - .offset:         40
        .size:           8
        .value_kind:     by_value
      - .offset:         48
        .size:           4
        .value_kind:     hidden_block_count_x
      - .offset:         52
        .size:           4
        .value_kind:     hidden_block_count_y
      - .offset:         56
        .size:           4
        .value_kind:     hidden_block_count_z
      - .offset:         60
        .size:           2
        .value_kind:     hidden_group_size_x
      - .offset:         62
        .size:           2
        .value_kind:     hidden_group_size_y
      - .offset:         64
        .size:           2
        .value_kind:     hidden_group_size_z
      - .offset:         66
        .size:           2
        .value_kind:     hidden_remainder_x
      - .offset:         68
        .size:           2
        .value_kind:     hidden_remainder_y
      - .offset:         70
        .size:           2
        .value_kind:     hidden_remainder_z
      - .offset:         88
        .size:           8
        .value_kind:     hidden_global_offset_x
      - .offset:         96
        .size:           8
        .value_kind:     hidden_global_offset_y
      - .offset:         104
        .size:           8
        .value_kind:     hidden_global_offset_z
      - .offset:         112
        .size:           2
        .value_kind:     hidden_grid_dims
    .group_segment_fixed_size: 0
    .kernarg_segment_align: 8
    .kernarg_segment_size: 304
    .language:       OpenCL C
    .language_version:
      - 2
      - 0
    .max_flat_workgroup_size: 1024
    .name:           _ZN5aiter30swiglu_act_and_mul_bias_kernelIftafLi1EEEvPT0_PKT_PKT1_PKT2_il
    .private_segment_fixed_size: 0
    .sgpr_count:     37
    .sgpr_spill_count: 0
    .symbol:         _ZN5aiter30swiglu_act_and_mul_bias_kernelIftafLi1EEEvPT0_PKT_PKT1_PKT2_il.kd
    .uniform_work_group_size: 1
    .uses_dynamic_stack: false
    .vgpr_count:     11
    .vgpr_spill_count: 0
    .wavefront_size: 64
  - .agpr_count:     0
    .args:
      - .actual_access:  write_only
        .address_space:  global
        .offset:         0
        .size:           8
        .value_kind:     global_buffer
      - .actual_access:  read_only
        .address_space:  global
        .offset:         8
        .size:           8
        .value_kind:     global_buffer
      - .actual_access:  read_only
        .address_space:  global
        .offset:         16
        .size:           8
        .value_kind:     global_buffer
      - .actual_access:  read_only
        .address_space:  global
        .offset:         24
        .size:           8
        .value_kind:     global_buffer
      - .offset:         32
        .size:           4
        .value_kind:     by_value
      - .offset:         40
        .size:           8
        .value_kind:     by_value
      - .offset:         48
        .size:           4
        .value_kind:     hidden_block_count_x
      - .offset:         52
        .size:           4
        .value_kind:     hidden_block_count_y
      - .offset:         56
        .size:           4
        .value_kind:     hidden_block_count_z
      - .offset:         60
        .size:           2
        .value_kind:     hidden_group_size_x
      - .offset:         62
        .size:           2
        .value_kind:     hidden_group_size_y
      - .offset:         64
        .size:           2
        .value_kind:     hidden_group_size_z
      - .offset:         66
        .size:           2
        .value_kind:     hidden_remainder_x
      - .offset:         68
        .size:           2
        .value_kind:     hidden_remainder_y
      - .offset:         70
        .size:           2
        .value_kind:     hidden_remainder_z
      - .offset:         88
        .size:           8
        .value_kind:     hidden_global_offset_x
      - .offset:         96
        .size:           8
        .value_kind:     hidden_global_offset_y
      - .offset:         104
        .size:           8
        .value_kind:     hidden_global_offset_z
      - .offset:         112
        .size:           2
        .value_kind:     hidden_grid_dims
    .group_segment_fixed_size: 0
    .kernarg_segment_align: 8
    .kernarg_segment_size: 304
    .language:       OpenCL C
    .language_version:
      - 2
      - 0
    .max_flat_workgroup_size: 1024
    .name:           _ZN5aiter30swiglu_act_and_mul_bias_kernelIfDF16_afLi16EEEvPT0_PKT_PKT1_PKT2_il
    .private_segment_fixed_size: 0
    .sgpr_count:     81
    .sgpr_spill_count: 0
    .symbol:         _ZN5aiter30swiglu_act_and_mul_bias_kernelIfDF16_afLi16EEEvPT0_PKT_PKT1_PKT2_il.kd
    .uniform_work_group_size: 1
    .uses_dynamic_stack: false
    .vgpr_count:     61
    .vgpr_spill_count: 0
    .wavefront_size: 64
  - .agpr_count:     0
    .args:
      - .actual_access:  write_only
        .address_space:  global
        .offset:         0
        .size:           8
        .value_kind:     global_buffer
      - .actual_access:  read_only
        .address_space:  global
        .offset:         8
        .size:           8
        .value_kind:     global_buffer
      - .actual_access:  read_only
        .address_space:  global
        .offset:         16
        .size:           8
        .value_kind:     global_buffer
      - .actual_access:  read_only
        .address_space:  global
        .offset:         24
        .size:           8
        .value_kind:     global_buffer
      - .offset:         32
        .size:           4
        .value_kind:     by_value
      - .offset:         40
        .size:           8
        .value_kind:     by_value
      - .offset:         48
        .size:           4
        .value_kind:     hidden_block_count_x
      - .offset:         52
        .size:           4
        .value_kind:     hidden_block_count_y
      - .offset:         56
        .size:           4
        .value_kind:     hidden_block_count_z
      - .offset:         60
        .size:           2
        .value_kind:     hidden_group_size_x
      - .offset:         62
        .size:           2
        .value_kind:     hidden_group_size_y
      - .offset:         64
        .size:           2
        .value_kind:     hidden_group_size_z
      - .offset:         66
        .size:           2
        .value_kind:     hidden_remainder_x
      - .offset:         68
        .size:           2
        .value_kind:     hidden_remainder_y
      - .offset:         70
        .size:           2
        .value_kind:     hidden_remainder_z
      - .offset:         88
        .size:           8
        .value_kind:     hidden_global_offset_x
      - .offset:         96
        .size:           8
        .value_kind:     hidden_global_offset_y
      - .offset:         104
        .size:           8
        .value_kind:     hidden_global_offset_z
      - .offset:         112
        .size:           2
        .value_kind:     hidden_grid_dims
    .group_segment_fixed_size: 0
    .kernarg_segment_align: 8
    .kernarg_segment_size: 304
    .language:       OpenCL C
    .language_version:
      - 2
      - 0
    .max_flat_workgroup_size: 1024
    .name:           _ZN5aiter30swiglu_act_and_mul_bias_kernelIfDF16_afLi8EEEvPT0_PKT_PKT1_PKT2_il
    .private_segment_fixed_size: 0
    .sgpr_count:     53
    .sgpr_spill_count: 0
    .symbol:         _ZN5aiter30swiglu_act_and_mul_bias_kernelIfDF16_afLi8EEEvPT0_PKT_PKT1_PKT2_il.kd
    .uniform_work_group_size: 1
    .uses_dynamic_stack: false
    .vgpr_count:     54
    .vgpr_spill_count: 0
    .wavefront_size: 64
  - .agpr_count:     0
    .args:
      - .actual_access:  write_only
        .address_space:  global
        .offset:         0
        .size:           8
        .value_kind:     global_buffer
      - .actual_access:  read_only
        .address_space:  global
        .offset:         8
        .size:           8
        .value_kind:     global_buffer
      - .actual_access:  read_only
        .address_space:  global
        .offset:         16
        .size:           8
        .value_kind:     global_buffer
      - .actual_access:  read_only
        .address_space:  global
        .offset:         24
        .size:           8
        .value_kind:     global_buffer
      - .offset:         32
        .size:           4
        .value_kind:     by_value
      - .offset:         40
        .size:           8
        .value_kind:     by_value
      - .offset:         48
        .size:           4
        .value_kind:     hidden_block_count_x
      - .offset:         52
        .size:           4
        .value_kind:     hidden_block_count_y
      - .offset:         56
        .size:           4
        .value_kind:     hidden_block_count_z
      - .offset:         60
        .size:           2
        .value_kind:     hidden_group_size_x
      - .offset:         62
        .size:           2
        .value_kind:     hidden_group_size_y
      - .offset:         64
        .size:           2
        .value_kind:     hidden_group_size_z
      - .offset:         66
        .size:           2
        .value_kind:     hidden_remainder_x
      - .offset:         68
        .size:           2
        .value_kind:     hidden_remainder_y
      - .offset:         70
        .size:           2
        .value_kind:     hidden_remainder_z
      - .offset:         88
        .size:           8
        .value_kind:     hidden_global_offset_x
      - .offset:         96
        .size:           8
        .value_kind:     hidden_global_offset_y
      - .offset:         104
        .size:           8
        .value_kind:     hidden_global_offset_z
      - .offset:         112
        .size:           2
        .value_kind:     hidden_grid_dims
    .group_segment_fixed_size: 0
    .kernarg_segment_align: 8
    .kernarg_segment_size: 304
    .language:       OpenCL C
    .language_version:
      - 2
      - 0
    .max_flat_workgroup_size: 1024
    .name:           _ZN5aiter30swiglu_act_and_mul_bias_kernelIfDF16_afLi4EEEvPT0_PKT_PKT1_PKT2_il
    .private_segment_fixed_size: 0
    .sgpr_count:     47
    .sgpr_spill_count: 0
    .symbol:         _ZN5aiter30swiglu_act_and_mul_bias_kernelIfDF16_afLi4EEEvPT0_PKT_PKT1_PKT2_il.kd
    .uniform_work_group_size: 1
    .uses_dynamic_stack: false
    .vgpr_count:     30
    .vgpr_spill_count: 0
    .wavefront_size: 64
  - .agpr_count:     0
    .args:
      - .actual_access:  write_only
        .address_space:  global
        .offset:         0
        .size:           8
        .value_kind:     global_buffer
      - .actual_access:  read_only
        .address_space:  global
        .offset:         8
        .size:           8
        .value_kind:     global_buffer
      - .actual_access:  read_only
        .address_space:  global
        .offset:         16
        .size:           8
        .value_kind:     global_buffer
      - .actual_access:  read_only
        .address_space:  global
        .offset:         24
        .size:           8
        .value_kind:     global_buffer
      - .offset:         32
        .size:           4
        .value_kind:     by_value
      - .offset:         40
        .size:           8
        .value_kind:     by_value
      - .offset:         48
        .size:           4
        .value_kind:     hidden_block_count_x
      - .offset:         52
        .size:           4
        .value_kind:     hidden_block_count_y
      - .offset:         56
        .size:           4
        .value_kind:     hidden_block_count_z
      - .offset:         60
        .size:           2
        .value_kind:     hidden_group_size_x
      - .offset:         62
        .size:           2
        .value_kind:     hidden_group_size_y
      - .offset:         64
        .size:           2
        .value_kind:     hidden_group_size_z
      - .offset:         66
        .size:           2
        .value_kind:     hidden_remainder_x
      - .offset:         68
        .size:           2
        .value_kind:     hidden_remainder_y
      - .offset:         70
        .size:           2
        .value_kind:     hidden_remainder_z
      - .offset:         88
        .size:           8
        .value_kind:     hidden_global_offset_x
      - .offset:         96
        .size:           8
        .value_kind:     hidden_global_offset_y
      - .offset:         104
        .size:           8
        .value_kind:     hidden_global_offset_z
      - .offset:         112
        .size:           2
        .value_kind:     hidden_grid_dims
    .group_segment_fixed_size: 0
    .kernarg_segment_align: 8
    .kernarg_segment_size: 304
    .language:       OpenCL C
    .language_version:
      - 2
      - 0
    .max_flat_workgroup_size: 1024
    .name:           _ZN5aiter30swiglu_act_and_mul_bias_kernelIfDF16_afLi2EEEvPT0_PKT_PKT1_PKT2_il
    .private_segment_fixed_size: 0
    .sgpr_count:     41
    .sgpr_spill_count: 0
    .symbol:         _ZN5aiter30swiglu_act_and_mul_bias_kernelIfDF16_afLi2EEEvPT0_PKT_PKT1_PKT2_il.kd
    .uniform_work_group_size: 1
    .uses_dynamic_stack: false
    .vgpr_count:     18
    .vgpr_spill_count: 0
    .wavefront_size: 64
  - .agpr_count:     0
    .args:
      - .actual_access:  write_only
        .address_space:  global
        .offset:         0
        .size:           8
        .value_kind:     global_buffer
      - .actual_access:  read_only
        .address_space:  global
        .offset:         8
        .size:           8
        .value_kind:     global_buffer
      - .actual_access:  read_only
        .address_space:  global
        .offset:         16
        .size:           8
        .value_kind:     global_buffer
      - .actual_access:  read_only
        .address_space:  global
        .offset:         24
        .size:           8
        .value_kind:     global_buffer
      - .offset:         32
        .size:           4
        .value_kind:     by_value
      - .offset:         40
        .size:           8
        .value_kind:     by_value
      - .offset:         48
        .size:           4
        .value_kind:     hidden_block_count_x
      - .offset:         52
        .size:           4
        .value_kind:     hidden_block_count_y
      - .offset:         56
        .size:           4
        .value_kind:     hidden_block_count_z
      - .offset:         60
        .size:           2
        .value_kind:     hidden_group_size_x
      - .offset:         62
        .size:           2
        .value_kind:     hidden_group_size_y
      - .offset:         64
        .size:           2
        .value_kind:     hidden_group_size_z
      - .offset:         66
        .size:           2
        .value_kind:     hidden_remainder_x
      - .offset:         68
        .size:           2
        .value_kind:     hidden_remainder_y
      - .offset:         70
        .size:           2
        .value_kind:     hidden_remainder_z
      - .offset:         88
        .size:           8
        .value_kind:     hidden_global_offset_x
      - .offset:         96
        .size:           8
        .value_kind:     hidden_global_offset_y
      - .offset:         104
        .size:           8
        .value_kind:     hidden_global_offset_z
      - .offset:         112
        .size:           2
        .value_kind:     hidden_grid_dims
    .group_segment_fixed_size: 0
    .kernarg_segment_align: 8
    .kernarg_segment_size: 304
    .language:       OpenCL C
    .language_version:
      - 2
      - 0
    .max_flat_workgroup_size: 1024
    .name:           _ZN5aiter30swiglu_act_and_mul_bias_kernelIfDF16_afLi1EEEvPT0_PKT_PKT1_PKT2_il
    .private_segment_fixed_size: 0
    .sgpr_count:     37
    .sgpr_spill_count: 0
    .symbol:         _ZN5aiter30swiglu_act_and_mul_bias_kernelIfDF16_afLi1EEEvPT0_PKT_PKT1_PKT2_il.kd
    .uniform_work_group_size: 1
    .uses_dynamic_stack: false
    .vgpr_count:     11
    .vgpr_spill_count: 0
    .wavefront_size: 64
  - .agpr_count:     0
    .args:
      - .actual_access:  write_only
        .address_space:  global
        .offset:         0
        .size:           8
        .value_kind:     global_buffer
      - .actual_access:  read_only
        .address_space:  global
        .offset:         8
        .size:           8
        .value_kind:     global_buffer
      - .actual_access:  read_only
        .address_space:  global
        .offset:         16
        .size:           8
        .value_kind:     global_buffer
      - .actual_access:  read_only
        .address_space:  global
        .offset:         24
        .size:           8
        .value_kind:     global_buffer
      - .offset:         32
        .size:           4
        .value_kind:     by_value
      - .offset:         40
        .size:           8
        .value_kind:     by_value
      - .offset:         48
        .size:           4
        .value_kind:     hidden_block_count_x
      - .offset:         52
        .size:           4
        .value_kind:     hidden_block_count_y
      - .offset:         56
        .size:           4
        .value_kind:     hidden_block_count_z
      - .offset:         60
        .size:           2
        .value_kind:     hidden_group_size_x
      - .offset:         62
        .size:           2
        .value_kind:     hidden_group_size_y
      - .offset:         64
        .size:           2
        .value_kind:     hidden_group_size_z
      - .offset:         66
        .size:           2
        .value_kind:     hidden_remainder_x
      - .offset:         68
        .size:           2
        .value_kind:     hidden_remainder_y
      - .offset:         70
        .size:           2
        .value_kind:     hidden_remainder_z
      - .offset:         88
        .size:           8
        .value_kind:     hidden_global_offset_x
      - .offset:         96
        .size:           8
        .value_kind:     hidden_global_offset_y
      - .offset:         104
        .size:           8
        .value_kind:     hidden_global_offset_z
      - .offset:         112
        .size:           2
        .value_kind:     hidden_grid_dims
    .group_segment_fixed_size: 0
    .kernarg_segment_align: 8
    .kernarg_segment_size: 304
    .language:       OpenCL C
    .language_version:
      - 2
      - 0
    .max_flat_workgroup_size: 1024
    .name:           _ZN5aiter30swiglu_act_and_mul_bias_kernelIffafLi16EEEvPT0_PKT_PKT1_PKT2_il
    .private_segment_fixed_size: 0
    .sgpr_count:     40
    .sgpr_spill_count: 0
    .symbol:         _ZN5aiter30swiglu_act_and_mul_bias_kernelIffafLi16EEEvPT0_PKT_PKT1_PKT2_il.kd
    .uniform_work_group_size: 1
    .uses_dynamic_stack: false
    .vgpr_count:     60
    .vgpr_spill_count: 0
    .wavefront_size: 64
  - .agpr_count:     0
    .args:
      - .actual_access:  write_only
        .address_space:  global
        .offset:         0
        .size:           8
        .value_kind:     global_buffer
      - .actual_access:  read_only
        .address_space:  global
        .offset:         8
        .size:           8
        .value_kind:     global_buffer
      - .actual_access:  read_only
        .address_space:  global
        .offset:         16
        .size:           8
        .value_kind:     global_buffer
      - .actual_access:  read_only
        .address_space:  global
        .offset:         24
        .size:           8
        .value_kind:     global_buffer
      - .offset:         32
        .size:           4
        .value_kind:     by_value
      - .offset:         40
        .size:           8
        .value_kind:     by_value
      - .offset:         48
        .size:           4
        .value_kind:     hidden_block_count_x
      - .offset:         52
        .size:           4
        .value_kind:     hidden_block_count_y
      - .offset:         56
        .size:           4
        .value_kind:     hidden_block_count_z
      - .offset:         60
        .size:           2
        .value_kind:     hidden_group_size_x
      - .offset:         62
        .size:           2
        .value_kind:     hidden_group_size_y
      - .offset:         64
        .size:           2
        .value_kind:     hidden_group_size_z
      - .offset:         66
        .size:           2
        .value_kind:     hidden_remainder_x
      - .offset:         68
        .size:           2
        .value_kind:     hidden_remainder_y
      - .offset:         70
        .size:           2
        .value_kind:     hidden_remainder_z
      - .offset:         88
        .size:           8
        .value_kind:     hidden_global_offset_x
      - .offset:         96
        .size:           8
        .value_kind:     hidden_global_offset_y
      - .offset:         104
        .size:           8
        .value_kind:     hidden_global_offset_z
      - .offset:         112
        .size:           2
        .value_kind:     hidden_grid_dims
    .group_segment_fixed_size: 0
    .kernarg_segment_align: 8
    .kernarg_segment_size: 304
    .language:       OpenCL C
    .language_version:
      - 2
      - 0
    .max_flat_workgroup_size: 1024
    .name:           _ZN5aiter30swiglu_act_and_mul_bias_kernelIffafLi8EEEvPT0_PKT_PKT1_PKT2_il
    .private_segment_fixed_size: 0
    .sgpr_count:     37
    .sgpr_spill_count: 0
    .symbol:         _ZN5aiter30swiglu_act_and_mul_bias_kernelIffafLi8EEEvPT0_PKT_PKT1_PKT2_il.kd
    .uniform_work_group_size: 1
    .uses_dynamic_stack: false
    .vgpr_count:     47
    .vgpr_spill_count: 0
    .wavefront_size: 64
  - .agpr_count:     0
    .args:
      - .actual_access:  write_only
        .address_space:  global
        .offset:         0
        .size:           8
        .value_kind:     global_buffer
      - .actual_access:  read_only
        .address_space:  global
        .offset:         8
        .size:           8
        .value_kind:     global_buffer
      - .actual_access:  read_only
        .address_space:  global
        .offset:         16
        .size:           8
        .value_kind:     global_buffer
      - .actual_access:  read_only
        .address_space:  global
        .offset:         24
        .size:           8
        .value_kind:     global_buffer
      - .offset:         32
        .size:           4
        .value_kind:     by_value
      - .offset:         40
        .size:           8
        .value_kind:     by_value
      - .offset:         48
        .size:           4
        .value_kind:     hidden_block_count_x
      - .offset:         52
        .size:           4
        .value_kind:     hidden_block_count_y
      - .offset:         56
        .size:           4
        .value_kind:     hidden_block_count_z
      - .offset:         60
        .size:           2
        .value_kind:     hidden_group_size_x
      - .offset:         62
        .size:           2
        .value_kind:     hidden_group_size_y
      - .offset:         64
        .size:           2
        .value_kind:     hidden_group_size_z
      - .offset:         66
        .size:           2
        .value_kind:     hidden_remainder_x
      - .offset:         68
        .size:           2
        .value_kind:     hidden_remainder_y
      - .offset:         70
        .size:           2
        .value_kind:     hidden_remainder_z
      - .offset:         88
        .size:           8
        .value_kind:     hidden_global_offset_x
      - .offset:         96
        .size:           8
        .value_kind:     hidden_global_offset_y
      - .offset:         104
        .size:           8
        .value_kind:     hidden_global_offset_z
      - .offset:         112
        .size:           2
        .value_kind:     hidden_grid_dims
    .group_segment_fixed_size: 0
    .kernarg_segment_align: 8
    .kernarg_segment_size: 304
    .language:       OpenCL C
    .language_version:
      - 2
      - 0
    .max_flat_workgroup_size: 1024
    .name:           _ZN5aiter30swiglu_act_and_mul_bias_kernelIffafLi4EEEvPT0_PKT_PKT1_PKT2_il
    .private_segment_fixed_size: 0
    .sgpr_count:     37
    .sgpr_spill_count: 0
    .symbol:         _ZN5aiter30swiglu_act_and_mul_bias_kernelIffafLi4EEEvPT0_PKT_PKT1_PKT2_il.kd
    .uniform_work_group_size: 1
    .uses_dynamic_stack: false
    .vgpr_count:     29
    .vgpr_spill_count: 0
    .wavefront_size: 64
  - .agpr_count:     0
    .args:
      - .actual_access:  write_only
        .address_space:  global
        .offset:         0
        .size:           8
        .value_kind:     global_buffer
      - .actual_access:  read_only
        .address_space:  global
        .offset:         8
        .size:           8
        .value_kind:     global_buffer
      - .actual_access:  read_only
        .address_space:  global
        .offset:         16
        .size:           8
        .value_kind:     global_buffer
      - .actual_access:  read_only
        .address_space:  global
        .offset:         24
        .size:           8
        .value_kind:     global_buffer
      - .offset:         32
        .size:           4
        .value_kind:     by_value
      - .offset:         40
        .size:           8
        .value_kind:     by_value
      - .offset:         48
        .size:           4
        .value_kind:     hidden_block_count_x
      - .offset:         52
        .size:           4
        .value_kind:     hidden_block_count_y
      - .offset:         56
        .size:           4
        .value_kind:     hidden_block_count_z
      - .offset:         60
        .size:           2
        .value_kind:     hidden_group_size_x
      - .offset:         62
        .size:           2
        .value_kind:     hidden_group_size_y
      - .offset:         64
        .size:           2
        .value_kind:     hidden_group_size_z
      - .offset:         66
        .size:           2
        .value_kind:     hidden_remainder_x
      - .offset:         68
        .size:           2
        .value_kind:     hidden_remainder_y
      - .offset:         70
        .size:           2
        .value_kind:     hidden_remainder_z
      - .offset:         88
        .size:           8
        .value_kind:     hidden_global_offset_x
      - .offset:         96
        .size:           8
        .value_kind:     hidden_global_offset_y
      - .offset:         104
        .size:           8
        .value_kind:     hidden_global_offset_z
      - .offset:         112
        .size:           2
        .value_kind:     hidden_grid_dims
    .group_segment_fixed_size: 0
    .kernarg_segment_align: 8
    .kernarg_segment_size: 304
    .language:       OpenCL C
    .language_version:
      - 2
      - 0
    .max_flat_workgroup_size: 1024
    .name:           _ZN5aiter30swiglu_act_and_mul_bias_kernelIffafLi2EEEvPT0_PKT_PKT1_PKT2_il
    .private_segment_fixed_size: 0
    .sgpr_count:     37
    .sgpr_spill_count: 0
    .symbol:         _ZN5aiter30swiglu_act_and_mul_bias_kernelIffafLi2EEEvPT0_PKT_PKT1_PKT2_il.kd
    .uniform_work_group_size: 1
    .uses_dynamic_stack: false
    .vgpr_count:     19
    .vgpr_spill_count: 0
    .wavefront_size: 64
  - .agpr_count:     0
    .args:
      - .actual_access:  write_only
        .address_space:  global
        .offset:         0
        .size:           8
        .value_kind:     global_buffer
      - .actual_access:  read_only
        .address_space:  global
        .offset:         8
        .size:           8
        .value_kind:     global_buffer
      - .actual_access:  read_only
        .address_space:  global
        .offset:         16
        .size:           8
        .value_kind:     global_buffer
      - .actual_access:  read_only
        .address_space:  global
        .offset:         24
        .size:           8
        .value_kind:     global_buffer
      - .offset:         32
        .size:           4
        .value_kind:     by_value
      - .offset:         40
        .size:           8
        .value_kind:     by_value
      - .offset:         48
        .size:           4
        .value_kind:     hidden_block_count_x
      - .offset:         52
        .size:           4
        .value_kind:     hidden_block_count_y
      - .offset:         56
        .size:           4
        .value_kind:     hidden_block_count_z
      - .offset:         60
        .size:           2
        .value_kind:     hidden_group_size_x
      - .offset:         62
        .size:           2
        .value_kind:     hidden_group_size_y
      - .offset:         64
        .size:           2
        .value_kind:     hidden_group_size_z
      - .offset:         66
        .size:           2
        .value_kind:     hidden_remainder_x
      - .offset:         68
        .size:           2
        .value_kind:     hidden_remainder_y
      - .offset:         70
        .size:           2
        .value_kind:     hidden_remainder_z
      - .offset:         88
        .size:           8
        .value_kind:     hidden_global_offset_x
      - .offset:         96
        .size:           8
        .value_kind:     hidden_global_offset_y
      - .offset:         104
        .size:           8
        .value_kind:     hidden_global_offset_z
      - .offset:         112
        .size:           2
        .value_kind:     hidden_grid_dims
    .group_segment_fixed_size: 0
    .kernarg_segment_align: 8
    .kernarg_segment_size: 304
    .language:       OpenCL C
    .language_version:
      - 2
      - 0
    .max_flat_workgroup_size: 1024
    .name:           _ZN5aiter30swiglu_act_and_mul_bias_kernelIffafLi1EEEvPT0_PKT_PKT1_PKT2_il
    .private_segment_fixed_size: 0
    .sgpr_count:     36
    .sgpr_spill_count: 0
    .symbol:         _ZN5aiter30swiglu_act_and_mul_bias_kernelIffafLi1EEEvPT0_PKT_PKT1_PKT2_il.kd
    .uniform_work_group_size: 1
    .uses_dynamic_stack: false
    .vgpr_count:     11
    .vgpr_spill_count: 0
    .wavefront_size: 64
  - .agpr_count:     0
    .args:
      - .actual_access:  write_only
        .address_space:  global
        .offset:         0
        .size:           8
        .value_kind:     global_buffer
      - .actual_access:  read_only
        .address_space:  global
        .offset:         8
        .size:           8
        .value_kind:     global_buffer
      - .actual_access:  read_only
        .address_space:  global
        .offset:         16
        .size:           8
        .value_kind:     global_buffer
      - .actual_access:  read_only
        .address_space:  global
        .offset:         24
        .size:           8
        .value_kind:     global_buffer
      - .offset:         32
        .size:           4
        .value_kind:     by_value
      - .offset:         40
        .size:           8
        .value_kind:     by_value
      - .offset:         48
        .size:           4
        .value_kind:     hidden_block_count_x
      - .offset:         52
        .size:           4
        .value_kind:     hidden_block_count_y
      - .offset:         56
        .size:           4
        .value_kind:     hidden_block_count_z
      - .offset:         60
        .size:           2
        .value_kind:     hidden_group_size_x
      - .offset:         62
        .size:           2
        .value_kind:     hidden_group_size_y
      - .offset:         64
        .size:           2
        .value_kind:     hidden_group_size_z
      - .offset:         66
        .size:           2
        .value_kind:     hidden_remainder_x
      - .offset:         68
        .size:           2
        .value_kind:     hidden_remainder_y
      - .offset:         70
        .size:           2
        .value_kind:     hidden_remainder_z
      - .offset:         88
        .size:           8
        .value_kind:     hidden_global_offset_x
      - .offset:         96
        .size:           8
        .value_kind:     hidden_global_offset_y
      - .offset:         104
        .size:           8
        .value_kind:     hidden_global_offset_z
      - .offset:         112
        .size:           2
        .value_kind:     hidden_grid_dims
    .group_segment_fixed_size: 0
    .kernarg_segment_align: 8
    .kernarg_segment_size: 304
    .language:       OpenCL C
    .language_version:
      - 2
      - 0
    .max_flat_workgroup_size: 1024
    .name:           _ZN5aiter30swiglu_act_and_mul_bias_kernelIDF16_DF16_afLi32EEEvPT0_PKT_PKT1_PKT2_il
    .private_segment_fixed_size: 0
    .sgpr_count:     44
    .sgpr_spill_count: 0
    .symbol:         _ZN5aiter30swiglu_act_and_mul_bias_kernelIDF16_DF16_afLi32EEEvPT0_PKT_PKT1_PKT2_il.kd
    .uniform_work_group_size: 1
    .uses_dynamic_stack: false
    .vgpr_count:     61
    .vgpr_spill_count: 0
    .wavefront_size: 64
  - .agpr_count:     0
    .args:
      - .actual_access:  write_only
        .address_space:  global
        .offset:         0
        .size:           8
        .value_kind:     global_buffer
      - .actual_access:  read_only
        .address_space:  global
        .offset:         8
        .size:           8
        .value_kind:     global_buffer
      - .actual_access:  read_only
        .address_space:  global
        .offset:         16
        .size:           8
        .value_kind:     global_buffer
      - .actual_access:  read_only
        .address_space:  global
        .offset:         24
        .size:           8
        .value_kind:     global_buffer
      - .offset:         32
        .size:           4
        .value_kind:     by_value
      - .offset:         40
        .size:           8
        .value_kind:     by_value
      - .offset:         48
        .size:           4
        .value_kind:     hidden_block_count_x
      - .offset:         52
        .size:           4
        .value_kind:     hidden_block_count_y
      - .offset:         56
        .size:           4
        .value_kind:     hidden_block_count_z
      - .offset:         60
        .size:           2
        .value_kind:     hidden_group_size_x
      - .offset:         62
        .size:           2
        .value_kind:     hidden_group_size_y
      - .offset:         64
        .size:           2
        .value_kind:     hidden_group_size_z
      - .offset:         66
        .size:           2
        .value_kind:     hidden_remainder_x
      - .offset:         68
        .size:           2
        .value_kind:     hidden_remainder_y
      - .offset:         70
        .size:           2
        .value_kind:     hidden_remainder_z
      - .offset:         88
        .size:           8
        .value_kind:     hidden_global_offset_x
      - .offset:         96
        .size:           8
        .value_kind:     hidden_global_offset_y
      - .offset:         104
        .size:           8
        .value_kind:     hidden_global_offset_z
      - .offset:         112
        .size:           2
        .value_kind:     hidden_grid_dims
    .group_segment_fixed_size: 0
    .kernarg_segment_align: 8
    .kernarg_segment_size: 304
    .language:       OpenCL C
    .language_version:
      - 2
      - 0
    .max_flat_workgroup_size: 1024
    .name:           _ZN5aiter30swiglu_act_and_mul_bias_kernelIDF16_DF16_afLi16EEEvPT0_PKT_PKT1_PKT2_il
    .private_segment_fixed_size: 0
    .sgpr_count:     43
    .sgpr_spill_count: 0
    .symbol:         _ZN5aiter30swiglu_act_and_mul_bias_kernelIDF16_DF16_afLi16EEEvPT0_PKT_PKT1_PKT2_il.kd
    .uniform_work_group_size: 1
    .uses_dynamic_stack: false
    .vgpr_count:     56
    .vgpr_spill_count: 0
    .wavefront_size: 64
  - .agpr_count:     0
    .args:
      - .actual_access:  write_only
        .address_space:  global
        .offset:         0
        .size:           8
        .value_kind:     global_buffer
      - .actual_access:  read_only
        .address_space:  global
        .offset:         8
        .size:           8
        .value_kind:     global_buffer
      - .actual_access:  read_only
        .address_space:  global
        .offset:         16
        .size:           8
        .value_kind:     global_buffer
      - .actual_access:  read_only
        .address_space:  global
        .offset:         24
        .size:           8
        .value_kind:     global_buffer
      - .offset:         32
        .size:           4
        .value_kind:     by_value
      - .offset:         40
        .size:           8
        .value_kind:     by_value
      - .offset:         48
        .size:           4
        .value_kind:     hidden_block_count_x
      - .offset:         52
        .size:           4
        .value_kind:     hidden_block_count_y
      - .offset:         56
        .size:           4
        .value_kind:     hidden_block_count_z
      - .offset:         60
        .size:           2
        .value_kind:     hidden_group_size_x
      - .offset:         62
        .size:           2
        .value_kind:     hidden_group_size_y
      - .offset:         64
        .size:           2
        .value_kind:     hidden_group_size_z
      - .offset:         66
        .size:           2
        .value_kind:     hidden_remainder_x
      - .offset:         68
        .size:           2
        .value_kind:     hidden_remainder_y
      - .offset:         70
        .size:           2
        .value_kind:     hidden_remainder_z
      - .offset:         88
        .size:           8
        .value_kind:     hidden_global_offset_x
      - .offset:         96
        .size:           8
        .value_kind:     hidden_global_offset_y
      - .offset:         104
        .size:           8
        .value_kind:     hidden_global_offset_z
      - .offset:         112
        .size:           2
        .value_kind:     hidden_grid_dims
    .group_segment_fixed_size: 0
    .kernarg_segment_align: 8
    .kernarg_segment_size: 304
    .language:       OpenCL C
    .language_version:
      - 2
      - 0
    .max_flat_workgroup_size: 1024
    .name:           _ZN5aiter30swiglu_act_and_mul_bias_kernelIDF16_DF16_afLi8EEEvPT0_PKT_PKT1_PKT2_il
    .private_segment_fixed_size: 0
    .sgpr_count:     38
    .sgpr_spill_count: 0
    .symbol:         _ZN5aiter30swiglu_act_and_mul_bias_kernelIDF16_DF16_afLi8EEEvPT0_PKT_PKT1_PKT2_il.kd
    .uniform_work_group_size: 1
    .uses_dynamic_stack: false
    .vgpr_count:     42
    .vgpr_spill_count: 0
    .wavefront_size: 64
  - .agpr_count:     0
    .args:
      - .actual_access:  write_only
        .address_space:  global
        .offset:         0
        .size:           8
        .value_kind:     global_buffer
      - .actual_access:  read_only
        .address_space:  global
        .offset:         8
        .size:           8
        .value_kind:     global_buffer
      - .actual_access:  read_only
        .address_space:  global
        .offset:         16
        .size:           8
        .value_kind:     global_buffer
      - .actual_access:  read_only
        .address_space:  global
        .offset:         24
        .size:           8
        .value_kind:     global_buffer
      - .offset:         32
        .size:           4
        .value_kind:     by_value
      - .offset:         40
        .size:           8
        .value_kind:     by_value
      - .offset:         48
        .size:           4
        .value_kind:     hidden_block_count_x
      - .offset:         52
        .size:           4
        .value_kind:     hidden_block_count_y
      - .offset:         56
        .size:           4
        .value_kind:     hidden_block_count_z
      - .offset:         60
        .size:           2
        .value_kind:     hidden_group_size_x
      - .offset:         62
        .size:           2
        .value_kind:     hidden_group_size_y
      - .offset:         64
        .size:           2
        .value_kind:     hidden_group_size_z
      - .offset:         66
        .size:           2
        .value_kind:     hidden_remainder_x
      - .offset:         68
        .size:           2
        .value_kind:     hidden_remainder_y
      - .offset:         70
        .size:           2
        .value_kind:     hidden_remainder_z
      - .offset:         88
        .size:           8
        .value_kind:     hidden_global_offset_x
      - .offset:         96
        .size:           8
        .value_kind:     hidden_global_offset_y
      - .offset:         104
        .size:           8
        .value_kind:     hidden_global_offset_z
      - .offset:         112
        .size:           2
        .value_kind:     hidden_grid_dims
    .group_segment_fixed_size: 0
    .kernarg_segment_align: 8
    .kernarg_segment_size: 304
    .language:       OpenCL C
    .language_version:
      - 2
      - 0
    .max_flat_workgroup_size: 1024
    .name:           _ZN5aiter30swiglu_act_and_mul_bias_kernelIDF16_DF16_afLi4EEEvPT0_PKT_PKT1_PKT2_il
    .private_segment_fixed_size: 0
    .sgpr_count:     38
    .sgpr_spill_count: 0
    .symbol:         _ZN5aiter30swiglu_act_and_mul_bias_kernelIDF16_DF16_afLi4EEEvPT0_PKT_PKT1_PKT2_il.kd
    .uniform_work_group_size: 1
    .uses_dynamic_stack: false
    .vgpr_count:     30
    .vgpr_spill_count: 0
    .wavefront_size: 64
  - .agpr_count:     0
    .args:
      - .actual_access:  write_only
        .address_space:  global
        .offset:         0
        .size:           8
        .value_kind:     global_buffer
      - .actual_access:  read_only
        .address_space:  global
        .offset:         8
        .size:           8
        .value_kind:     global_buffer
      - .actual_access:  read_only
        .address_space:  global
        .offset:         16
        .size:           8
        .value_kind:     global_buffer
      - .actual_access:  read_only
        .address_space:  global
        .offset:         24
        .size:           8
        .value_kind:     global_buffer
      - .offset:         32
        .size:           4
        .value_kind:     by_value
      - .offset:         40
        .size:           8
        .value_kind:     by_value
      - .offset:         48
        .size:           4
        .value_kind:     hidden_block_count_x
      - .offset:         52
        .size:           4
        .value_kind:     hidden_block_count_y
      - .offset:         56
        .size:           4
        .value_kind:     hidden_block_count_z
      - .offset:         60
        .size:           2
        .value_kind:     hidden_group_size_x
      - .offset:         62
        .size:           2
        .value_kind:     hidden_group_size_y
      - .offset:         64
        .size:           2
        .value_kind:     hidden_group_size_z
      - .offset:         66
        .size:           2
        .value_kind:     hidden_remainder_x
      - .offset:         68
        .size:           2
        .value_kind:     hidden_remainder_y
      - .offset:         70
        .size:           2
        .value_kind:     hidden_remainder_z
      - .offset:         88
        .size:           8
        .value_kind:     hidden_global_offset_x
      - .offset:         96
        .size:           8
        .value_kind:     hidden_global_offset_y
      - .offset:         104
        .size:           8
        .value_kind:     hidden_global_offset_z
      - .offset:         112
        .size:           2
        .value_kind:     hidden_grid_dims
    .group_segment_fixed_size: 0
    .kernarg_segment_align: 8
    .kernarg_segment_size: 304
    .language:       OpenCL C
    .language_version:
      - 2
      - 0
    .max_flat_workgroup_size: 1024
    .name:           _ZN5aiter30swiglu_act_and_mul_bias_kernelIDF16_DF16_afLi2EEEvPT0_PKT_PKT1_PKT2_il
    .private_segment_fixed_size: 0
    .sgpr_count:     38
    .sgpr_spill_count: 0
    .symbol:         _ZN5aiter30swiglu_act_and_mul_bias_kernelIDF16_DF16_afLi2EEEvPT0_PKT_PKT1_PKT2_il.kd
    .uniform_work_group_size: 1
    .uses_dynamic_stack: false
    .vgpr_count:     20
    .vgpr_spill_count: 0
    .wavefront_size: 64
  - .agpr_count:     0
    .args:
      - .actual_access:  write_only
        .address_space:  global
        .offset:         0
        .size:           8
        .value_kind:     global_buffer
      - .actual_access:  read_only
        .address_space:  global
        .offset:         8
        .size:           8
        .value_kind:     global_buffer
      - .actual_access:  read_only
        .address_space:  global
        .offset:         16
        .size:           8
        .value_kind:     global_buffer
      - .actual_access:  read_only
        .address_space:  global
        .offset:         24
        .size:           8
        .value_kind:     global_buffer
      - .offset:         32
        .size:           4
        .value_kind:     by_value
      - .offset:         40
        .size:           8
        .value_kind:     by_value
      - .offset:         48
        .size:           4
        .value_kind:     hidden_block_count_x
      - .offset:         52
        .size:           4
        .value_kind:     hidden_block_count_y
      - .offset:         56
        .size:           4
        .value_kind:     hidden_block_count_z
      - .offset:         60
        .size:           2
        .value_kind:     hidden_group_size_x
      - .offset:         62
        .size:           2
        .value_kind:     hidden_group_size_y
      - .offset:         64
        .size:           2
        .value_kind:     hidden_group_size_z
      - .offset:         66
        .size:           2
        .value_kind:     hidden_remainder_x
      - .offset:         68
        .size:           2
        .value_kind:     hidden_remainder_y
      - .offset:         70
        .size:           2
        .value_kind:     hidden_remainder_z
      - .offset:         88
        .size:           8
        .value_kind:     hidden_global_offset_x
      - .offset:         96
        .size:           8
        .value_kind:     hidden_global_offset_y
      - .offset:         104
        .size:           8
        .value_kind:     hidden_global_offset_z
      - .offset:         112
        .size:           2
        .value_kind:     hidden_grid_dims
    .group_segment_fixed_size: 0
    .kernarg_segment_align: 8
    .kernarg_segment_size: 304
    .language:       OpenCL C
    .language_version:
      - 2
      - 0
    .max_flat_workgroup_size: 1024
    .name:           _ZN5aiter30swiglu_act_and_mul_bias_kernelIDF16_DF16_afLi1EEEvPT0_PKT_PKT1_PKT2_il
    .private_segment_fixed_size: 0
    .sgpr_count:     37
    .sgpr_spill_count: 0
    .symbol:         _ZN5aiter30swiglu_act_and_mul_bias_kernelIDF16_DF16_afLi1EEEvPT0_PKT_PKT1_PKT2_il.kd
    .uniform_work_group_size: 1
    .uses_dynamic_stack: false
    .vgpr_count:     12
    .vgpr_spill_count: 0
    .wavefront_size: 64
  - .agpr_count:     0
    .args:
      - .actual_access:  write_only
        .address_space:  global
        .offset:         0
        .size:           8
        .value_kind:     global_buffer
      - .actual_access:  read_only
        .address_space:  global
        .offset:         8
        .size:           8
        .value_kind:     global_buffer
      - .actual_access:  read_only
        .address_space:  global
        .offset:         16
        .size:           8
        .value_kind:     global_buffer
      - .actual_access:  read_only
        .address_space:  global
        .offset:         24
        .size:           8
        .value_kind:     global_buffer
      - .offset:         32
        .size:           4
        .value_kind:     by_value
      - .offset:         40
        .size:           8
        .value_kind:     by_value
      - .offset:         48
        .size:           4
        .value_kind:     hidden_block_count_x
      - .offset:         52
        .size:           4
        .value_kind:     hidden_block_count_y
      - .offset:         56
        .size:           4
        .value_kind:     hidden_block_count_z
      - .offset:         60
        .size:           2
        .value_kind:     hidden_group_size_x
      - .offset:         62
        .size:           2
        .value_kind:     hidden_group_size_y
      - .offset:         64
        .size:           2
        .value_kind:     hidden_group_size_z
      - .offset:         66
        .size:           2
        .value_kind:     hidden_remainder_x
      - .offset:         68
        .size:           2
        .value_kind:     hidden_remainder_y
      - .offset:         70
        .size:           2
        .value_kind:     hidden_remainder_z
      - .offset:         88
        .size:           8
        .value_kind:     hidden_global_offset_x
      - .offset:         96
        .size:           8
        .value_kind:     hidden_global_offset_y
      - .offset:         104
        .size:           8
        .value_kind:     hidden_global_offset_z
      - .offset:         112
        .size:           2
        .value_kind:     hidden_grid_dims
    .group_segment_fixed_size: 0
    .kernarg_segment_align: 8
    .kernarg_segment_size: 304
    .language:       OpenCL C
    .language_version:
      - 2
      - 0
    .max_flat_workgroup_size: 1024
    .name:           _ZN5aiter30swiglu_act_and_mul_bias_kernelIttafLi32EEEvPT0_PKT_PKT1_PKT2_il
    .private_segment_fixed_size: 0
    .sgpr_count:     49
    .sgpr_spill_count: 0
    .symbol:         _ZN5aiter30swiglu_act_and_mul_bias_kernelIttafLi32EEEvPT0_PKT_PKT1_PKT2_il.kd
    .uniform_work_group_size: 1
    .uses_dynamic_stack: false
    .vgpr_count:     60
    .vgpr_spill_count: 0
    .wavefront_size: 64
  - .agpr_count:     0
    .args:
      - .actual_access:  write_only
        .address_space:  global
        .offset:         0
        .size:           8
        .value_kind:     global_buffer
      - .actual_access:  read_only
        .address_space:  global
        .offset:         8
        .size:           8
        .value_kind:     global_buffer
      - .actual_access:  read_only
        .address_space:  global
        .offset:         16
        .size:           8
        .value_kind:     global_buffer
      - .actual_access:  read_only
        .address_space:  global
        .offset:         24
        .size:           8
        .value_kind:     global_buffer
      - .offset:         32
        .size:           4
        .value_kind:     by_value
      - .offset:         40
        .size:           8
        .value_kind:     by_value
      - .offset:         48
        .size:           4
        .value_kind:     hidden_block_count_x
      - .offset:         52
        .size:           4
        .value_kind:     hidden_block_count_y
      - .offset:         56
        .size:           4
        .value_kind:     hidden_block_count_z
      - .offset:         60
        .size:           2
        .value_kind:     hidden_group_size_x
      - .offset:         62
        .size:           2
        .value_kind:     hidden_group_size_y
      - .offset:         64
        .size:           2
        .value_kind:     hidden_group_size_z
      - .offset:         66
        .size:           2
        .value_kind:     hidden_remainder_x
      - .offset:         68
        .size:           2
        .value_kind:     hidden_remainder_y
      - .offset:         70
        .size:           2
        .value_kind:     hidden_remainder_z
      - .offset:         88
        .size:           8
        .value_kind:     hidden_global_offset_x
      - .offset:         96
        .size:           8
        .value_kind:     hidden_global_offset_y
      - .offset:         104
        .size:           8
        .value_kind:     hidden_global_offset_z
      - .offset:         112
        .size:           2
        .value_kind:     hidden_grid_dims
    .group_segment_fixed_size: 0
    .kernarg_segment_align: 8
    .kernarg_segment_size: 304
    .language:       OpenCL C
    .language_version:
      - 2
      - 0
    .max_flat_workgroup_size: 1024
    .name:           _ZN5aiter30swiglu_act_and_mul_bias_kernelIttafLi16EEEvPT0_PKT_PKT1_PKT2_il
    .private_segment_fixed_size: 0
    .sgpr_count:     40
    .sgpr_spill_count: 0
    .symbol:         _ZN5aiter30swiglu_act_and_mul_bias_kernelIttafLi16EEEvPT0_PKT_PKT1_PKT2_il.kd
    .uniform_work_group_size: 1
    .uses_dynamic_stack: false
    .vgpr_count:     60
    .vgpr_spill_count: 0
    .wavefront_size: 64
  - .agpr_count:     0
    .args:
      - .actual_access:  write_only
        .address_space:  global
        .offset:         0
        .size:           8
        .value_kind:     global_buffer
      - .actual_access:  read_only
        .address_space:  global
        .offset:         8
        .size:           8
        .value_kind:     global_buffer
      - .actual_access:  read_only
        .address_space:  global
        .offset:         16
        .size:           8
        .value_kind:     global_buffer
      - .actual_access:  read_only
        .address_space:  global
        .offset:         24
        .size:           8
        .value_kind:     global_buffer
      - .offset:         32
        .size:           4
        .value_kind:     by_value
      - .offset:         40
        .size:           8
        .value_kind:     by_value
      - .offset:         48
        .size:           4
        .value_kind:     hidden_block_count_x
      - .offset:         52
        .size:           4
        .value_kind:     hidden_block_count_y
      - .offset:         56
        .size:           4
        .value_kind:     hidden_block_count_z
      - .offset:         60
        .size:           2
        .value_kind:     hidden_group_size_x
      - .offset:         62
        .size:           2
        .value_kind:     hidden_group_size_y
      - .offset:         64
        .size:           2
        .value_kind:     hidden_group_size_z
      - .offset:         66
        .size:           2
        .value_kind:     hidden_remainder_x
      - .offset:         68
        .size:           2
        .value_kind:     hidden_remainder_y
      - .offset:         70
        .size:           2
        .value_kind:     hidden_remainder_z
      - .offset:         88
        .size:           8
        .value_kind:     hidden_global_offset_x
      - .offset:         96
        .size:           8
        .value_kind:     hidden_global_offset_y
      - .offset:         104
        .size:           8
        .value_kind:     hidden_global_offset_z
      - .offset:         112
        .size:           2
        .value_kind:     hidden_grid_dims
    .group_segment_fixed_size: 0
    .kernarg_segment_align: 8
    .kernarg_segment_size: 304
    .language:       OpenCL C
    .language_version:
      - 2
      - 0
    .max_flat_workgroup_size: 1024
    .name:           _ZN5aiter30swiglu_act_and_mul_bias_kernelIttafLi8EEEvPT0_PKT_PKT1_PKT2_il
    .private_segment_fixed_size: 0
    .sgpr_count:     40
    .sgpr_spill_count: 0
    .symbol:         _ZN5aiter30swiglu_act_and_mul_bias_kernelIttafLi8EEEvPT0_PKT_PKT1_PKT2_il.kd
    .uniform_work_group_size: 1
    .uses_dynamic_stack: false
    .vgpr_count:     47
    .vgpr_spill_count: 0
    .wavefront_size: 64
  - .agpr_count:     0
    .args:
      - .actual_access:  write_only
        .address_space:  global
        .offset:         0
        .size:           8
        .value_kind:     global_buffer
      - .actual_access:  read_only
        .address_space:  global
        .offset:         8
        .size:           8
        .value_kind:     global_buffer
      - .actual_access:  read_only
        .address_space:  global
        .offset:         16
        .size:           8
        .value_kind:     global_buffer
      - .actual_access:  read_only
        .address_space:  global
        .offset:         24
        .size:           8
        .value_kind:     global_buffer
      - .offset:         32
        .size:           4
        .value_kind:     by_value
      - .offset:         40
        .size:           8
        .value_kind:     by_value
      - .offset:         48
        .size:           4
        .value_kind:     hidden_block_count_x
      - .offset:         52
        .size:           4
        .value_kind:     hidden_block_count_y
      - .offset:         56
        .size:           4
        .value_kind:     hidden_block_count_z
      - .offset:         60
        .size:           2
        .value_kind:     hidden_group_size_x
      - .offset:         62
        .size:           2
        .value_kind:     hidden_group_size_y
      - .offset:         64
        .size:           2
        .value_kind:     hidden_group_size_z
      - .offset:         66
        .size:           2
        .value_kind:     hidden_remainder_x
      - .offset:         68
        .size:           2
        .value_kind:     hidden_remainder_y
      - .offset:         70
        .size:           2
        .value_kind:     hidden_remainder_z
      - .offset:         88
        .size:           8
        .value_kind:     hidden_global_offset_x
      - .offset:         96
        .size:           8
        .value_kind:     hidden_global_offset_y
      - .offset:         104
        .size:           8
        .value_kind:     hidden_global_offset_z
      - .offset:         112
        .size:           2
        .value_kind:     hidden_grid_dims
    .group_segment_fixed_size: 0
    .kernarg_segment_align: 8
    .kernarg_segment_size: 304
    .language:       OpenCL C
    .language_version:
      - 2
      - 0
    .max_flat_workgroup_size: 1024
    .name:           _ZN5aiter30swiglu_act_and_mul_bias_kernelIttafLi4EEEvPT0_PKT_PKT1_PKT2_il
    .private_segment_fixed_size: 0
    .sgpr_count:     40
    .sgpr_spill_count: 0
    .symbol:         _ZN5aiter30swiglu_act_and_mul_bias_kernelIttafLi4EEEvPT0_PKT_PKT1_PKT2_il.kd
    .uniform_work_group_size: 1
    .uses_dynamic_stack: false
    .vgpr_count:     30
    .vgpr_spill_count: 0
    .wavefront_size: 64
  - .agpr_count:     0
    .args:
      - .actual_access:  write_only
        .address_space:  global
        .offset:         0
        .size:           8
        .value_kind:     global_buffer
      - .actual_access:  read_only
        .address_space:  global
        .offset:         8
        .size:           8
        .value_kind:     global_buffer
      - .actual_access:  read_only
        .address_space:  global
        .offset:         16
        .size:           8
        .value_kind:     global_buffer
      - .actual_access:  read_only
        .address_space:  global
        .offset:         24
        .size:           8
        .value_kind:     global_buffer
      - .offset:         32
        .size:           4
        .value_kind:     by_value
      - .offset:         40
        .size:           8
        .value_kind:     by_value
      - .offset:         48
        .size:           4
        .value_kind:     hidden_block_count_x
      - .offset:         52
        .size:           4
        .value_kind:     hidden_block_count_y
      - .offset:         56
        .size:           4
        .value_kind:     hidden_block_count_z
      - .offset:         60
        .size:           2
        .value_kind:     hidden_group_size_x
      - .offset:         62
        .size:           2
        .value_kind:     hidden_group_size_y
      - .offset:         64
        .size:           2
        .value_kind:     hidden_group_size_z
      - .offset:         66
        .size:           2
        .value_kind:     hidden_remainder_x
      - .offset:         68
        .size:           2
        .value_kind:     hidden_remainder_y
      - .offset:         70
        .size:           2
        .value_kind:     hidden_remainder_z
      - .offset:         88
        .size:           8
        .value_kind:     hidden_global_offset_x
      - .offset:         96
        .size:           8
        .value_kind:     hidden_global_offset_y
      - .offset:         104
        .size:           8
        .value_kind:     hidden_global_offset_z
      - .offset:         112
        .size:           2
        .value_kind:     hidden_grid_dims
    .group_segment_fixed_size: 0
    .kernarg_segment_align: 8
    .kernarg_segment_size: 304
    .language:       OpenCL C
    .language_version:
      - 2
      - 0
    .max_flat_workgroup_size: 1024
    .name:           _ZN5aiter30swiglu_act_and_mul_bias_kernelIttafLi2EEEvPT0_PKT_PKT1_PKT2_il
    .private_segment_fixed_size: 0
    .sgpr_count:     40
    .sgpr_spill_count: 0
    .symbol:         _ZN5aiter30swiglu_act_and_mul_bias_kernelIttafLi2EEEvPT0_PKT_PKT1_PKT2_il.kd
    .uniform_work_group_size: 1
    .uses_dynamic_stack: false
    .vgpr_count:     20
    .vgpr_spill_count: 0
    .wavefront_size: 64
  - .agpr_count:     0
    .args:
      - .actual_access:  write_only
        .address_space:  global
        .offset:         0
        .size:           8
        .value_kind:     global_buffer
      - .actual_access:  read_only
        .address_space:  global
        .offset:         8
        .size:           8
        .value_kind:     global_buffer
      - .actual_access:  read_only
        .address_space:  global
        .offset:         16
        .size:           8
        .value_kind:     global_buffer
      - .actual_access:  read_only
        .address_space:  global
        .offset:         24
        .size:           8
        .value_kind:     global_buffer
      - .offset:         32
        .size:           4
        .value_kind:     by_value
      - .offset:         40
        .size:           8
        .value_kind:     by_value
      - .offset:         48
        .size:           4
        .value_kind:     hidden_block_count_x
      - .offset:         52
        .size:           4
        .value_kind:     hidden_block_count_y
      - .offset:         56
        .size:           4
        .value_kind:     hidden_block_count_z
      - .offset:         60
        .size:           2
        .value_kind:     hidden_group_size_x
      - .offset:         62
        .size:           2
        .value_kind:     hidden_group_size_y
      - .offset:         64
        .size:           2
        .value_kind:     hidden_group_size_z
      - .offset:         66
        .size:           2
        .value_kind:     hidden_remainder_x
      - .offset:         68
        .size:           2
        .value_kind:     hidden_remainder_y
      - .offset:         70
        .size:           2
        .value_kind:     hidden_remainder_z
      - .offset:         88
        .size:           8
        .value_kind:     hidden_global_offset_x
      - .offset:         96
        .size:           8
        .value_kind:     hidden_global_offset_y
      - .offset:         104
        .size:           8
        .value_kind:     hidden_global_offset_z
      - .offset:         112
        .size:           2
        .value_kind:     hidden_grid_dims
    .group_segment_fixed_size: 0
    .kernarg_segment_align: 8
    .kernarg_segment_size: 304
    .language:       OpenCL C
    .language_version:
      - 2
      - 0
    .max_flat_workgroup_size: 1024
    .name:           _ZN5aiter30swiglu_act_and_mul_bias_kernelIttafLi1EEEvPT0_PKT_PKT1_PKT2_il
    .private_segment_fixed_size: 0
    .sgpr_count:     37
    .sgpr_spill_count: 0
    .symbol:         _ZN5aiter30swiglu_act_and_mul_bias_kernelIttafLi1EEEvPT0_PKT_PKT1_PKT2_il.kd
    .uniform_work_group_size: 1
    .uses_dynamic_stack: false
    .vgpr_count:     12
    .vgpr_spill_count: 0
    .wavefront_size: 64
  - .agpr_count:     0
    .args:
      - .actual_access:  write_only
        .address_space:  global
        .offset:         0
        .size:           8
        .value_kind:     global_buffer
      - .actual_access:  read_only
        .address_space:  global
        .offset:         8
        .size:           8
        .value_kind:     global_buffer
      - .actual_access:  read_only
        .address_space:  global
        .offset:         16
        .size:           8
        .value_kind:     global_buffer
      - .actual_access:  read_only
        .address_space:  global
        .offset:         24
        .size:           8
        .value_kind:     global_buffer
      - .offset:         32
        .size:           4
        .value_kind:     by_value
      - .offset:         40
        .size:           8
        .value_kind:     by_value
      - .offset:         48
        .size:           4
        .value_kind:     hidden_block_count_x
      - .offset:         52
        .size:           4
        .value_kind:     hidden_block_count_y
      - .offset:         56
        .size:           4
        .value_kind:     hidden_block_count_z
      - .offset:         60
        .size:           2
        .value_kind:     hidden_group_size_x
      - .offset:         62
        .size:           2
        .value_kind:     hidden_group_size_y
      - .offset:         64
        .size:           2
        .value_kind:     hidden_group_size_z
      - .offset:         66
        .size:           2
        .value_kind:     hidden_remainder_x
      - .offset:         68
        .size:           2
        .value_kind:     hidden_remainder_y
      - .offset:         70
        .size:           2
        .value_kind:     hidden_remainder_z
      - .offset:         88
        .size:           8
        .value_kind:     hidden_global_offset_x
      - .offset:         96
        .size:           8
        .value_kind:     hidden_global_offset_y
      - .offset:         104
        .size:           8
        .value_kind:     hidden_global_offset_z
      - .offset:         112
        .size:           2
        .value_kind:     hidden_grid_dims
    .group_segment_fixed_size: 0
    .kernarg_segment_align: 8
    .kernarg_segment_size: 304
    .language:       OpenCL C
    .language_version:
      - 2
      - 0
    .max_flat_workgroup_size: 1024
    .name:           _ZN5aiter30swiglu_act_and_mul_bias_kernelIftsfLi16EEEvPT0_PKT_PKT1_PKT2_il
    .private_segment_fixed_size: 0
    .sgpr_count:     96
    .sgpr_spill_count: 0
    .symbol:         _ZN5aiter30swiglu_act_and_mul_bias_kernelIftsfLi16EEEvPT0_PKT_PKT1_PKT2_il.kd
    .uniform_work_group_size: 1
    .uses_dynamic_stack: false
    .vgpr_count:     76
    .vgpr_spill_count: 0
    .wavefront_size: 64
  - .agpr_count:     0
    .args:
      - .actual_access:  write_only
        .address_space:  global
        .offset:         0
        .size:           8
        .value_kind:     global_buffer
      - .actual_access:  read_only
        .address_space:  global
        .offset:         8
        .size:           8
        .value_kind:     global_buffer
      - .actual_access:  read_only
        .address_space:  global
        .offset:         16
        .size:           8
        .value_kind:     global_buffer
      - .actual_access:  read_only
        .address_space:  global
        .offset:         24
        .size:           8
        .value_kind:     global_buffer
      - .offset:         32
        .size:           4
        .value_kind:     by_value
      - .offset:         40
        .size:           8
        .value_kind:     by_value
      - .offset:         48
        .size:           4
        .value_kind:     hidden_block_count_x
      - .offset:         52
        .size:           4
        .value_kind:     hidden_block_count_y
      - .offset:         56
        .size:           4
        .value_kind:     hidden_block_count_z
      - .offset:         60
        .size:           2
        .value_kind:     hidden_group_size_x
      - .offset:         62
        .size:           2
        .value_kind:     hidden_group_size_y
      - .offset:         64
        .size:           2
        .value_kind:     hidden_group_size_z
      - .offset:         66
        .size:           2
        .value_kind:     hidden_remainder_x
      - .offset:         68
        .size:           2
        .value_kind:     hidden_remainder_y
      - .offset:         70
        .size:           2
        .value_kind:     hidden_remainder_z
      - .offset:         88
        .size:           8
        .value_kind:     hidden_global_offset_x
      - .offset:         96
        .size:           8
        .value_kind:     hidden_global_offset_y
      - .offset:         104
        .size:           8
        .value_kind:     hidden_global_offset_z
      - .offset:         112
        .size:           2
        .value_kind:     hidden_grid_dims
    .group_segment_fixed_size: 0
    .kernarg_segment_align: 8
    .kernarg_segment_size: 304
    .language:       OpenCL C
    .language_version:
      - 2
      - 0
    .max_flat_workgroup_size: 1024
    .name:           _ZN5aiter30swiglu_act_and_mul_bias_kernelIftsfLi8EEEvPT0_PKT_PKT1_PKT2_il
    .private_segment_fixed_size: 0
    .sgpr_count:     54
    .sgpr_spill_count: 0
    .symbol:         _ZN5aiter30swiglu_act_and_mul_bias_kernelIftsfLi8EEEvPT0_PKT_PKT1_PKT2_il.kd
    .uniform_work_group_size: 1
    .uses_dynamic_stack: false
    .vgpr_count:     54
    .vgpr_spill_count: 0
    .wavefront_size: 64
  - .agpr_count:     0
    .args:
      - .actual_access:  write_only
        .address_space:  global
        .offset:         0
        .size:           8
        .value_kind:     global_buffer
      - .actual_access:  read_only
        .address_space:  global
        .offset:         8
        .size:           8
        .value_kind:     global_buffer
      - .actual_access:  read_only
        .address_space:  global
        .offset:         16
        .size:           8
        .value_kind:     global_buffer
      - .actual_access:  read_only
        .address_space:  global
        .offset:         24
        .size:           8
        .value_kind:     global_buffer
      - .offset:         32
        .size:           4
        .value_kind:     by_value
      - .offset:         40
        .size:           8
        .value_kind:     by_value
      - .offset:         48
        .size:           4
        .value_kind:     hidden_block_count_x
      - .offset:         52
        .size:           4
        .value_kind:     hidden_block_count_y
      - .offset:         56
        .size:           4
        .value_kind:     hidden_block_count_z
      - .offset:         60
        .size:           2
        .value_kind:     hidden_group_size_x
      - .offset:         62
        .size:           2
        .value_kind:     hidden_group_size_y
      - .offset:         64
        .size:           2
        .value_kind:     hidden_group_size_z
      - .offset:         66
        .size:           2
        .value_kind:     hidden_remainder_x
      - .offset:         68
        .size:           2
        .value_kind:     hidden_remainder_y
      - .offset:         70
        .size:           2
        .value_kind:     hidden_remainder_z
      - .offset:         88
        .size:           8
        .value_kind:     hidden_global_offset_x
      - .offset:         96
        .size:           8
        .value_kind:     hidden_global_offset_y
      - .offset:         104
        .size:           8
        .value_kind:     hidden_global_offset_z
      - .offset:         112
        .size:           2
        .value_kind:     hidden_grid_dims
    .group_segment_fixed_size: 0
    .kernarg_segment_align: 8
    .kernarg_segment_size: 304
    .language:       OpenCL C
    .language_version:
      - 2
      - 0
    .max_flat_workgroup_size: 1024
    .name:           _ZN5aiter30swiglu_act_and_mul_bias_kernelIftsfLi4EEEvPT0_PKT_PKT1_PKT2_il
    .private_segment_fixed_size: 0
    .sgpr_count:     46
    .sgpr_spill_count: 0
    .symbol:         _ZN5aiter30swiglu_act_and_mul_bias_kernelIftsfLi4EEEvPT0_PKT_PKT1_PKT2_il.kd
    .uniform_work_group_size: 1
    .uses_dynamic_stack: false
    .vgpr_count:     30
    .vgpr_spill_count: 0
    .wavefront_size: 64
  - .agpr_count:     0
    .args:
      - .actual_access:  write_only
        .address_space:  global
        .offset:         0
        .size:           8
        .value_kind:     global_buffer
      - .actual_access:  read_only
        .address_space:  global
        .offset:         8
        .size:           8
        .value_kind:     global_buffer
      - .actual_access:  read_only
        .address_space:  global
        .offset:         16
        .size:           8
        .value_kind:     global_buffer
      - .actual_access:  read_only
        .address_space:  global
        .offset:         24
        .size:           8
        .value_kind:     global_buffer
      - .offset:         32
        .size:           4
        .value_kind:     by_value
      - .offset:         40
        .size:           8
        .value_kind:     by_value
      - .offset:         48
        .size:           4
        .value_kind:     hidden_block_count_x
      - .offset:         52
        .size:           4
        .value_kind:     hidden_block_count_y
      - .offset:         56
        .size:           4
        .value_kind:     hidden_block_count_z
      - .offset:         60
        .size:           2
        .value_kind:     hidden_group_size_x
      - .offset:         62
        .size:           2
        .value_kind:     hidden_group_size_y
      - .offset:         64
        .size:           2
        .value_kind:     hidden_group_size_z
      - .offset:         66
        .size:           2
        .value_kind:     hidden_remainder_x
      - .offset:         68
        .size:           2
        .value_kind:     hidden_remainder_y
      - .offset:         70
        .size:           2
        .value_kind:     hidden_remainder_z
      - .offset:         88
        .size:           8
        .value_kind:     hidden_global_offset_x
      - .offset:         96
        .size:           8
        .value_kind:     hidden_global_offset_y
      - .offset:         104
        .size:           8
        .value_kind:     hidden_global_offset_z
      - .offset:         112
        .size:           2
        .value_kind:     hidden_grid_dims
    .group_segment_fixed_size: 0
    .kernarg_segment_align: 8
    .kernarg_segment_size: 304
    .language:       OpenCL C
    .language_version:
      - 2
      - 0
    .max_flat_workgroup_size: 1024
    .name:           _ZN5aiter30swiglu_act_and_mul_bias_kernelIftsfLi2EEEvPT0_PKT_PKT1_PKT2_il
    .private_segment_fixed_size: 0
    .sgpr_count:     42
    .sgpr_spill_count: 0
    .symbol:         _ZN5aiter30swiglu_act_and_mul_bias_kernelIftsfLi2EEEvPT0_PKT_PKT1_PKT2_il.kd
    .uniform_work_group_size: 1
    .uses_dynamic_stack: false
    .vgpr_count:     18
    .vgpr_spill_count: 0
    .wavefront_size: 64
  - .agpr_count:     0
    .args:
      - .actual_access:  write_only
        .address_space:  global
        .offset:         0
        .size:           8
        .value_kind:     global_buffer
      - .actual_access:  read_only
        .address_space:  global
        .offset:         8
        .size:           8
        .value_kind:     global_buffer
      - .actual_access:  read_only
        .address_space:  global
        .offset:         16
        .size:           8
        .value_kind:     global_buffer
      - .actual_access:  read_only
        .address_space:  global
        .offset:         24
        .size:           8
        .value_kind:     global_buffer
      - .offset:         32
        .size:           4
        .value_kind:     by_value
      - .offset:         40
        .size:           8
        .value_kind:     by_value
      - .offset:         48
        .size:           4
        .value_kind:     hidden_block_count_x
      - .offset:         52
        .size:           4
        .value_kind:     hidden_block_count_y
      - .offset:         56
        .size:           4
        .value_kind:     hidden_block_count_z
      - .offset:         60
        .size:           2
        .value_kind:     hidden_group_size_x
      - .offset:         62
        .size:           2
        .value_kind:     hidden_group_size_y
      - .offset:         64
        .size:           2
        .value_kind:     hidden_group_size_z
      - .offset:         66
        .size:           2
        .value_kind:     hidden_remainder_x
      - .offset:         68
        .size:           2
        .value_kind:     hidden_remainder_y
      - .offset:         70
        .size:           2
        .value_kind:     hidden_remainder_z
      - .offset:         88
        .size:           8
        .value_kind:     hidden_global_offset_x
      - .offset:         96
        .size:           8
        .value_kind:     hidden_global_offset_y
      - .offset:         104
        .size:           8
        .value_kind:     hidden_global_offset_z
      - .offset:         112
        .size:           2
        .value_kind:     hidden_grid_dims
    .group_segment_fixed_size: 0
    .kernarg_segment_align: 8
    .kernarg_segment_size: 304
    .language:       OpenCL C
    .language_version:
      - 2
      - 0
    .max_flat_workgroup_size: 1024
    .name:           _ZN5aiter30swiglu_act_and_mul_bias_kernelIftsfLi1EEEvPT0_PKT_PKT1_PKT2_il
    .private_segment_fixed_size: 0
    .sgpr_count:     37
    .sgpr_spill_count: 0
    .symbol:         _ZN5aiter30swiglu_act_and_mul_bias_kernelIftsfLi1EEEvPT0_PKT_PKT1_PKT2_il.kd
    .uniform_work_group_size: 1
    .uses_dynamic_stack: false
    .vgpr_count:     11
    .vgpr_spill_count: 0
    .wavefront_size: 64
  - .agpr_count:     0
    .args:
      - .actual_access:  write_only
        .address_space:  global
        .offset:         0
        .size:           8
        .value_kind:     global_buffer
      - .actual_access:  read_only
        .address_space:  global
        .offset:         8
        .size:           8
        .value_kind:     global_buffer
      - .actual_access:  read_only
        .address_space:  global
        .offset:         16
        .size:           8
        .value_kind:     global_buffer
      - .actual_access:  read_only
        .address_space:  global
        .offset:         24
        .size:           8
        .value_kind:     global_buffer
      - .offset:         32
        .size:           4
        .value_kind:     by_value
      - .offset:         40
        .size:           8
        .value_kind:     by_value
      - .offset:         48
        .size:           4
        .value_kind:     hidden_block_count_x
      - .offset:         52
        .size:           4
        .value_kind:     hidden_block_count_y
      - .offset:         56
        .size:           4
        .value_kind:     hidden_block_count_z
      - .offset:         60
        .size:           2
        .value_kind:     hidden_group_size_x
      - .offset:         62
        .size:           2
        .value_kind:     hidden_group_size_y
      - .offset:         64
        .size:           2
        .value_kind:     hidden_group_size_z
      - .offset:         66
        .size:           2
        .value_kind:     hidden_remainder_x
      - .offset:         68
        .size:           2
        .value_kind:     hidden_remainder_y
      - .offset:         70
        .size:           2
        .value_kind:     hidden_remainder_z
      - .offset:         88
        .size:           8
        .value_kind:     hidden_global_offset_x
      - .offset:         96
        .size:           8
        .value_kind:     hidden_global_offset_y
      - .offset:         104
        .size:           8
        .value_kind:     hidden_global_offset_z
      - .offset:         112
        .size:           2
        .value_kind:     hidden_grid_dims
    .group_segment_fixed_size: 0
    .kernarg_segment_align: 8
    .kernarg_segment_size: 304
    .language:       OpenCL C
    .language_version:
      - 2
      - 0
    .max_flat_workgroup_size: 1024
    .name:           _ZN5aiter30swiglu_act_and_mul_bias_kernelIfDF16_sfLi16EEEvPT0_PKT_PKT1_PKT2_il
    .private_segment_fixed_size: 0
    .sgpr_count:     81
    .sgpr_spill_count: 0
    .symbol:         _ZN5aiter30swiglu_act_and_mul_bias_kernelIfDF16_sfLi16EEEvPT0_PKT_PKT1_PKT2_il.kd
    .uniform_work_group_size: 1
    .uses_dynamic_stack: false
    .vgpr_count:     61
    .vgpr_spill_count: 0
    .wavefront_size: 64
  - .agpr_count:     0
    .args:
      - .actual_access:  write_only
        .address_space:  global
        .offset:         0
        .size:           8
        .value_kind:     global_buffer
      - .actual_access:  read_only
        .address_space:  global
        .offset:         8
        .size:           8
        .value_kind:     global_buffer
      - .actual_access:  read_only
        .address_space:  global
        .offset:         16
        .size:           8
        .value_kind:     global_buffer
      - .actual_access:  read_only
        .address_space:  global
        .offset:         24
        .size:           8
        .value_kind:     global_buffer
      - .offset:         32
        .size:           4
        .value_kind:     by_value
      - .offset:         40
        .size:           8
        .value_kind:     by_value
      - .offset:         48
        .size:           4
        .value_kind:     hidden_block_count_x
      - .offset:         52
        .size:           4
        .value_kind:     hidden_block_count_y
      - .offset:         56
        .size:           4
        .value_kind:     hidden_block_count_z
      - .offset:         60
        .size:           2
        .value_kind:     hidden_group_size_x
      - .offset:         62
        .size:           2
        .value_kind:     hidden_group_size_y
      - .offset:         64
        .size:           2
        .value_kind:     hidden_group_size_z
      - .offset:         66
        .size:           2
        .value_kind:     hidden_remainder_x
      - .offset:         68
        .size:           2
        .value_kind:     hidden_remainder_y
      - .offset:         70
        .size:           2
        .value_kind:     hidden_remainder_z
      - .offset:         88
        .size:           8
        .value_kind:     hidden_global_offset_x
      - .offset:         96
        .size:           8
        .value_kind:     hidden_global_offset_y
      - .offset:         104
        .size:           8
        .value_kind:     hidden_global_offset_z
      - .offset:         112
        .size:           2
        .value_kind:     hidden_grid_dims
    .group_segment_fixed_size: 0
    .kernarg_segment_align: 8
    .kernarg_segment_size: 304
    .language:       OpenCL C
    .language_version:
      - 2
      - 0
    .max_flat_workgroup_size: 1024
    .name:           _ZN5aiter30swiglu_act_and_mul_bias_kernelIfDF16_sfLi8EEEvPT0_PKT_PKT1_PKT2_il
    .private_segment_fixed_size: 0
    .sgpr_count:     53
    .sgpr_spill_count: 0
    .symbol:         _ZN5aiter30swiglu_act_and_mul_bias_kernelIfDF16_sfLi8EEEvPT0_PKT_PKT1_PKT2_il.kd
    .uniform_work_group_size: 1
    .uses_dynamic_stack: false
    .vgpr_count:     54
    .vgpr_spill_count: 0
    .wavefront_size: 64
  - .agpr_count:     0
    .args:
      - .actual_access:  write_only
        .address_space:  global
        .offset:         0
        .size:           8
        .value_kind:     global_buffer
      - .actual_access:  read_only
        .address_space:  global
        .offset:         8
        .size:           8
        .value_kind:     global_buffer
      - .actual_access:  read_only
        .address_space:  global
        .offset:         16
        .size:           8
        .value_kind:     global_buffer
      - .actual_access:  read_only
        .address_space:  global
        .offset:         24
        .size:           8
        .value_kind:     global_buffer
      - .offset:         32
        .size:           4
        .value_kind:     by_value
      - .offset:         40
        .size:           8
        .value_kind:     by_value
      - .offset:         48
        .size:           4
        .value_kind:     hidden_block_count_x
      - .offset:         52
        .size:           4
        .value_kind:     hidden_block_count_y
      - .offset:         56
        .size:           4
        .value_kind:     hidden_block_count_z
      - .offset:         60
        .size:           2
        .value_kind:     hidden_group_size_x
      - .offset:         62
        .size:           2
        .value_kind:     hidden_group_size_y
      - .offset:         64
        .size:           2
        .value_kind:     hidden_group_size_z
      - .offset:         66
        .size:           2
        .value_kind:     hidden_remainder_x
      - .offset:         68
        .size:           2
        .value_kind:     hidden_remainder_y
      - .offset:         70
        .size:           2
        .value_kind:     hidden_remainder_z
      - .offset:         88
        .size:           8
        .value_kind:     hidden_global_offset_x
      - .offset:         96
        .size:           8
        .value_kind:     hidden_global_offset_y
      - .offset:         104
        .size:           8
        .value_kind:     hidden_global_offset_z
      - .offset:         112
        .size:           2
        .value_kind:     hidden_grid_dims
    .group_segment_fixed_size: 0
    .kernarg_segment_align: 8
    .kernarg_segment_size: 304
    .language:       OpenCL C
    .language_version:
      - 2
      - 0
    .max_flat_workgroup_size: 1024
    .name:           _ZN5aiter30swiglu_act_and_mul_bias_kernelIfDF16_sfLi4EEEvPT0_PKT_PKT1_PKT2_il
    .private_segment_fixed_size: 0
    .sgpr_count:     47
    .sgpr_spill_count: 0
    .symbol:         _ZN5aiter30swiglu_act_and_mul_bias_kernelIfDF16_sfLi4EEEvPT0_PKT_PKT1_PKT2_il.kd
    .uniform_work_group_size: 1
    .uses_dynamic_stack: false
    .vgpr_count:     30
    .vgpr_spill_count: 0
    .wavefront_size: 64
  - .agpr_count:     0
    .args:
      - .actual_access:  write_only
        .address_space:  global
        .offset:         0
        .size:           8
        .value_kind:     global_buffer
      - .actual_access:  read_only
        .address_space:  global
        .offset:         8
        .size:           8
        .value_kind:     global_buffer
      - .actual_access:  read_only
        .address_space:  global
        .offset:         16
        .size:           8
        .value_kind:     global_buffer
      - .actual_access:  read_only
        .address_space:  global
        .offset:         24
        .size:           8
        .value_kind:     global_buffer
      - .offset:         32
        .size:           4
        .value_kind:     by_value
      - .offset:         40
        .size:           8
        .value_kind:     by_value
      - .offset:         48
        .size:           4
        .value_kind:     hidden_block_count_x
      - .offset:         52
        .size:           4
        .value_kind:     hidden_block_count_y
      - .offset:         56
        .size:           4
        .value_kind:     hidden_block_count_z
      - .offset:         60
        .size:           2
        .value_kind:     hidden_group_size_x
      - .offset:         62
        .size:           2
        .value_kind:     hidden_group_size_y
      - .offset:         64
        .size:           2
        .value_kind:     hidden_group_size_z
      - .offset:         66
        .size:           2
        .value_kind:     hidden_remainder_x
      - .offset:         68
        .size:           2
        .value_kind:     hidden_remainder_y
      - .offset:         70
        .size:           2
        .value_kind:     hidden_remainder_z
      - .offset:         88
        .size:           8
        .value_kind:     hidden_global_offset_x
      - .offset:         96
        .size:           8
        .value_kind:     hidden_global_offset_y
      - .offset:         104
        .size:           8
        .value_kind:     hidden_global_offset_z
      - .offset:         112
        .size:           2
        .value_kind:     hidden_grid_dims
    .group_segment_fixed_size: 0
    .kernarg_segment_align: 8
    .kernarg_segment_size: 304
    .language:       OpenCL C
    .language_version:
      - 2
      - 0
    .max_flat_workgroup_size: 1024
    .name:           _ZN5aiter30swiglu_act_and_mul_bias_kernelIfDF16_sfLi2EEEvPT0_PKT_PKT1_PKT2_il
    .private_segment_fixed_size: 0
    .sgpr_count:     41
    .sgpr_spill_count: 0
    .symbol:         _ZN5aiter30swiglu_act_and_mul_bias_kernelIfDF16_sfLi2EEEvPT0_PKT_PKT1_PKT2_il.kd
    .uniform_work_group_size: 1
    .uses_dynamic_stack: false
    .vgpr_count:     18
    .vgpr_spill_count: 0
    .wavefront_size: 64
  - .agpr_count:     0
    .args:
      - .actual_access:  write_only
        .address_space:  global
        .offset:         0
        .size:           8
        .value_kind:     global_buffer
      - .actual_access:  read_only
        .address_space:  global
        .offset:         8
        .size:           8
        .value_kind:     global_buffer
      - .actual_access:  read_only
        .address_space:  global
        .offset:         16
        .size:           8
        .value_kind:     global_buffer
      - .actual_access:  read_only
        .address_space:  global
        .offset:         24
        .size:           8
        .value_kind:     global_buffer
      - .offset:         32
        .size:           4
        .value_kind:     by_value
      - .offset:         40
        .size:           8
        .value_kind:     by_value
      - .offset:         48
        .size:           4
        .value_kind:     hidden_block_count_x
      - .offset:         52
        .size:           4
        .value_kind:     hidden_block_count_y
      - .offset:         56
        .size:           4
        .value_kind:     hidden_block_count_z
      - .offset:         60
        .size:           2
        .value_kind:     hidden_group_size_x
      - .offset:         62
        .size:           2
        .value_kind:     hidden_group_size_y
      - .offset:         64
        .size:           2
        .value_kind:     hidden_group_size_z
      - .offset:         66
        .size:           2
        .value_kind:     hidden_remainder_x
      - .offset:         68
        .size:           2
        .value_kind:     hidden_remainder_y
      - .offset:         70
        .size:           2
        .value_kind:     hidden_remainder_z
      - .offset:         88
        .size:           8
        .value_kind:     hidden_global_offset_x
      - .offset:         96
        .size:           8
        .value_kind:     hidden_global_offset_y
      - .offset:         104
        .size:           8
        .value_kind:     hidden_global_offset_z
      - .offset:         112
        .size:           2
        .value_kind:     hidden_grid_dims
    .group_segment_fixed_size: 0
    .kernarg_segment_align: 8
    .kernarg_segment_size: 304
    .language:       OpenCL C
    .language_version:
      - 2
      - 0
    .max_flat_workgroup_size: 1024
    .name:           _ZN5aiter30swiglu_act_and_mul_bias_kernelIfDF16_sfLi1EEEvPT0_PKT_PKT1_PKT2_il
    .private_segment_fixed_size: 0
    .sgpr_count:     37
    .sgpr_spill_count: 0
    .symbol:         _ZN5aiter30swiglu_act_and_mul_bias_kernelIfDF16_sfLi1EEEvPT0_PKT_PKT1_PKT2_il.kd
    .uniform_work_group_size: 1
    .uses_dynamic_stack: false
    .vgpr_count:     11
    .vgpr_spill_count: 0
    .wavefront_size: 64
  - .agpr_count:     0
    .args:
      - .actual_access:  write_only
        .address_space:  global
        .offset:         0
        .size:           8
        .value_kind:     global_buffer
      - .actual_access:  read_only
        .address_space:  global
        .offset:         8
        .size:           8
        .value_kind:     global_buffer
      - .actual_access:  read_only
        .address_space:  global
        .offset:         16
        .size:           8
        .value_kind:     global_buffer
      - .actual_access:  read_only
        .address_space:  global
        .offset:         24
        .size:           8
        .value_kind:     global_buffer
      - .offset:         32
        .size:           4
        .value_kind:     by_value
      - .offset:         40
        .size:           8
        .value_kind:     by_value
      - .offset:         48
        .size:           4
        .value_kind:     hidden_block_count_x
      - .offset:         52
        .size:           4
        .value_kind:     hidden_block_count_y
      - .offset:         56
        .size:           4
        .value_kind:     hidden_block_count_z
      - .offset:         60
        .size:           2
        .value_kind:     hidden_group_size_x
      - .offset:         62
        .size:           2
        .value_kind:     hidden_group_size_y
      - .offset:         64
        .size:           2
        .value_kind:     hidden_group_size_z
      - .offset:         66
        .size:           2
        .value_kind:     hidden_remainder_x
      - .offset:         68
        .size:           2
        .value_kind:     hidden_remainder_y
      - .offset:         70
        .size:           2
        .value_kind:     hidden_remainder_z
      - .offset:         88
        .size:           8
        .value_kind:     hidden_global_offset_x
      - .offset:         96
        .size:           8
        .value_kind:     hidden_global_offset_y
      - .offset:         104
        .size:           8
        .value_kind:     hidden_global_offset_z
      - .offset:         112
        .size:           2
        .value_kind:     hidden_grid_dims
    .group_segment_fixed_size: 0
    .kernarg_segment_align: 8
    .kernarg_segment_size: 304
    .language:       OpenCL C
    .language_version:
      - 2
      - 0
    .max_flat_workgroup_size: 1024
    .name:           _ZN5aiter30swiglu_act_and_mul_bias_kernelIffsfLi16EEEvPT0_PKT_PKT1_PKT2_il
    .private_segment_fixed_size: 0
    .sgpr_count:     40
    .sgpr_spill_count: 0
    .symbol:         _ZN5aiter30swiglu_act_and_mul_bias_kernelIffsfLi16EEEvPT0_PKT_PKT1_PKT2_il.kd
    .uniform_work_group_size: 1
    .uses_dynamic_stack: false
    .vgpr_count:     60
    .vgpr_spill_count: 0
    .wavefront_size: 64
  - .agpr_count:     0
    .args:
      - .actual_access:  write_only
        .address_space:  global
        .offset:         0
        .size:           8
        .value_kind:     global_buffer
      - .actual_access:  read_only
        .address_space:  global
        .offset:         8
        .size:           8
        .value_kind:     global_buffer
      - .actual_access:  read_only
        .address_space:  global
        .offset:         16
        .size:           8
        .value_kind:     global_buffer
      - .actual_access:  read_only
        .address_space:  global
        .offset:         24
        .size:           8
        .value_kind:     global_buffer
      - .offset:         32
        .size:           4
        .value_kind:     by_value
      - .offset:         40
        .size:           8
        .value_kind:     by_value
      - .offset:         48
        .size:           4
        .value_kind:     hidden_block_count_x
      - .offset:         52
        .size:           4
        .value_kind:     hidden_block_count_y
      - .offset:         56
        .size:           4
        .value_kind:     hidden_block_count_z
      - .offset:         60
        .size:           2
        .value_kind:     hidden_group_size_x
      - .offset:         62
        .size:           2
        .value_kind:     hidden_group_size_y
      - .offset:         64
        .size:           2
        .value_kind:     hidden_group_size_z
      - .offset:         66
        .size:           2
        .value_kind:     hidden_remainder_x
      - .offset:         68
        .size:           2
        .value_kind:     hidden_remainder_y
      - .offset:         70
        .size:           2
        .value_kind:     hidden_remainder_z
      - .offset:         88
        .size:           8
        .value_kind:     hidden_global_offset_x
      - .offset:         96
        .size:           8
        .value_kind:     hidden_global_offset_y
      - .offset:         104
        .size:           8
        .value_kind:     hidden_global_offset_z
      - .offset:         112
        .size:           2
        .value_kind:     hidden_grid_dims
    .group_segment_fixed_size: 0
    .kernarg_segment_align: 8
    .kernarg_segment_size: 304
    .language:       OpenCL C
    .language_version:
      - 2
      - 0
    .max_flat_workgroup_size: 1024
    .name:           _ZN5aiter30swiglu_act_and_mul_bias_kernelIffsfLi8EEEvPT0_PKT_PKT1_PKT2_il
    .private_segment_fixed_size: 0
    .sgpr_count:     37
    .sgpr_spill_count: 0
    .symbol:         _ZN5aiter30swiglu_act_and_mul_bias_kernelIffsfLi8EEEvPT0_PKT_PKT1_PKT2_il.kd
    .uniform_work_group_size: 1
    .uses_dynamic_stack: false
    .vgpr_count:     47
    .vgpr_spill_count: 0
    .wavefront_size: 64
  - .agpr_count:     0
    .args:
      - .actual_access:  write_only
        .address_space:  global
        .offset:         0
        .size:           8
        .value_kind:     global_buffer
      - .actual_access:  read_only
        .address_space:  global
        .offset:         8
        .size:           8
        .value_kind:     global_buffer
      - .actual_access:  read_only
        .address_space:  global
        .offset:         16
        .size:           8
        .value_kind:     global_buffer
      - .actual_access:  read_only
        .address_space:  global
        .offset:         24
        .size:           8
        .value_kind:     global_buffer
      - .offset:         32
        .size:           4
        .value_kind:     by_value
      - .offset:         40
        .size:           8
        .value_kind:     by_value
      - .offset:         48
        .size:           4
        .value_kind:     hidden_block_count_x
      - .offset:         52
        .size:           4
        .value_kind:     hidden_block_count_y
      - .offset:         56
        .size:           4
        .value_kind:     hidden_block_count_z
      - .offset:         60
        .size:           2
        .value_kind:     hidden_group_size_x
      - .offset:         62
        .size:           2
        .value_kind:     hidden_group_size_y
      - .offset:         64
        .size:           2
        .value_kind:     hidden_group_size_z
      - .offset:         66
        .size:           2
        .value_kind:     hidden_remainder_x
      - .offset:         68
        .size:           2
        .value_kind:     hidden_remainder_y
      - .offset:         70
        .size:           2
        .value_kind:     hidden_remainder_z
      - .offset:         88
        .size:           8
        .value_kind:     hidden_global_offset_x
      - .offset:         96
        .size:           8
        .value_kind:     hidden_global_offset_y
      - .offset:         104
        .size:           8
        .value_kind:     hidden_global_offset_z
      - .offset:         112
        .size:           2
        .value_kind:     hidden_grid_dims
    .group_segment_fixed_size: 0
    .kernarg_segment_align: 8
    .kernarg_segment_size: 304
    .language:       OpenCL C
    .language_version:
      - 2
      - 0
    .max_flat_workgroup_size: 1024
    .name:           _ZN5aiter30swiglu_act_and_mul_bias_kernelIffsfLi4EEEvPT0_PKT_PKT1_PKT2_il
    .private_segment_fixed_size: 0
    .sgpr_count:     37
    .sgpr_spill_count: 0
    .symbol:         _ZN5aiter30swiglu_act_and_mul_bias_kernelIffsfLi4EEEvPT0_PKT_PKT1_PKT2_il.kd
    .uniform_work_group_size: 1
    .uses_dynamic_stack: false
    .vgpr_count:     29
    .vgpr_spill_count: 0
    .wavefront_size: 64
  - .agpr_count:     0
    .args:
      - .actual_access:  write_only
        .address_space:  global
        .offset:         0
        .size:           8
        .value_kind:     global_buffer
      - .actual_access:  read_only
        .address_space:  global
        .offset:         8
        .size:           8
        .value_kind:     global_buffer
      - .actual_access:  read_only
        .address_space:  global
        .offset:         16
        .size:           8
        .value_kind:     global_buffer
      - .actual_access:  read_only
        .address_space:  global
        .offset:         24
        .size:           8
        .value_kind:     global_buffer
      - .offset:         32
        .size:           4
        .value_kind:     by_value
      - .offset:         40
        .size:           8
        .value_kind:     by_value
      - .offset:         48
        .size:           4
        .value_kind:     hidden_block_count_x
      - .offset:         52
        .size:           4
        .value_kind:     hidden_block_count_y
      - .offset:         56
        .size:           4
        .value_kind:     hidden_block_count_z
      - .offset:         60
        .size:           2
        .value_kind:     hidden_group_size_x
      - .offset:         62
        .size:           2
        .value_kind:     hidden_group_size_y
      - .offset:         64
        .size:           2
        .value_kind:     hidden_group_size_z
      - .offset:         66
        .size:           2
        .value_kind:     hidden_remainder_x
      - .offset:         68
        .size:           2
        .value_kind:     hidden_remainder_y
      - .offset:         70
        .size:           2
        .value_kind:     hidden_remainder_z
      - .offset:         88
        .size:           8
        .value_kind:     hidden_global_offset_x
      - .offset:         96
        .size:           8
        .value_kind:     hidden_global_offset_y
      - .offset:         104
        .size:           8
        .value_kind:     hidden_global_offset_z
      - .offset:         112
        .size:           2
        .value_kind:     hidden_grid_dims
    .group_segment_fixed_size: 0
    .kernarg_segment_align: 8
    .kernarg_segment_size: 304
    .language:       OpenCL C
    .language_version:
      - 2
      - 0
    .max_flat_workgroup_size: 1024
    .name:           _ZN5aiter30swiglu_act_and_mul_bias_kernelIffsfLi2EEEvPT0_PKT_PKT1_PKT2_il
    .private_segment_fixed_size: 0
    .sgpr_count:     37
    .sgpr_spill_count: 0
    .symbol:         _ZN5aiter30swiglu_act_and_mul_bias_kernelIffsfLi2EEEvPT0_PKT_PKT1_PKT2_il.kd
    .uniform_work_group_size: 1
    .uses_dynamic_stack: false
    .vgpr_count:     19
    .vgpr_spill_count: 0
    .wavefront_size: 64
  - .agpr_count:     0
    .args:
      - .actual_access:  write_only
        .address_space:  global
        .offset:         0
        .size:           8
        .value_kind:     global_buffer
      - .actual_access:  read_only
        .address_space:  global
        .offset:         8
        .size:           8
        .value_kind:     global_buffer
      - .actual_access:  read_only
        .address_space:  global
        .offset:         16
        .size:           8
        .value_kind:     global_buffer
      - .actual_access:  read_only
        .address_space:  global
        .offset:         24
        .size:           8
        .value_kind:     global_buffer
      - .offset:         32
        .size:           4
        .value_kind:     by_value
      - .offset:         40
        .size:           8
        .value_kind:     by_value
      - .offset:         48
        .size:           4
        .value_kind:     hidden_block_count_x
      - .offset:         52
        .size:           4
        .value_kind:     hidden_block_count_y
      - .offset:         56
        .size:           4
        .value_kind:     hidden_block_count_z
      - .offset:         60
        .size:           2
        .value_kind:     hidden_group_size_x
      - .offset:         62
        .size:           2
        .value_kind:     hidden_group_size_y
      - .offset:         64
        .size:           2
        .value_kind:     hidden_group_size_z
      - .offset:         66
        .size:           2
        .value_kind:     hidden_remainder_x
      - .offset:         68
        .size:           2
        .value_kind:     hidden_remainder_y
      - .offset:         70
        .size:           2
        .value_kind:     hidden_remainder_z
      - .offset:         88
        .size:           8
        .value_kind:     hidden_global_offset_x
      - .offset:         96
        .size:           8
        .value_kind:     hidden_global_offset_y
      - .offset:         104
        .size:           8
        .value_kind:     hidden_global_offset_z
      - .offset:         112
        .size:           2
        .value_kind:     hidden_grid_dims
    .group_segment_fixed_size: 0
    .kernarg_segment_align: 8
    .kernarg_segment_size: 304
    .language:       OpenCL C
    .language_version:
      - 2
      - 0
    .max_flat_workgroup_size: 1024
    .name:           _ZN5aiter30swiglu_act_and_mul_bias_kernelIffsfLi1EEEvPT0_PKT_PKT1_PKT2_il
    .private_segment_fixed_size: 0
    .sgpr_count:     36
    .sgpr_spill_count: 0
    .symbol:         _ZN5aiter30swiglu_act_and_mul_bias_kernelIffsfLi1EEEvPT0_PKT_PKT1_PKT2_il.kd
    .uniform_work_group_size: 1
    .uses_dynamic_stack: false
    .vgpr_count:     11
    .vgpr_spill_count: 0
    .wavefront_size: 64
  - .agpr_count:     0
    .args:
      - .actual_access:  write_only
        .address_space:  global
        .offset:         0
        .size:           8
        .value_kind:     global_buffer
      - .actual_access:  read_only
        .address_space:  global
        .offset:         8
        .size:           8
        .value_kind:     global_buffer
      - .actual_access:  read_only
        .address_space:  global
        .offset:         16
        .size:           8
        .value_kind:     global_buffer
      - .actual_access:  read_only
        .address_space:  global
        .offset:         24
        .size:           8
        .value_kind:     global_buffer
      - .offset:         32
        .size:           4
        .value_kind:     by_value
      - .offset:         40
        .size:           8
        .value_kind:     by_value
      - .offset:         48
        .size:           4
        .value_kind:     hidden_block_count_x
      - .offset:         52
        .size:           4
        .value_kind:     hidden_block_count_y
      - .offset:         56
        .size:           4
        .value_kind:     hidden_block_count_z
      - .offset:         60
        .size:           2
        .value_kind:     hidden_group_size_x
      - .offset:         62
        .size:           2
        .value_kind:     hidden_group_size_y
      - .offset:         64
        .size:           2
        .value_kind:     hidden_group_size_z
      - .offset:         66
        .size:           2
        .value_kind:     hidden_remainder_x
      - .offset:         68
        .size:           2
        .value_kind:     hidden_remainder_y
      - .offset:         70
        .size:           2
        .value_kind:     hidden_remainder_z
      - .offset:         88
        .size:           8
        .value_kind:     hidden_global_offset_x
      - .offset:         96
        .size:           8
        .value_kind:     hidden_global_offset_y
      - .offset:         104
        .size:           8
        .value_kind:     hidden_global_offset_z
      - .offset:         112
        .size:           2
        .value_kind:     hidden_grid_dims
    .group_segment_fixed_size: 0
    .kernarg_segment_align: 8
    .kernarg_segment_size: 304
    .language:       OpenCL C
    .language_version:
      - 2
      - 0
    .max_flat_workgroup_size: 1024
    .name:           _ZN5aiter30swiglu_act_and_mul_bias_kernelIDF16_DF16_sfLi32EEEvPT0_PKT_PKT1_PKT2_il
    .private_segment_fixed_size: 0
    .sgpr_count:     44
    .sgpr_spill_count: 0
    .symbol:         _ZN5aiter30swiglu_act_and_mul_bias_kernelIDF16_DF16_sfLi32EEEvPT0_PKT_PKT1_PKT2_il.kd
    .uniform_work_group_size: 1
    .uses_dynamic_stack: false
    .vgpr_count:     61
    .vgpr_spill_count: 0
    .wavefront_size: 64
  - .agpr_count:     0
    .args:
      - .actual_access:  write_only
        .address_space:  global
        .offset:         0
        .size:           8
        .value_kind:     global_buffer
      - .actual_access:  read_only
        .address_space:  global
        .offset:         8
        .size:           8
        .value_kind:     global_buffer
      - .actual_access:  read_only
        .address_space:  global
        .offset:         16
        .size:           8
        .value_kind:     global_buffer
      - .actual_access:  read_only
        .address_space:  global
        .offset:         24
        .size:           8
        .value_kind:     global_buffer
      - .offset:         32
        .size:           4
        .value_kind:     by_value
      - .offset:         40
        .size:           8
        .value_kind:     by_value
      - .offset:         48
        .size:           4
        .value_kind:     hidden_block_count_x
      - .offset:         52
        .size:           4
        .value_kind:     hidden_block_count_y
      - .offset:         56
        .size:           4
        .value_kind:     hidden_block_count_z
      - .offset:         60
        .size:           2
        .value_kind:     hidden_group_size_x
      - .offset:         62
        .size:           2
        .value_kind:     hidden_group_size_y
      - .offset:         64
        .size:           2
        .value_kind:     hidden_group_size_z
      - .offset:         66
        .size:           2
        .value_kind:     hidden_remainder_x
      - .offset:         68
        .size:           2
        .value_kind:     hidden_remainder_y
      - .offset:         70
        .size:           2
        .value_kind:     hidden_remainder_z
      - .offset:         88
        .size:           8
        .value_kind:     hidden_global_offset_x
      - .offset:         96
        .size:           8
        .value_kind:     hidden_global_offset_y
      - .offset:         104
        .size:           8
        .value_kind:     hidden_global_offset_z
      - .offset:         112
        .size:           2
        .value_kind:     hidden_grid_dims
    .group_segment_fixed_size: 0
    .kernarg_segment_align: 8
    .kernarg_segment_size: 304
    .language:       OpenCL C
    .language_version:
      - 2
      - 0
    .max_flat_workgroup_size: 1024
    .name:           _ZN5aiter30swiglu_act_and_mul_bias_kernelIDF16_DF16_sfLi16EEEvPT0_PKT_PKT1_PKT2_il
    .private_segment_fixed_size: 0
    .sgpr_count:     43
    .sgpr_spill_count: 0
    .symbol:         _ZN5aiter30swiglu_act_and_mul_bias_kernelIDF16_DF16_sfLi16EEEvPT0_PKT_PKT1_PKT2_il.kd
    .uniform_work_group_size: 1
    .uses_dynamic_stack: false
    .vgpr_count:     56
    .vgpr_spill_count: 0
    .wavefront_size: 64
  - .agpr_count:     0
    .args:
      - .actual_access:  write_only
        .address_space:  global
        .offset:         0
        .size:           8
        .value_kind:     global_buffer
      - .actual_access:  read_only
        .address_space:  global
        .offset:         8
        .size:           8
        .value_kind:     global_buffer
      - .actual_access:  read_only
        .address_space:  global
        .offset:         16
        .size:           8
        .value_kind:     global_buffer
      - .actual_access:  read_only
        .address_space:  global
        .offset:         24
        .size:           8
        .value_kind:     global_buffer
      - .offset:         32
        .size:           4
        .value_kind:     by_value
      - .offset:         40
        .size:           8
        .value_kind:     by_value
      - .offset:         48
        .size:           4
        .value_kind:     hidden_block_count_x
      - .offset:         52
        .size:           4
        .value_kind:     hidden_block_count_y
      - .offset:         56
        .size:           4
        .value_kind:     hidden_block_count_z
      - .offset:         60
        .size:           2
        .value_kind:     hidden_group_size_x
      - .offset:         62
        .size:           2
        .value_kind:     hidden_group_size_y
      - .offset:         64
        .size:           2
        .value_kind:     hidden_group_size_z
      - .offset:         66
        .size:           2
        .value_kind:     hidden_remainder_x
      - .offset:         68
        .size:           2
        .value_kind:     hidden_remainder_y
      - .offset:         70
        .size:           2
        .value_kind:     hidden_remainder_z
      - .offset:         88
        .size:           8
        .value_kind:     hidden_global_offset_x
      - .offset:         96
        .size:           8
        .value_kind:     hidden_global_offset_y
      - .offset:         104
        .size:           8
        .value_kind:     hidden_global_offset_z
      - .offset:         112
        .size:           2
        .value_kind:     hidden_grid_dims
    .group_segment_fixed_size: 0
    .kernarg_segment_align: 8
    .kernarg_segment_size: 304
    .language:       OpenCL C
    .language_version:
      - 2
      - 0
    .max_flat_workgroup_size: 1024
    .name:           _ZN5aiter30swiglu_act_and_mul_bias_kernelIDF16_DF16_sfLi8EEEvPT0_PKT_PKT1_PKT2_il
    .private_segment_fixed_size: 0
    .sgpr_count:     38
    .sgpr_spill_count: 0
    .symbol:         _ZN5aiter30swiglu_act_and_mul_bias_kernelIDF16_DF16_sfLi8EEEvPT0_PKT_PKT1_PKT2_il.kd
    .uniform_work_group_size: 1
    .uses_dynamic_stack: false
    .vgpr_count:     42
    .vgpr_spill_count: 0
    .wavefront_size: 64
  - .agpr_count:     0
    .args:
      - .actual_access:  write_only
        .address_space:  global
        .offset:         0
        .size:           8
        .value_kind:     global_buffer
      - .actual_access:  read_only
        .address_space:  global
        .offset:         8
        .size:           8
        .value_kind:     global_buffer
      - .actual_access:  read_only
        .address_space:  global
        .offset:         16
        .size:           8
        .value_kind:     global_buffer
      - .actual_access:  read_only
        .address_space:  global
        .offset:         24
        .size:           8
        .value_kind:     global_buffer
      - .offset:         32
        .size:           4
        .value_kind:     by_value
      - .offset:         40
        .size:           8
        .value_kind:     by_value
      - .offset:         48
        .size:           4
        .value_kind:     hidden_block_count_x
      - .offset:         52
        .size:           4
        .value_kind:     hidden_block_count_y
      - .offset:         56
        .size:           4
        .value_kind:     hidden_block_count_z
      - .offset:         60
        .size:           2
        .value_kind:     hidden_group_size_x
      - .offset:         62
        .size:           2
        .value_kind:     hidden_group_size_y
      - .offset:         64
        .size:           2
        .value_kind:     hidden_group_size_z
      - .offset:         66
        .size:           2
        .value_kind:     hidden_remainder_x
      - .offset:         68
        .size:           2
        .value_kind:     hidden_remainder_y
      - .offset:         70
        .size:           2
        .value_kind:     hidden_remainder_z
      - .offset:         88
        .size:           8
        .value_kind:     hidden_global_offset_x
      - .offset:         96
        .size:           8
        .value_kind:     hidden_global_offset_y
      - .offset:         104
        .size:           8
        .value_kind:     hidden_global_offset_z
      - .offset:         112
        .size:           2
        .value_kind:     hidden_grid_dims
    .group_segment_fixed_size: 0
    .kernarg_segment_align: 8
    .kernarg_segment_size: 304
    .language:       OpenCL C
    .language_version:
      - 2
      - 0
    .max_flat_workgroup_size: 1024
    .name:           _ZN5aiter30swiglu_act_and_mul_bias_kernelIDF16_DF16_sfLi4EEEvPT0_PKT_PKT1_PKT2_il
    .private_segment_fixed_size: 0
    .sgpr_count:     38
    .sgpr_spill_count: 0
    .symbol:         _ZN5aiter30swiglu_act_and_mul_bias_kernelIDF16_DF16_sfLi4EEEvPT0_PKT_PKT1_PKT2_il.kd
    .uniform_work_group_size: 1
    .uses_dynamic_stack: false
    .vgpr_count:     30
    .vgpr_spill_count: 0
    .wavefront_size: 64
  - .agpr_count:     0
    .args:
      - .actual_access:  write_only
        .address_space:  global
        .offset:         0
        .size:           8
        .value_kind:     global_buffer
      - .actual_access:  read_only
        .address_space:  global
        .offset:         8
        .size:           8
        .value_kind:     global_buffer
      - .actual_access:  read_only
        .address_space:  global
        .offset:         16
        .size:           8
        .value_kind:     global_buffer
      - .actual_access:  read_only
        .address_space:  global
        .offset:         24
        .size:           8
        .value_kind:     global_buffer
      - .offset:         32
        .size:           4
        .value_kind:     by_value
      - .offset:         40
        .size:           8
        .value_kind:     by_value
      - .offset:         48
        .size:           4
        .value_kind:     hidden_block_count_x
      - .offset:         52
        .size:           4
        .value_kind:     hidden_block_count_y
      - .offset:         56
        .size:           4
        .value_kind:     hidden_block_count_z
      - .offset:         60
        .size:           2
        .value_kind:     hidden_group_size_x
      - .offset:         62
        .size:           2
        .value_kind:     hidden_group_size_y
      - .offset:         64
        .size:           2
        .value_kind:     hidden_group_size_z
      - .offset:         66
        .size:           2
        .value_kind:     hidden_remainder_x
      - .offset:         68
        .size:           2
        .value_kind:     hidden_remainder_y
      - .offset:         70
        .size:           2
        .value_kind:     hidden_remainder_z
      - .offset:         88
        .size:           8
        .value_kind:     hidden_global_offset_x
      - .offset:         96
        .size:           8
        .value_kind:     hidden_global_offset_y
      - .offset:         104
        .size:           8
        .value_kind:     hidden_global_offset_z
      - .offset:         112
        .size:           2
        .value_kind:     hidden_grid_dims
    .group_segment_fixed_size: 0
    .kernarg_segment_align: 8
    .kernarg_segment_size: 304
    .language:       OpenCL C
    .language_version:
      - 2
      - 0
    .max_flat_workgroup_size: 1024
    .name:           _ZN5aiter30swiglu_act_and_mul_bias_kernelIDF16_DF16_sfLi2EEEvPT0_PKT_PKT1_PKT2_il
    .private_segment_fixed_size: 0
    .sgpr_count:     38
    .sgpr_spill_count: 0
    .symbol:         _ZN5aiter30swiglu_act_and_mul_bias_kernelIDF16_DF16_sfLi2EEEvPT0_PKT_PKT1_PKT2_il.kd
    .uniform_work_group_size: 1
    .uses_dynamic_stack: false
    .vgpr_count:     20
    .vgpr_spill_count: 0
    .wavefront_size: 64
  - .agpr_count:     0
    .args:
      - .actual_access:  write_only
        .address_space:  global
        .offset:         0
        .size:           8
        .value_kind:     global_buffer
      - .actual_access:  read_only
        .address_space:  global
        .offset:         8
        .size:           8
        .value_kind:     global_buffer
      - .actual_access:  read_only
        .address_space:  global
        .offset:         16
        .size:           8
        .value_kind:     global_buffer
      - .actual_access:  read_only
        .address_space:  global
        .offset:         24
        .size:           8
        .value_kind:     global_buffer
      - .offset:         32
        .size:           4
        .value_kind:     by_value
      - .offset:         40
        .size:           8
        .value_kind:     by_value
      - .offset:         48
        .size:           4
        .value_kind:     hidden_block_count_x
      - .offset:         52
        .size:           4
        .value_kind:     hidden_block_count_y
      - .offset:         56
        .size:           4
        .value_kind:     hidden_block_count_z
      - .offset:         60
        .size:           2
        .value_kind:     hidden_group_size_x
      - .offset:         62
        .size:           2
        .value_kind:     hidden_group_size_y
      - .offset:         64
        .size:           2
        .value_kind:     hidden_group_size_z
      - .offset:         66
        .size:           2
        .value_kind:     hidden_remainder_x
      - .offset:         68
        .size:           2
        .value_kind:     hidden_remainder_y
      - .offset:         70
        .size:           2
        .value_kind:     hidden_remainder_z
      - .offset:         88
        .size:           8
        .value_kind:     hidden_global_offset_x
      - .offset:         96
        .size:           8
        .value_kind:     hidden_global_offset_y
      - .offset:         104
        .size:           8
        .value_kind:     hidden_global_offset_z
      - .offset:         112
        .size:           2
        .value_kind:     hidden_grid_dims
    .group_segment_fixed_size: 0
    .kernarg_segment_align: 8
    .kernarg_segment_size: 304
    .language:       OpenCL C
    .language_version:
      - 2
      - 0
    .max_flat_workgroup_size: 1024
    .name:           _ZN5aiter30swiglu_act_and_mul_bias_kernelIDF16_DF16_sfLi1EEEvPT0_PKT_PKT1_PKT2_il
    .private_segment_fixed_size: 0
    .sgpr_count:     37
    .sgpr_spill_count: 0
    .symbol:         _ZN5aiter30swiglu_act_and_mul_bias_kernelIDF16_DF16_sfLi1EEEvPT0_PKT_PKT1_PKT2_il.kd
    .uniform_work_group_size: 1
    .uses_dynamic_stack: false
    .vgpr_count:     12
    .vgpr_spill_count: 0
    .wavefront_size: 64
  - .agpr_count:     0
    .args:
      - .actual_access:  write_only
        .address_space:  global
        .offset:         0
        .size:           8
        .value_kind:     global_buffer
      - .actual_access:  read_only
        .address_space:  global
        .offset:         8
        .size:           8
        .value_kind:     global_buffer
      - .actual_access:  read_only
        .address_space:  global
        .offset:         16
        .size:           8
        .value_kind:     global_buffer
      - .actual_access:  read_only
        .address_space:  global
        .offset:         24
        .size:           8
        .value_kind:     global_buffer
      - .offset:         32
        .size:           4
        .value_kind:     by_value
      - .offset:         40
        .size:           8
        .value_kind:     by_value
      - .offset:         48
        .size:           4
        .value_kind:     hidden_block_count_x
      - .offset:         52
        .size:           4
        .value_kind:     hidden_block_count_y
      - .offset:         56
        .size:           4
        .value_kind:     hidden_block_count_z
      - .offset:         60
        .size:           2
        .value_kind:     hidden_group_size_x
      - .offset:         62
        .size:           2
        .value_kind:     hidden_group_size_y
      - .offset:         64
        .size:           2
        .value_kind:     hidden_group_size_z
      - .offset:         66
        .size:           2
        .value_kind:     hidden_remainder_x
      - .offset:         68
        .size:           2
        .value_kind:     hidden_remainder_y
      - .offset:         70
        .size:           2
        .value_kind:     hidden_remainder_z
      - .offset:         88
        .size:           8
        .value_kind:     hidden_global_offset_x
      - .offset:         96
        .size:           8
        .value_kind:     hidden_global_offset_y
      - .offset:         104
        .size:           8
        .value_kind:     hidden_global_offset_z
      - .offset:         112
        .size:           2
        .value_kind:     hidden_grid_dims
    .group_segment_fixed_size: 0
    .kernarg_segment_align: 8
    .kernarg_segment_size: 304
    .language:       OpenCL C
    .language_version:
      - 2
      - 0
    .max_flat_workgroup_size: 1024
    .name:           _ZN5aiter30swiglu_act_and_mul_bias_kernelIttsfLi32EEEvPT0_PKT_PKT1_PKT2_il
    .private_segment_fixed_size: 0
    .sgpr_count:     49
    .sgpr_spill_count: 0
    .symbol:         _ZN5aiter30swiglu_act_and_mul_bias_kernelIttsfLi32EEEvPT0_PKT_PKT1_PKT2_il.kd
    .uniform_work_group_size: 1
    .uses_dynamic_stack: false
    .vgpr_count:     60
    .vgpr_spill_count: 0
    .wavefront_size: 64
  - .agpr_count:     0
    .args:
      - .actual_access:  write_only
        .address_space:  global
        .offset:         0
        .size:           8
        .value_kind:     global_buffer
      - .actual_access:  read_only
        .address_space:  global
        .offset:         8
        .size:           8
        .value_kind:     global_buffer
      - .actual_access:  read_only
        .address_space:  global
        .offset:         16
        .size:           8
        .value_kind:     global_buffer
      - .actual_access:  read_only
        .address_space:  global
        .offset:         24
        .size:           8
        .value_kind:     global_buffer
      - .offset:         32
        .size:           4
        .value_kind:     by_value
      - .offset:         40
        .size:           8
        .value_kind:     by_value
      - .offset:         48
        .size:           4
        .value_kind:     hidden_block_count_x
      - .offset:         52
        .size:           4
        .value_kind:     hidden_block_count_y
      - .offset:         56
        .size:           4
        .value_kind:     hidden_block_count_z
      - .offset:         60
        .size:           2
        .value_kind:     hidden_group_size_x
      - .offset:         62
        .size:           2
        .value_kind:     hidden_group_size_y
      - .offset:         64
        .size:           2
        .value_kind:     hidden_group_size_z
      - .offset:         66
        .size:           2
        .value_kind:     hidden_remainder_x
      - .offset:         68
        .size:           2
        .value_kind:     hidden_remainder_y
      - .offset:         70
        .size:           2
        .value_kind:     hidden_remainder_z
      - .offset:         88
        .size:           8
        .value_kind:     hidden_global_offset_x
      - .offset:         96
        .size:           8
        .value_kind:     hidden_global_offset_y
      - .offset:         104
        .size:           8
        .value_kind:     hidden_global_offset_z
      - .offset:         112
        .size:           2
        .value_kind:     hidden_grid_dims
    .group_segment_fixed_size: 0
    .kernarg_segment_align: 8
    .kernarg_segment_size: 304
    .language:       OpenCL C
    .language_version:
      - 2
      - 0
    .max_flat_workgroup_size: 1024
    .name:           _ZN5aiter30swiglu_act_and_mul_bias_kernelIttsfLi16EEEvPT0_PKT_PKT1_PKT2_il
    .private_segment_fixed_size: 0
    .sgpr_count:     40
    .sgpr_spill_count: 0
    .symbol:         _ZN5aiter30swiglu_act_and_mul_bias_kernelIttsfLi16EEEvPT0_PKT_PKT1_PKT2_il.kd
    .uniform_work_group_size: 1
    .uses_dynamic_stack: false
    .vgpr_count:     60
    .vgpr_spill_count: 0
    .wavefront_size: 64
  - .agpr_count:     0
    .args:
      - .actual_access:  write_only
        .address_space:  global
        .offset:         0
        .size:           8
        .value_kind:     global_buffer
      - .actual_access:  read_only
        .address_space:  global
        .offset:         8
        .size:           8
        .value_kind:     global_buffer
      - .actual_access:  read_only
        .address_space:  global
        .offset:         16
        .size:           8
        .value_kind:     global_buffer
      - .actual_access:  read_only
        .address_space:  global
        .offset:         24
        .size:           8
        .value_kind:     global_buffer
      - .offset:         32
        .size:           4
        .value_kind:     by_value
      - .offset:         40
        .size:           8
        .value_kind:     by_value
      - .offset:         48
        .size:           4
        .value_kind:     hidden_block_count_x
      - .offset:         52
        .size:           4
        .value_kind:     hidden_block_count_y
      - .offset:         56
        .size:           4
        .value_kind:     hidden_block_count_z
      - .offset:         60
        .size:           2
        .value_kind:     hidden_group_size_x
      - .offset:         62
        .size:           2
        .value_kind:     hidden_group_size_y
      - .offset:         64
        .size:           2
        .value_kind:     hidden_group_size_z
      - .offset:         66
        .size:           2
        .value_kind:     hidden_remainder_x
      - .offset:         68
        .size:           2
        .value_kind:     hidden_remainder_y
      - .offset:         70
        .size:           2
        .value_kind:     hidden_remainder_z
      - .offset:         88
        .size:           8
        .value_kind:     hidden_global_offset_x
      - .offset:         96
        .size:           8
        .value_kind:     hidden_global_offset_y
      - .offset:         104
        .size:           8
        .value_kind:     hidden_global_offset_z
      - .offset:         112
        .size:           2
        .value_kind:     hidden_grid_dims
    .group_segment_fixed_size: 0
    .kernarg_segment_align: 8
    .kernarg_segment_size: 304
    .language:       OpenCL C
    .language_version:
      - 2
      - 0
    .max_flat_workgroup_size: 1024
    .name:           _ZN5aiter30swiglu_act_and_mul_bias_kernelIttsfLi8EEEvPT0_PKT_PKT1_PKT2_il
    .private_segment_fixed_size: 0
    .sgpr_count:     40
    .sgpr_spill_count: 0
    .symbol:         _ZN5aiter30swiglu_act_and_mul_bias_kernelIttsfLi8EEEvPT0_PKT_PKT1_PKT2_il.kd
    .uniform_work_group_size: 1
    .uses_dynamic_stack: false
    .vgpr_count:     47
    .vgpr_spill_count: 0
    .wavefront_size: 64
  - .agpr_count:     0
    .args:
      - .actual_access:  write_only
        .address_space:  global
        .offset:         0
        .size:           8
        .value_kind:     global_buffer
      - .actual_access:  read_only
        .address_space:  global
        .offset:         8
        .size:           8
        .value_kind:     global_buffer
      - .actual_access:  read_only
        .address_space:  global
        .offset:         16
        .size:           8
        .value_kind:     global_buffer
      - .actual_access:  read_only
        .address_space:  global
        .offset:         24
        .size:           8
        .value_kind:     global_buffer
      - .offset:         32
        .size:           4
        .value_kind:     by_value
      - .offset:         40
        .size:           8
        .value_kind:     by_value
      - .offset:         48
        .size:           4
        .value_kind:     hidden_block_count_x
      - .offset:         52
        .size:           4
        .value_kind:     hidden_block_count_y
      - .offset:         56
        .size:           4
        .value_kind:     hidden_block_count_z
      - .offset:         60
        .size:           2
        .value_kind:     hidden_group_size_x
      - .offset:         62
        .size:           2
        .value_kind:     hidden_group_size_y
      - .offset:         64
        .size:           2
        .value_kind:     hidden_group_size_z
      - .offset:         66
        .size:           2
        .value_kind:     hidden_remainder_x
      - .offset:         68
        .size:           2
        .value_kind:     hidden_remainder_y
      - .offset:         70
        .size:           2
        .value_kind:     hidden_remainder_z
      - .offset:         88
        .size:           8
        .value_kind:     hidden_global_offset_x
      - .offset:         96
        .size:           8
        .value_kind:     hidden_global_offset_y
      - .offset:         104
        .size:           8
        .value_kind:     hidden_global_offset_z
      - .offset:         112
        .size:           2
        .value_kind:     hidden_grid_dims
    .group_segment_fixed_size: 0
    .kernarg_segment_align: 8
    .kernarg_segment_size: 304
    .language:       OpenCL C
    .language_version:
      - 2
      - 0
    .max_flat_workgroup_size: 1024
    .name:           _ZN5aiter30swiglu_act_and_mul_bias_kernelIttsfLi4EEEvPT0_PKT_PKT1_PKT2_il
    .private_segment_fixed_size: 0
    .sgpr_count:     40
    .sgpr_spill_count: 0
    .symbol:         _ZN5aiter30swiglu_act_and_mul_bias_kernelIttsfLi4EEEvPT0_PKT_PKT1_PKT2_il.kd
    .uniform_work_group_size: 1
    .uses_dynamic_stack: false
    .vgpr_count:     30
    .vgpr_spill_count: 0
    .wavefront_size: 64
  - .agpr_count:     0
    .args:
      - .actual_access:  write_only
        .address_space:  global
        .offset:         0
        .size:           8
        .value_kind:     global_buffer
      - .actual_access:  read_only
        .address_space:  global
        .offset:         8
        .size:           8
        .value_kind:     global_buffer
      - .actual_access:  read_only
        .address_space:  global
        .offset:         16
        .size:           8
        .value_kind:     global_buffer
      - .actual_access:  read_only
        .address_space:  global
        .offset:         24
        .size:           8
        .value_kind:     global_buffer
      - .offset:         32
        .size:           4
        .value_kind:     by_value
      - .offset:         40
        .size:           8
        .value_kind:     by_value
      - .offset:         48
        .size:           4
        .value_kind:     hidden_block_count_x
      - .offset:         52
        .size:           4
        .value_kind:     hidden_block_count_y
      - .offset:         56
        .size:           4
        .value_kind:     hidden_block_count_z
      - .offset:         60
        .size:           2
        .value_kind:     hidden_group_size_x
      - .offset:         62
        .size:           2
        .value_kind:     hidden_group_size_y
      - .offset:         64
        .size:           2
        .value_kind:     hidden_group_size_z
      - .offset:         66
        .size:           2
        .value_kind:     hidden_remainder_x
      - .offset:         68
        .size:           2
        .value_kind:     hidden_remainder_y
      - .offset:         70
        .size:           2
        .value_kind:     hidden_remainder_z
      - .offset:         88
        .size:           8
        .value_kind:     hidden_global_offset_x
      - .offset:         96
        .size:           8
        .value_kind:     hidden_global_offset_y
      - .offset:         104
        .size:           8
        .value_kind:     hidden_global_offset_z
      - .offset:         112
        .size:           2
        .value_kind:     hidden_grid_dims
    .group_segment_fixed_size: 0
    .kernarg_segment_align: 8
    .kernarg_segment_size: 304
    .language:       OpenCL C
    .language_version:
      - 2
      - 0
    .max_flat_workgroup_size: 1024
    .name:           _ZN5aiter30swiglu_act_and_mul_bias_kernelIttsfLi2EEEvPT0_PKT_PKT1_PKT2_il
    .private_segment_fixed_size: 0
    .sgpr_count:     40
    .sgpr_spill_count: 0
    .symbol:         _ZN5aiter30swiglu_act_and_mul_bias_kernelIttsfLi2EEEvPT0_PKT_PKT1_PKT2_il.kd
    .uniform_work_group_size: 1
    .uses_dynamic_stack: false
    .vgpr_count:     20
    .vgpr_spill_count: 0
    .wavefront_size: 64
  - .agpr_count:     0
    .args:
      - .actual_access:  write_only
        .address_space:  global
        .offset:         0
        .size:           8
        .value_kind:     global_buffer
      - .actual_access:  read_only
        .address_space:  global
        .offset:         8
        .size:           8
        .value_kind:     global_buffer
      - .actual_access:  read_only
        .address_space:  global
        .offset:         16
        .size:           8
        .value_kind:     global_buffer
      - .actual_access:  read_only
        .address_space:  global
        .offset:         24
        .size:           8
        .value_kind:     global_buffer
      - .offset:         32
        .size:           4
        .value_kind:     by_value
      - .offset:         40
        .size:           8
        .value_kind:     by_value
      - .offset:         48
        .size:           4
        .value_kind:     hidden_block_count_x
      - .offset:         52
        .size:           4
        .value_kind:     hidden_block_count_y
      - .offset:         56
        .size:           4
        .value_kind:     hidden_block_count_z
      - .offset:         60
        .size:           2
        .value_kind:     hidden_group_size_x
      - .offset:         62
        .size:           2
        .value_kind:     hidden_group_size_y
      - .offset:         64
        .size:           2
        .value_kind:     hidden_group_size_z
      - .offset:         66
        .size:           2
        .value_kind:     hidden_remainder_x
      - .offset:         68
        .size:           2
        .value_kind:     hidden_remainder_y
      - .offset:         70
        .size:           2
        .value_kind:     hidden_remainder_z
      - .offset:         88
        .size:           8
        .value_kind:     hidden_global_offset_x
      - .offset:         96
        .size:           8
        .value_kind:     hidden_global_offset_y
      - .offset:         104
        .size:           8
        .value_kind:     hidden_global_offset_z
      - .offset:         112
        .size:           2
        .value_kind:     hidden_grid_dims
    .group_segment_fixed_size: 0
    .kernarg_segment_align: 8
    .kernarg_segment_size: 304
    .language:       OpenCL C
    .language_version:
      - 2
      - 0
    .max_flat_workgroup_size: 1024
    .name:           _ZN5aiter30swiglu_act_and_mul_bias_kernelIttsfLi1EEEvPT0_PKT_PKT1_PKT2_il
    .private_segment_fixed_size: 0
    .sgpr_count:     37
    .sgpr_spill_count: 0
    .symbol:         _ZN5aiter30swiglu_act_and_mul_bias_kernelIttsfLi1EEEvPT0_PKT_PKT1_PKT2_il.kd
    .uniform_work_group_size: 1
    .uses_dynamic_stack: false
    .vgpr_count:     12
    .vgpr_spill_count: 0
    .wavefront_size: 64
  - .agpr_count:     0
    .args:
      - .actual_access:  write_only
        .address_space:  global
        .offset:         0
        .size:           8
        .value_kind:     global_buffer
      - .actual_access:  read_only
        .address_space:  global
        .offset:         8
        .size:           8
        .value_kind:     global_buffer
      - .actual_access:  read_only
        .address_space:  global
        .offset:         16
        .size:           8
        .value_kind:     global_buffer
      - .actual_access:  read_only
        .address_space:  global
        .offset:         24
        .size:           8
        .value_kind:     global_buffer
      - .offset:         32
        .size:           4
        .value_kind:     by_value
      - .offset:         40
        .size:           8
        .value_kind:     by_value
      - .offset:         48
        .size:           4
        .value_kind:     hidden_block_count_x
      - .offset:         52
        .size:           4
        .value_kind:     hidden_block_count_y
      - .offset:         56
        .size:           4
        .value_kind:     hidden_block_count_z
      - .offset:         60
        .size:           2
        .value_kind:     hidden_group_size_x
      - .offset:         62
        .size:           2
        .value_kind:     hidden_group_size_y
      - .offset:         64
        .size:           2
        .value_kind:     hidden_group_size_z
      - .offset:         66
        .size:           2
        .value_kind:     hidden_remainder_x
      - .offset:         68
        .size:           2
        .value_kind:     hidden_remainder_y
      - .offset:         70
        .size:           2
        .value_kind:     hidden_remainder_z
      - .offset:         88
        .size:           8
        .value_kind:     hidden_global_offset_x
      - .offset:         96
        .size:           8
        .value_kind:     hidden_global_offset_y
      - .offset:         104
        .size:           8
        .value_kind:     hidden_global_offset_z
      - .offset:         112
        .size:           2
        .value_kind:     hidden_grid_dims
    .group_segment_fixed_size: 0
    .kernarg_segment_align: 8
    .kernarg_segment_size: 304
    .language:       OpenCL C
    .language_version:
      - 2
      - 0
    .max_flat_workgroup_size: 1024
    .name:           _ZN5aiter30swiglu_act_and_mul_bias_kernelIftifLi16EEEvPT0_PKT_PKT1_PKT2_il
    .private_segment_fixed_size: 0
    .sgpr_count:     96
    .sgpr_spill_count: 0
    .symbol:         _ZN5aiter30swiglu_act_and_mul_bias_kernelIftifLi16EEEvPT0_PKT_PKT1_PKT2_il.kd
    .uniform_work_group_size: 1
    .uses_dynamic_stack: false
    .vgpr_count:     76
    .vgpr_spill_count: 0
    .wavefront_size: 64
  - .agpr_count:     0
    .args:
      - .actual_access:  write_only
        .address_space:  global
        .offset:         0
        .size:           8
        .value_kind:     global_buffer
      - .actual_access:  read_only
        .address_space:  global
        .offset:         8
        .size:           8
        .value_kind:     global_buffer
      - .actual_access:  read_only
        .address_space:  global
        .offset:         16
        .size:           8
        .value_kind:     global_buffer
      - .actual_access:  read_only
        .address_space:  global
        .offset:         24
        .size:           8
        .value_kind:     global_buffer
      - .offset:         32
        .size:           4
        .value_kind:     by_value
      - .offset:         40
        .size:           8
        .value_kind:     by_value
      - .offset:         48
        .size:           4
        .value_kind:     hidden_block_count_x
      - .offset:         52
        .size:           4
        .value_kind:     hidden_block_count_y
      - .offset:         56
        .size:           4
        .value_kind:     hidden_block_count_z
      - .offset:         60
        .size:           2
        .value_kind:     hidden_group_size_x
      - .offset:         62
        .size:           2
        .value_kind:     hidden_group_size_y
      - .offset:         64
        .size:           2
        .value_kind:     hidden_group_size_z
      - .offset:         66
        .size:           2
        .value_kind:     hidden_remainder_x
      - .offset:         68
        .size:           2
        .value_kind:     hidden_remainder_y
      - .offset:         70
        .size:           2
        .value_kind:     hidden_remainder_z
      - .offset:         88
        .size:           8
        .value_kind:     hidden_global_offset_x
      - .offset:         96
        .size:           8
        .value_kind:     hidden_global_offset_y
      - .offset:         104
        .size:           8
        .value_kind:     hidden_global_offset_z
      - .offset:         112
        .size:           2
        .value_kind:     hidden_grid_dims
    .group_segment_fixed_size: 0
    .kernarg_segment_align: 8
    .kernarg_segment_size: 304
    .language:       OpenCL C
    .language_version:
      - 2
      - 0
    .max_flat_workgroup_size: 1024
    .name:           _ZN5aiter30swiglu_act_and_mul_bias_kernelIftifLi8EEEvPT0_PKT_PKT1_PKT2_il
    .private_segment_fixed_size: 0
    .sgpr_count:     54
    .sgpr_spill_count: 0
    .symbol:         _ZN5aiter30swiglu_act_and_mul_bias_kernelIftifLi8EEEvPT0_PKT_PKT1_PKT2_il.kd
    .uniform_work_group_size: 1
    .uses_dynamic_stack: false
    .vgpr_count:     54
    .vgpr_spill_count: 0
    .wavefront_size: 64
  - .agpr_count:     0
    .args:
      - .actual_access:  write_only
        .address_space:  global
        .offset:         0
        .size:           8
        .value_kind:     global_buffer
      - .actual_access:  read_only
        .address_space:  global
        .offset:         8
        .size:           8
        .value_kind:     global_buffer
      - .actual_access:  read_only
        .address_space:  global
        .offset:         16
        .size:           8
        .value_kind:     global_buffer
      - .actual_access:  read_only
        .address_space:  global
        .offset:         24
        .size:           8
        .value_kind:     global_buffer
      - .offset:         32
        .size:           4
        .value_kind:     by_value
      - .offset:         40
        .size:           8
        .value_kind:     by_value
      - .offset:         48
        .size:           4
        .value_kind:     hidden_block_count_x
      - .offset:         52
        .size:           4
        .value_kind:     hidden_block_count_y
      - .offset:         56
        .size:           4
        .value_kind:     hidden_block_count_z
      - .offset:         60
        .size:           2
        .value_kind:     hidden_group_size_x
      - .offset:         62
        .size:           2
        .value_kind:     hidden_group_size_y
      - .offset:         64
        .size:           2
        .value_kind:     hidden_group_size_z
      - .offset:         66
        .size:           2
        .value_kind:     hidden_remainder_x
      - .offset:         68
        .size:           2
        .value_kind:     hidden_remainder_y
      - .offset:         70
        .size:           2
        .value_kind:     hidden_remainder_z
      - .offset:         88
        .size:           8
        .value_kind:     hidden_global_offset_x
      - .offset:         96
        .size:           8
        .value_kind:     hidden_global_offset_y
      - .offset:         104
        .size:           8
        .value_kind:     hidden_global_offset_z
      - .offset:         112
        .size:           2
        .value_kind:     hidden_grid_dims
    .group_segment_fixed_size: 0
    .kernarg_segment_align: 8
    .kernarg_segment_size: 304
    .language:       OpenCL C
    .language_version:
      - 2
      - 0
    .max_flat_workgroup_size: 1024
    .name:           _ZN5aiter30swiglu_act_and_mul_bias_kernelIftifLi4EEEvPT0_PKT_PKT1_PKT2_il
    .private_segment_fixed_size: 0
    .sgpr_count:     46
    .sgpr_spill_count: 0
    .symbol:         _ZN5aiter30swiglu_act_and_mul_bias_kernelIftifLi4EEEvPT0_PKT_PKT1_PKT2_il.kd
    .uniform_work_group_size: 1
    .uses_dynamic_stack: false
    .vgpr_count:     30
    .vgpr_spill_count: 0
    .wavefront_size: 64
  - .agpr_count:     0
    .args:
      - .actual_access:  write_only
        .address_space:  global
        .offset:         0
        .size:           8
        .value_kind:     global_buffer
      - .actual_access:  read_only
        .address_space:  global
        .offset:         8
        .size:           8
        .value_kind:     global_buffer
      - .actual_access:  read_only
        .address_space:  global
        .offset:         16
        .size:           8
        .value_kind:     global_buffer
      - .actual_access:  read_only
        .address_space:  global
        .offset:         24
        .size:           8
        .value_kind:     global_buffer
      - .offset:         32
        .size:           4
        .value_kind:     by_value
      - .offset:         40
        .size:           8
        .value_kind:     by_value
      - .offset:         48
        .size:           4
        .value_kind:     hidden_block_count_x
      - .offset:         52
        .size:           4
        .value_kind:     hidden_block_count_y
      - .offset:         56
        .size:           4
        .value_kind:     hidden_block_count_z
      - .offset:         60
        .size:           2
        .value_kind:     hidden_group_size_x
      - .offset:         62
        .size:           2
        .value_kind:     hidden_group_size_y
      - .offset:         64
        .size:           2
        .value_kind:     hidden_group_size_z
      - .offset:         66
        .size:           2
        .value_kind:     hidden_remainder_x
      - .offset:         68
        .size:           2
        .value_kind:     hidden_remainder_y
      - .offset:         70
        .size:           2
        .value_kind:     hidden_remainder_z
      - .offset:         88
        .size:           8
        .value_kind:     hidden_global_offset_x
      - .offset:         96
        .size:           8
        .value_kind:     hidden_global_offset_y
      - .offset:         104
        .size:           8
        .value_kind:     hidden_global_offset_z
      - .offset:         112
        .size:           2
        .value_kind:     hidden_grid_dims
    .group_segment_fixed_size: 0
    .kernarg_segment_align: 8
    .kernarg_segment_size: 304
    .language:       OpenCL C
    .language_version:
      - 2
      - 0
    .max_flat_workgroup_size: 1024
    .name:           _ZN5aiter30swiglu_act_and_mul_bias_kernelIftifLi2EEEvPT0_PKT_PKT1_PKT2_il
    .private_segment_fixed_size: 0
    .sgpr_count:     42
    .sgpr_spill_count: 0
    .symbol:         _ZN5aiter30swiglu_act_and_mul_bias_kernelIftifLi2EEEvPT0_PKT_PKT1_PKT2_il.kd
    .uniform_work_group_size: 1
    .uses_dynamic_stack: false
    .vgpr_count:     18
    .vgpr_spill_count: 0
    .wavefront_size: 64
  - .agpr_count:     0
    .args:
      - .actual_access:  write_only
        .address_space:  global
        .offset:         0
        .size:           8
        .value_kind:     global_buffer
      - .actual_access:  read_only
        .address_space:  global
        .offset:         8
        .size:           8
        .value_kind:     global_buffer
      - .actual_access:  read_only
        .address_space:  global
        .offset:         16
        .size:           8
        .value_kind:     global_buffer
      - .actual_access:  read_only
        .address_space:  global
        .offset:         24
        .size:           8
        .value_kind:     global_buffer
      - .offset:         32
        .size:           4
        .value_kind:     by_value
      - .offset:         40
        .size:           8
        .value_kind:     by_value
      - .offset:         48
        .size:           4
        .value_kind:     hidden_block_count_x
      - .offset:         52
        .size:           4
        .value_kind:     hidden_block_count_y
      - .offset:         56
        .size:           4
        .value_kind:     hidden_block_count_z
      - .offset:         60
        .size:           2
        .value_kind:     hidden_group_size_x
      - .offset:         62
        .size:           2
        .value_kind:     hidden_group_size_y
      - .offset:         64
        .size:           2
        .value_kind:     hidden_group_size_z
      - .offset:         66
        .size:           2
        .value_kind:     hidden_remainder_x
      - .offset:         68
        .size:           2
        .value_kind:     hidden_remainder_y
      - .offset:         70
        .size:           2
        .value_kind:     hidden_remainder_z
      - .offset:         88
        .size:           8
        .value_kind:     hidden_global_offset_x
      - .offset:         96
        .size:           8
        .value_kind:     hidden_global_offset_y
      - .offset:         104
        .size:           8
        .value_kind:     hidden_global_offset_z
      - .offset:         112
        .size:           2
        .value_kind:     hidden_grid_dims
    .group_segment_fixed_size: 0
    .kernarg_segment_align: 8
    .kernarg_segment_size: 304
    .language:       OpenCL C
    .language_version:
      - 2
      - 0
    .max_flat_workgroup_size: 1024
    .name:           _ZN5aiter30swiglu_act_and_mul_bias_kernelIftifLi1EEEvPT0_PKT_PKT1_PKT2_il
    .private_segment_fixed_size: 0
    .sgpr_count:     37
    .sgpr_spill_count: 0
    .symbol:         _ZN5aiter30swiglu_act_and_mul_bias_kernelIftifLi1EEEvPT0_PKT_PKT1_PKT2_il.kd
    .uniform_work_group_size: 1
    .uses_dynamic_stack: false
    .vgpr_count:     11
    .vgpr_spill_count: 0
    .wavefront_size: 64
  - .agpr_count:     0
    .args:
      - .actual_access:  write_only
        .address_space:  global
        .offset:         0
        .size:           8
        .value_kind:     global_buffer
      - .actual_access:  read_only
        .address_space:  global
        .offset:         8
        .size:           8
        .value_kind:     global_buffer
      - .actual_access:  read_only
        .address_space:  global
        .offset:         16
        .size:           8
        .value_kind:     global_buffer
      - .actual_access:  read_only
        .address_space:  global
        .offset:         24
        .size:           8
        .value_kind:     global_buffer
      - .offset:         32
        .size:           4
        .value_kind:     by_value
      - .offset:         40
        .size:           8
        .value_kind:     by_value
      - .offset:         48
        .size:           4
        .value_kind:     hidden_block_count_x
      - .offset:         52
        .size:           4
        .value_kind:     hidden_block_count_y
      - .offset:         56
        .size:           4
        .value_kind:     hidden_block_count_z
      - .offset:         60
        .size:           2
        .value_kind:     hidden_group_size_x
      - .offset:         62
        .size:           2
        .value_kind:     hidden_group_size_y
      - .offset:         64
        .size:           2
        .value_kind:     hidden_group_size_z
      - .offset:         66
        .size:           2
        .value_kind:     hidden_remainder_x
      - .offset:         68
        .size:           2
        .value_kind:     hidden_remainder_y
      - .offset:         70
        .size:           2
        .value_kind:     hidden_remainder_z
      - .offset:         88
        .size:           8
        .value_kind:     hidden_global_offset_x
      - .offset:         96
        .size:           8
        .value_kind:     hidden_global_offset_y
      - .offset:         104
        .size:           8
        .value_kind:     hidden_global_offset_z
      - .offset:         112
        .size:           2
        .value_kind:     hidden_grid_dims
    .group_segment_fixed_size: 0
    .kernarg_segment_align: 8
    .kernarg_segment_size: 304
    .language:       OpenCL C
    .language_version:
      - 2
      - 0
    .max_flat_workgroup_size: 1024
    .name:           _ZN5aiter30swiglu_act_and_mul_bias_kernelIfDF16_ifLi16EEEvPT0_PKT_PKT1_PKT2_il
    .private_segment_fixed_size: 0
    .sgpr_count:     81
    .sgpr_spill_count: 0
    .symbol:         _ZN5aiter30swiglu_act_and_mul_bias_kernelIfDF16_ifLi16EEEvPT0_PKT_PKT1_PKT2_il.kd
    .uniform_work_group_size: 1
    .uses_dynamic_stack: false
    .vgpr_count:     61
    .vgpr_spill_count: 0
    .wavefront_size: 64
  - .agpr_count:     0
    .args:
      - .actual_access:  write_only
        .address_space:  global
        .offset:         0
        .size:           8
        .value_kind:     global_buffer
      - .actual_access:  read_only
        .address_space:  global
        .offset:         8
        .size:           8
        .value_kind:     global_buffer
      - .actual_access:  read_only
        .address_space:  global
        .offset:         16
        .size:           8
        .value_kind:     global_buffer
      - .actual_access:  read_only
        .address_space:  global
        .offset:         24
        .size:           8
        .value_kind:     global_buffer
      - .offset:         32
        .size:           4
        .value_kind:     by_value
      - .offset:         40
        .size:           8
        .value_kind:     by_value
      - .offset:         48
        .size:           4
        .value_kind:     hidden_block_count_x
      - .offset:         52
        .size:           4
        .value_kind:     hidden_block_count_y
      - .offset:         56
        .size:           4
        .value_kind:     hidden_block_count_z
      - .offset:         60
        .size:           2
        .value_kind:     hidden_group_size_x
      - .offset:         62
        .size:           2
        .value_kind:     hidden_group_size_y
      - .offset:         64
        .size:           2
        .value_kind:     hidden_group_size_z
      - .offset:         66
        .size:           2
        .value_kind:     hidden_remainder_x
      - .offset:         68
        .size:           2
        .value_kind:     hidden_remainder_y
      - .offset:         70
        .size:           2
        .value_kind:     hidden_remainder_z
      - .offset:         88
        .size:           8
        .value_kind:     hidden_global_offset_x
      - .offset:         96
        .size:           8
        .value_kind:     hidden_global_offset_y
      - .offset:         104
        .size:           8
        .value_kind:     hidden_global_offset_z
      - .offset:         112
        .size:           2
        .value_kind:     hidden_grid_dims
    .group_segment_fixed_size: 0
    .kernarg_segment_align: 8
    .kernarg_segment_size: 304
    .language:       OpenCL C
    .language_version:
      - 2
      - 0
    .max_flat_workgroup_size: 1024
    .name:           _ZN5aiter30swiglu_act_and_mul_bias_kernelIfDF16_ifLi8EEEvPT0_PKT_PKT1_PKT2_il
    .private_segment_fixed_size: 0
    .sgpr_count:     53
    .sgpr_spill_count: 0
    .symbol:         _ZN5aiter30swiglu_act_and_mul_bias_kernelIfDF16_ifLi8EEEvPT0_PKT_PKT1_PKT2_il.kd
    .uniform_work_group_size: 1
    .uses_dynamic_stack: false
    .vgpr_count:     54
    .vgpr_spill_count: 0
    .wavefront_size: 64
  - .agpr_count:     0
    .args:
      - .actual_access:  write_only
        .address_space:  global
        .offset:         0
        .size:           8
        .value_kind:     global_buffer
      - .actual_access:  read_only
        .address_space:  global
        .offset:         8
        .size:           8
        .value_kind:     global_buffer
      - .actual_access:  read_only
        .address_space:  global
        .offset:         16
        .size:           8
        .value_kind:     global_buffer
      - .actual_access:  read_only
        .address_space:  global
        .offset:         24
        .size:           8
        .value_kind:     global_buffer
      - .offset:         32
        .size:           4
        .value_kind:     by_value
      - .offset:         40
        .size:           8
        .value_kind:     by_value
      - .offset:         48
        .size:           4
        .value_kind:     hidden_block_count_x
      - .offset:         52
        .size:           4
        .value_kind:     hidden_block_count_y
      - .offset:         56
        .size:           4
        .value_kind:     hidden_block_count_z
      - .offset:         60
        .size:           2
        .value_kind:     hidden_group_size_x
      - .offset:         62
        .size:           2
        .value_kind:     hidden_group_size_y
      - .offset:         64
        .size:           2
        .value_kind:     hidden_group_size_z
      - .offset:         66
        .size:           2
        .value_kind:     hidden_remainder_x
      - .offset:         68
        .size:           2
        .value_kind:     hidden_remainder_y
      - .offset:         70
        .size:           2
        .value_kind:     hidden_remainder_z
      - .offset:         88
        .size:           8
        .value_kind:     hidden_global_offset_x
      - .offset:         96
        .size:           8
        .value_kind:     hidden_global_offset_y
      - .offset:         104
        .size:           8
        .value_kind:     hidden_global_offset_z
      - .offset:         112
        .size:           2
        .value_kind:     hidden_grid_dims
    .group_segment_fixed_size: 0
    .kernarg_segment_align: 8
    .kernarg_segment_size: 304
    .language:       OpenCL C
    .language_version:
      - 2
      - 0
    .max_flat_workgroup_size: 1024
    .name:           _ZN5aiter30swiglu_act_and_mul_bias_kernelIfDF16_ifLi4EEEvPT0_PKT_PKT1_PKT2_il
    .private_segment_fixed_size: 0
    .sgpr_count:     47
    .sgpr_spill_count: 0
    .symbol:         _ZN5aiter30swiglu_act_and_mul_bias_kernelIfDF16_ifLi4EEEvPT0_PKT_PKT1_PKT2_il.kd
    .uniform_work_group_size: 1
    .uses_dynamic_stack: false
    .vgpr_count:     30
    .vgpr_spill_count: 0
    .wavefront_size: 64
  - .agpr_count:     0
    .args:
      - .actual_access:  write_only
        .address_space:  global
        .offset:         0
        .size:           8
        .value_kind:     global_buffer
      - .actual_access:  read_only
        .address_space:  global
        .offset:         8
        .size:           8
        .value_kind:     global_buffer
      - .actual_access:  read_only
        .address_space:  global
        .offset:         16
        .size:           8
        .value_kind:     global_buffer
      - .actual_access:  read_only
        .address_space:  global
        .offset:         24
        .size:           8
        .value_kind:     global_buffer
      - .offset:         32
        .size:           4
        .value_kind:     by_value
      - .offset:         40
        .size:           8
        .value_kind:     by_value
      - .offset:         48
        .size:           4
        .value_kind:     hidden_block_count_x
      - .offset:         52
        .size:           4
        .value_kind:     hidden_block_count_y
      - .offset:         56
        .size:           4
        .value_kind:     hidden_block_count_z
      - .offset:         60
        .size:           2
        .value_kind:     hidden_group_size_x
      - .offset:         62
        .size:           2
        .value_kind:     hidden_group_size_y
      - .offset:         64
        .size:           2
        .value_kind:     hidden_group_size_z
      - .offset:         66
        .size:           2
        .value_kind:     hidden_remainder_x
      - .offset:         68
        .size:           2
        .value_kind:     hidden_remainder_y
      - .offset:         70
        .size:           2
        .value_kind:     hidden_remainder_z
      - .offset:         88
        .size:           8
        .value_kind:     hidden_global_offset_x
      - .offset:         96
        .size:           8
        .value_kind:     hidden_global_offset_y
      - .offset:         104
        .size:           8
        .value_kind:     hidden_global_offset_z
      - .offset:         112
        .size:           2
        .value_kind:     hidden_grid_dims
    .group_segment_fixed_size: 0
    .kernarg_segment_align: 8
    .kernarg_segment_size: 304
    .language:       OpenCL C
    .language_version:
      - 2
      - 0
    .max_flat_workgroup_size: 1024
    .name:           _ZN5aiter30swiglu_act_and_mul_bias_kernelIfDF16_ifLi2EEEvPT0_PKT_PKT1_PKT2_il
    .private_segment_fixed_size: 0
    .sgpr_count:     41
    .sgpr_spill_count: 0
    .symbol:         _ZN5aiter30swiglu_act_and_mul_bias_kernelIfDF16_ifLi2EEEvPT0_PKT_PKT1_PKT2_il.kd
    .uniform_work_group_size: 1
    .uses_dynamic_stack: false
    .vgpr_count:     18
    .vgpr_spill_count: 0
    .wavefront_size: 64
  - .agpr_count:     0
    .args:
      - .actual_access:  write_only
        .address_space:  global
        .offset:         0
        .size:           8
        .value_kind:     global_buffer
      - .actual_access:  read_only
        .address_space:  global
        .offset:         8
        .size:           8
        .value_kind:     global_buffer
      - .actual_access:  read_only
        .address_space:  global
        .offset:         16
        .size:           8
        .value_kind:     global_buffer
      - .actual_access:  read_only
        .address_space:  global
        .offset:         24
        .size:           8
        .value_kind:     global_buffer
      - .offset:         32
        .size:           4
        .value_kind:     by_value
      - .offset:         40
        .size:           8
        .value_kind:     by_value
      - .offset:         48
        .size:           4
        .value_kind:     hidden_block_count_x
      - .offset:         52
        .size:           4
        .value_kind:     hidden_block_count_y
      - .offset:         56
        .size:           4
        .value_kind:     hidden_block_count_z
      - .offset:         60
        .size:           2
        .value_kind:     hidden_group_size_x
      - .offset:         62
        .size:           2
        .value_kind:     hidden_group_size_y
      - .offset:         64
        .size:           2
        .value_kind:     hidden_group_size_z
      - .offset:         66
        .size:           2
        .value_kind:     hidden_remainder_x
      - .offset:         68
        .size:           2
        .value_kind:     hidden_remainder_y
      - .offset:         70
        .size:           2
        .value_kind:     hidden_remainder_z
      - .offset:         88
        .size:           8
        .value_kind:     hidden_global_offset_x
      - .offset:         96
        .size:           8
        .value_kind:     hidden_global_offset_y
      - .offset:         104
        .size:           8
        .value_kind:     hidden_global_offset_z
      - .offset:         112
        .size:           2
        .value_kind:     hidden_grid_dims
    .group_segment_fixed_size: 0
    .kernarg_segment_align: 8
    .kernarg_segment_size: 304
    .language:       OpenCL C
    .language_version:
      - 2
      - 0
    .max_flat_workgroup_size: 1024
    .name:           _ZN5aiter30swiglu_act_and_mul_bias_kernelIfDF16_ifLi1EEEvPT0_PKT_PKT1_PKT2_il
    .private_segment_fixed_size: 0
    .sgpr_count:     37
    .sgpr_spill_count: 0
    .symbol:         _ZN5aiter30swiglu_act_and_mul_bias_kernelIfDF16_ifLi1EEEvPT0_PKT_PKT1_PKT2_il.kd
    .uniform_work_group_size: 1
    .uses_dynamic_stack: false
    .vgpr_count:     11
    .vgpr_spill_count: 0
    .wavefront_size: 64
  - .agpr_count:     0
    .args:
      - .actual_access:  write_only
        .address_space:  global
        .offset:         0
        .size:           8
        .value_kind:     global_buffer
      - .actual_access:  read_only
        .address_space:  global
        .offset:         8
        .size:           8
        .value_kind:     global_buffer
      - .actual_access:  read_only
        .address_space:  global
        .offset:         16
        .size:           8
        .value_kind:     global_buffer
      - .actual_access:  read_only
        .address_space:  global
        .offset:         24
        .size:           8
        .value_kind:     global_buffer
      - .offset:         32
        .size:           4
        .value_kind:     by_value
      - .offset:         40
        .size:           8
        .value_kind:     by_value
      - .offset:         48
        .size:           4
        .value_kind:     hidden_block_count_x
      - .offset:         52
        .size:           4
        .value_kind:     hidden_block_count_y
      - .offset:         56
        .size:           4
        .value_kind:     hidden_block_count_z
      - .offset:         60
        .size:           2
        .value_kind:     hidden_group_size_x
      - .offset:         62
        .size:           2
        .value_kind:     hidden_group_size_y
      - .offset:         64
        .size:           2
        .value_kind:     hidden_group_size_z
      - .offset:         66
        .size:           2
        .value_kind:     hidden_remainder_x
      - .offset:         68
        .size:           2
        .value_kind:     hidden_remainder_y
      - .offset:         70
        .size:           2
        .value_kind:     hidden_remainder_z
      - .offset:         88
        .size:           8
        .value_kind:     hidden_global_offset_x
      - .offset:         96
        .size:           8
        .value_kind:     hidden_global_offset_y
      - .offset:         104
        .size:           8
        .value_kind:     hidden_global_offset_z
      - .offset:         112
        .size:           2
        .value_kind:     hidden_grid_dims
    .group_segment_fixed_size: 0
    .kernarg_segment_align: 8
    .kernarg_segment_size: 304
    .language:       OpenCL C
    .language_version:
      - 2
      - 0
    .max_flat_workgroup_size: 1024
    .name:           _ZN5aiter30swiglu_act_and_mul_bias_kernelIffifLi16EEEvPT0_PKT_PKT1_PKT2_il
    .private_segment_fixed_size: 0
    .sgpr_count:     40
    .sgpr_spill_count: 0
    .symbol:         _ZN5aiter30swiglu_act_and_mul_bias_kernelIffifLi16EEEvPT0_PKT_PKT1_PKT2_il.kd
    .uniform_work_group_size: 1
    .uses_dynamic_stack: false
    .vgpr_count:     60
    .vgpr_spill_count: 0
    .wavefront_size: 64
  - .agpr_count:     0
    .args:
      - .actual_access:  write_only
        .address_space:  global
        .offset:         0
        .size:           8
        .value_kind:     global_buffer
      - .actual_access:  read_only
        .address_space:  global
        .offset:         8
        .size:           8
        .value_kind:     global_buffer
      - .actual_access:  read_only
        .address_space:  global
        .offset:         16
        .size:           8
        .value_kind:     global_buffer
      - .actual_access:  read_only
        .address_space:  global
        .offset:         24
        .size:           8
        .value_kind:     global_buffer
      - .offset:         32
        .size:           4
        .value_kind:     by_value
      - .offset:         40
        .size:           8
        .value_kind:     by_value
      - .offset:         48
        .size:           4
        .value_kind:     hidden_block_count_x
      - .offset:         52
        .size:           4
        .value_kind:     hidden_block_count_y
      - .offset:         56
        .size:           4
        .value_kind:     hidden_block_count_z
      - .offset:         60
        .size:           2
        .value_kind:     hidden_group_size_x
      - .offset:         62
        .size:           2
        .value_kind:     hidden_group_size_y
      - .offset:         64
        .size:           2
        .value_kind:     hidden_group_size_z
      - .offset:         66
        .size:           2
        .value_kind:     hidden_remainder_x
      - .offset:         68
        .size:           2
        .value_kind:     hidden_remainder_y
      - .offset:         70
        .size:           2
        .value_kind:     hidden_remainder_z
      - .offset:         88
        .size:           8
        .value_kind:     hidden_global_offset_x
      - .offset:         96
        .size:           8
        .value_kind:     hidden_global_offset_y
      - .offset:         104
        .size:           8
        .value_kind:     hidden_global_offset_z
      - .offset:         112
        .size:           2
        .value_kind:     hidden_grid_dims
    .group_segment_fixed_size: 0
    .kernarg_segment_align: 8
    .kernarg_segment_size: 304
    .language:       OpenCL C
    .language_version:
      - 2
      - 0
    .max_flat_workgroup_size: 1024
    .name:           _ZN5aiter30swiglu_act_and_mul_bias_kernelIffifLi8EEEvPT0_PKT_PKT1_PKT2_il
    .private_segment_fixed_size: 0
    .sgpr_count:     37
    .sgpr_spill_count: 0
    .symbol:         _ZN5aiter30swiglu_act_and_mul_bias_kernelIffifLi8EEEvPT0_PKT_PKT1_PKT2_il.kd
    .uniform_work_group_size: 1
    .uses_dynamic_stack: false
    .vgpr_count:     47
    .vgpr_spill_count: 0
    .wavefront_size: 64
  - .agpr_count:     0
    .args:
      - .actual_access:  write_only
        .address_space:  global
        .offset:         0
        .size:           8
        .value_kind:     global_buffer
      - .actual_access:  read_only
        .address_space:  global
        .offset:         8
        .size:           8
        .value_kind:     global_buffer
      - .actual_access:  read_only
        .address_space:  global
        .offset:         16
        .size:           8
        .value_kind:     global_buffer
      - .actual_access:  read_only
        .address_space:  global
        .offset:         24
        .size:           8
        .value_kind:     global_buffer
      - .offset:         32
        .size:           4
        .value_kind:     by_value
      - .offset:         40
        .size:           8
        .value_kind:     by_value
      - .offset:         48
        .size:           4
        .value_kind:     hidden_block_count_x
      - .offset:         52
        .size:           4
        .value_kind:     hidden_block_count_y
      - .offset:         56
        .size:           4
        .value_kind:     hidden_block_count_z
      - .offset:         60
        .size:           2
        .value_kind:     hidden_group_size_x
      - .offset:         62
        .size:           2
        .value_kind:     hidden_group_size_y
      - .offset:         64
        .size:           2
        .value_kind:     hidden_group_size_z
      - .offset:         66
        .size:           2
        .value_kind:     hidden_remainder_x
      - .offset:         68
        .size:           2
        .value_kind:     hidden_remainder_y
      - .offset:         70
        .size:           2
        .value_kind:     hidden_remainder_z
      - .offset:         88
        .size:           8
        .value_kind:     hidden_global_offset_x
      - .offset:         96
        .size:           8
        .value_kind:     hidden_global_offset_y
      - .offset:         104
        .size:           8
        .value_kind:     hidden_global_offset_z
      - .offset:         112
        .size:           2
        .value_kind:     hidden_grid_dims
    .group_segment_fixed_size: 0
    .kernarg_segment_align: 8
    .kernarg_segment_size: 304
    .language:       OpenCL C
    .language_version:
      - 2
      - 0
    .max_flat_workgroup_size: 1024
    .name:           _ZN5aiter30swiglu_act_and_mul_bias_kernelIffifLi4EEEvPT0_PKT_PKT1_PKT2_il
    .private_segment_fixed_size: 0
    .sgpr_count:     37
    .sgpr_spill_count: 0
    .symbol:         _ZN5aiter30swiglu_act_and_mul_bias_kernelIffifLi4EEEvPT0_PKT_PKT1_PKT2_il.kd
    .uniform_work_group_size: 1
    .uses_dynamic_stack: false
    .vgpr_count:     29
    .vgpr_spill_count: 0
    .wavefront_size: 64
  - .agpr_count:     0
    .args:
      - .actual_access:  write_only
        .address_space:  global
        .offset:         0
        .size:           8
        .value_kind:     global_buffer
      - .actual_access:  read_only
        .address_space:  global
        .offset:         8
        .size:           8
        .value_kind:     global_buffer
      - .actual_access:  read_only
        .address_space:  global
        .offset:         16
        .size:           8
        .value_kind:     global_buffer
      - .actual_access:  read_only
        .address_space:  global
        .offset:         24
        .size:           8
        .value_kind:     global_buffer
      - .offset:         32
        .size:           4
        .value_kind:     by_value
      - .offset:         40
        .size:           8
        .value_kind:     by_value
      - .offset:         48
        .size:           4
        .value_kind:     hidden_block_count_x
      - .offset:         52
        .size:           4
        .value_kind:     hidden_block_count_y
      - .offset:         56
        .size:           4
        .value_kind:     hidden_block_count_z
      - .offset:         60
        .size:           2
        .value_kind:     hidden_group_size_x
      - .offset:         62
        .size:           2
        .value_kind:     hidden_group_size_y
      - .offset:         64
        .size:           2
        .value_kind:     hidden_group_size_z
      - .offset:         66
        .size:           2
        .value_kind:     hidden_remainder_x
      - .offset:         68
        .size:           2
        .value_kind:     hidden_remainder_y
      - .offset:         70
        .size:           2
        .value_kind:     hidden_remainder_z
      - .offset:         88
        .size:           8
        .value_kind:     hidden_global_offset_x
      - .offset:         96
        .size:           8
        .value_kind:     hidden_global_offset_y
      - .offset:         104
        .size:           8
        .value_kind:     hidden_global_offset_z
      - .offset:         112
        .size:           2
        .value_kind:     hidden_grid_dims
    .group_segment_fixed_size: 0
    .kernarg_segment_align: 8
    .kernarg_segment_size: 304
    .language:       OpenCL C
    .language_version:
      - 2
      - 0
    .max_flat_workgroup_size: 1024
    .name:           _ZN5aiter30swiglu_act_and_mul_bias_kernelIffifLi2EEEvPT0_PKT_PKT1_PKT2_il
    .private_segment_fixed_size: 0
    .sgpr_count:     37
    .sgpr_spill_count: 0
    .symbol:         _ZN5aiter30swiglu_act_and_mul_bias_kernelIffifLi2EEEvPT0_PKT_PKT1_PKT2_il.kd
    .uniform_work_group_size: 1
    .uses_dynamic_stack: false
    .vgpr_count:     19
    .vgpr_spill_count: 0
    .wavefront_size: 64
  - .agpr_count:     0
    .args:
      - .actual_access:  write_only
        .address_space:  global
        .offset:         0
        .size:           8
        .value_kind:     global_buffer
      - .actual_access:  read_only
        .address_space:  global
        .offset:         8
        .size:           8
        .value_kind:     global_buffer
      - .actual_access:  read_only
        .address_space:  global
        .offset:         16
        .size:           8
        .value_kind:     global_buffer
      - .actual_access:  read_only
        .address_space:  global
        .offset:         24
        .size:           8
        .value_kind:     global_buffer
      - .offset:         32
        .size:           4
        .value_kind:     by_value
      - .offset:         40
        .size:           8
        .value_kind:     by_value
      - .offset:         48
        .size:           4
        .value_kind:     hidden_block_count_x
      - .offset:         52
        .size:           4
        .value_kind:     hidden_block_count_y
      - .offset:         56
        .size:           4
        .value_kind:     hidden_block_count_z
      - .offset:         60
        .size:           2
        .value_kind:     hidden_group_size_x
      - .offset:         62
        .size:           2
        .value_kind:     hidden_group_size_y
      - .offset:         64
        .size:           2
        .value_kind:     hidden_group_size_z
      - .offset:         66
        .size:           2
        .value_kind:     hidden_remainder_x
      - .offset:         68
        .size:           2
        .value_kind:     hidden_remainder_y
      - .offset:         70
        .size:           2
        .value_kind:     hidden_remainder_z
      - .offset:         88
        .size:           8
        .value_kind:     hidden_global_offset_x
      - .offset:         96
        .size:           8
        .value_kind:     hidden_global_offset_y
      - .offset:         104
        .size:           8
        .value_kind:     hidden_global_offset_z
      - .offset:         112
        .size:           2
        .value_kind:     hidden_grid_dims
    .group_segment_fixed_size: 0
    .kernarg_segment_align: 8
    .kernarg_segment_size: 304
    .language:       OpenCL C
    .language_version:
      - 2
      - 0
    .max_flat_workgroup_size: 1024
    .name:           _ZN5aiter30swiglu_act_and_mul_bias_kernelIffifLi1EEEvPT0_PKT_PKT1_PKT2_il
    .private_segment_fixed_size: 0
    .sgpr_count:     36
    .sgpr_spill_count: 0
    .symbol:         _ZN5aiter30swiglu_act_and_mul_bias_kernelIffifLi1EEEvPT0_PKT_PKT1_PKT2_il.kd
    .uniform_work_group_size: 1
    .uses_dynamic_stack: false
    .vgpr_count:     11
    .vgpr_spill_count: 0
    .wavefront_size: 64
  - .agpr_count:     0
    .args:
      - .actual_access:  write_only
        .address_space:  global
        .offset:         0
        .size:           8
        .value_kind:     global_buffer
      - .actual_access:  read_only
        .address_space:  global
        .offset:         8
        .size:           8
        .value_kind:     global_buffer
      - .actual_access:  read_only
        .address_space:  global
        .offset:         16
        .size:           8
        .value_kind:     global_buffer
      - .actual_access:  read_only
        .address_space:  global
        .offset:         24
        .size:           8
        .value_kind:     global_buffer
      - .offset:         32
        .size:           4
        .value_kind:     by_value
      - .offset:         40
        .size:           8
        .value_kind:     by_value
      - .offset:         48
        .size:           4
        .value_kind:     hidden_block_count_x
      - .offset:         52
        .size:           4
        .value_kind:     hidden_block_count_y
      - .offset:         56
        .size:           4
        .value_kind:     hidden_block_count_z
      - .offset:         60
        .size:           2
        .value_kind:     hidden_group_size_x
      - .offset:         62
        .size:           2
        .value_kind:     hidden_group_size_y
      - .offset:         64
        .size:           2
        .value_kind:     hidden_group_size_z
      - .offset:         66
        .size:           2
        .value_kind:     hidden_remainder_x
      - .offset:         68
        .size:           2
        .value_kind:     hidden_remainder_y
      - .offset:         70
        .size:           2
        .value_kind:     hidden_remainder_z
      - .offset:         88
        .size:           8
        .value_kind:     hidden_global_offset_x
      - .offset:         96
        .size:           8
        .value_kind:     hidden_global_offset_y
      - .offset:         104
        .size:           8
        .value_kind:     hidden_global_offset_z
      - .offset:         112
        .size:           2
        .value_kind:     hidden_grid_dims
    .group_segment_fixed_size: 0
    .kernarg_segment_align: 8
    .kernarg_segment_size: 304
    .language:       OpenCL C
    .language_version:
      - 2
      - 0
    .max_flat_workgroup_size: 1024
    .name:           _ZN5aiter30swiglu_act_and_mul_bias_kernelIDF16_DF16_ifLi32EEEvPT0_PKT_PKT1_PKT2_il
    .private_segment_fixed_size: 0
    .sgpr_count:     44
    .sgpr_spill_count: 0
    .symbol:         _ZN5aiter30swiglu_act_and_mul_bias_kernelIDF16_DF16_ifLi32EEEvPT0_PKT_PKT1_PKT2_il.kd
    .uniform_work_group_size: 1
    .uses_dynamic_stack: false
    .vgpr_count:     61
    .vgpr_spill_count: 0
    .wavefront_size: 64
  - .agpr_count:     0
    .args:
      - .actual_access:  write_only
        .address_space:  global
        .offset:         0
        .size:           8
        .value_kind:     global_buffer
      - .actual_access:  read_only
        .address_space:  global
        .offset:         8
        .size:           8
        .value_kind:     global_buffer
      - .actual_access:  read_only
        .address_space:  global
        .offset:         16
        .size:           8
        .value_kind:     global_buffer
      - .actual_access:  read_only
        .address_space:  global
        .offset:         24
        .size:           8
        .value_kind:     global_buffer
      - .offset:         32
        .size:           4
        .value_kind:     by_value
      - .offset:         40
        .size:           8
        .value_kind:     by_value
      - .offset:         48
        .size:           4
        .value_kind:     hidden_block_count_x
      - .offset:         52
        .size:           4
        .value_kind:     hidden_block_count_y
      - .offset:         56
        .size:           4
        .value_kind:     hidden_block_count_z
      - .offset:         60
        .size:           2
        .value_kind:     hidden_group_size_x
      - .offset:         62
        .size:           2
        .value_kind:     hidden_group_size_y
      - .offset:         64
        .size:           2
        .value_kind:     hidden_group_size_z
      - .offset:         66
        .size:           2
        .value_kind:     hidden_remainder_x
      - .offset:         68
        .size:           2
        .value_kind:     hidden_remainder_y
      - .offset:         70
        .size:           2
        .value_kind:     hidden_remainder_z
      - .offset:         88
        .size:           8
        .value_kind:     hidden_global_offset_x
      - .offset:         96
        .size:           8
        .value_kind:     hidden_global_offset_y
      - .offset:         104
        .size:           8
        .value_kind:     hidden_global_offset_z
      - .offset:         112
        .size:           2
        .value_kind:     hidden_grid_dims
    .group_segment_fixed_size: 0
    .kernarg_segment_align: 8
    .kernarg_segment_size: 304
    .language:       OpenCL C
    .language_version:
      - 2
      - 0
    .max_flat_workgroup_size: 1024
    .name:           _ZN5aiter30swiglu_act_and_mul_bias_kernelIDF16_DF16_ifLi16EEEvPT0_PKT_PKT1_PKT2_il
    .private_segment_fixed_size: 0
    .sgpr_count:     43
    .sgpr_spill_count: 0
    .symbol:         _ZN5aiter30swiglu_act_and_mul_bias_kernelIDF16_DF16_ifLi16EEEvPT0_PKT_PKT1_PKT2_il.kd
    .uniform_work_group_size: 1
    .uses_dynamic_stack: false
    .vgpr_count:     56
    .vgpr_spill_count: 0
    .wavefront_size: 64
  - .agpr_count:     0
    .args:
      - .actual_access:  write_only
        .address_space:  global
        .offset:         0
        .size:           8
        .value_kind:     global_buffer
      - .actual_access:  read_only
        .address_space:  global
        .offset:         8
        .size:           8
        .value_kind:     global_buffer
      - .actual_access:  read_only
        .address_space:  global
        .offset:         16
        .size:           8
        .value_kind:     global_buffer
      - .actual_access:  read_only
        .address_space:  global
        .offset:         24
        .size:           8
        .value_kind:     global_buffer
      - .offset:         32
        .size:           4
        .value_kind:     by_value
      - .offset:         40
        .size:           8
        .value_kind:     by_value
      - .offset:         48
        .size:           4
        .value_kind:     hidden_block_count_x
      - .offset:         52
        .size:           4
        .value_kind:     hidden_block_count_y
      - .offset:         56
        .size:           4
        .value_kind:     hidden_block_count_z
      - .offset:         60
        .size:           2
        .value_kind:     hidden_group_size_x
      - .offset:         62
        .size:           2
        .value_kind:     hidden_group_size_y
      - .offset:         64
        .size:           2
        .value_kind:     hidden_group_size_z
      - .offset:         66
        .size:           2
        .value_kind:     hidden_remainder_x
      - .offset:         68
        .size:           2
        .value_kind:     hidden_remainder_y
      - .offset:         70
        .size:           2
        .value_kind:     hidden_remainder_z
      - .offset:         88
        .size:           8
        .value_kind:     hidden_global_offset_x
      - .offset:         96
        .size:           8
        .value_kind:     hidden_global_offset_y
      - .offset:         104
        .size:           8
        .value_kind:     hidden_global_offset_z
      - .offset:         112
        .size:           2
        .value_kind:     hidden_grid_dims
    .group_segment_fixed_size: 0
    .kernarg_segment_align: 8
    .kernarg_segment_size: 304
    .language:       OpenCL C
    .language_version:
      - 2
      - 0
    .max_flat_workgroup_size: 1024
    .name:           _ZN5aiter30swiglu_act_and_mul_bias_kernelIDF16_DF16_ifLi8EEEvPT0_PKT_PKT1_PKT2_il
    .private_segment_fixed_size: 0
    .sgpr_count:     38
    .sgpr_spill_count: 0
    .symbol:         _ZN5aiter30swiglu_act_and_mul_bias_kernelIDF16_DF16_ifLi8EEEvPT0_PKT_PKT1_PKT2_il.kd
    .uniform_work_group_size: 1
    .uses_dynamic_stack: false
    .vgpr_count:     42
    .vgpr_spill_count: 0
    .wavefront_size: 64
  - .agpr_count:     0
    .args:
      - .actual_access:  write_only
        .address_space:  global
        .offset:         0
        .size:           8
        .value_kind:     global_buffer
      - .actual_access:  read_only
        .address_space:  global
        .offset:         8
        .size:           8
        .value_kind:     global_buffer
      - .actual_access:  read_only
        .address_space:  global
        .offset:         16
        .size:           8
        .value_kind:     global_buffer
      - .actual_access:  read_only
        .address_space:  global
        .offset:         24
        .size:           8
        .value_kind:     global_buffer
      - .offset:         32
        .size:           4
        .value_kind:     by_value
      - .offset:         40
        .size:           8
        .value_kind:     by_value
      - .offset:         48
        .size:           4
        .value_kind:     hidden_block_count_x
      - .offset:         52
        .size:           4
        .value_kind:     hidden_block_count_y
      - .offset:         56
        .size:           4
        .value_kind:     hidden_block_count_z
      - .offset:         60
        .size:           2
        .value_kind:     hidden_group_size_x
      - .offset:         62
        .size:           2
        .value_kind:     hidden_group_size_y
      - .offset:         64
        .size:           2
        .value_kind:     hidden_group_size_z
      - .offset:         66
        .size:           2
        .value_kind:     hidden_remainder_x
      - .offset:         68
        .size:           2
        .value_kind:     hidden_remainder_y
      - .offset:         70
        .size:           2
        .value_kind:     hidden_remainder_z
      - .offset:         88
        .size:           8
        .value_kind:     hidden_global_offset_x
      - .offset:         96
        .size:           8
        .value_kind:     hidden_global_offset_y
      - .offset:         104
        .size:           8
        .value_kind:     hidden_global_offset_z
      - .offset:         112
        .size:           2
        .value_kind:     hidden_grid_dims
    .group_segment_fixed_size: 0
    .kernarg_segment_align: 8
    .kernarg_segment_size: 304
    .language:       OpenCL C
    .language_version:
      - 2
      - 0
    .max_flat_workgroup_size: 1024
    .name:           _ZN5aiter30swiglu_act_and_mul_bias_kernelIDF16_DF16_ifLi4EEEvPT0_PKT_PKT1_PKT2_il
    .private_segment_fixed_size: 0
    .sgpr_count:     38
    .sgpr_spill_count: 0
    .symbol:         _ZN5aiter30swiglu_act_and_mul_bias_kernelIDF16_DF16_ifLi4EEEvPT0_PKT_PKT1_PKT2_il.kd
    .uniform_work_group_size: 1
    .uses_dynamic_stack: false
    .vgpr_count:     30
    .vgpr_spill_count: 0
    .wavefront_size: 64
  - .agpr_count:     0
    .args:
      - .actual_access:  write_only
        .address_space:  global
        .offset:         0
        .size:           8
        .value_kind:     global_buffer
      - .actual_access:  read_only
        .address_space:  global
        .offset:         8
        .size:           8
        .value_kind:     global_buffer
      - .actual_access:  read_only
        .address_space:  global
        .offset:         16
        .size:           8
        .value_kind:     global_buffer
      - .actual_access:  read_only
        .address_space:  global
        .offset:         24
        .size:           8
        .value_kind:     global_buffer
      - .offset:         32
        .size:           4
        .value_kind:     by_value
      - .offset:         40
        .size:           8
        .value_kind:     by_value
      - .offset:         48
        .size:           4
        .value_kind:     hidden_block_count_x
      - .offset:         52
        .size:           4
        .value_kind:     hidden_block_count_y
      - .offset:         56
        .size:           4
        .value_kind:     hidden_block_count_z
      - .offset:         60
        .size:           2
        .value_kind:     hidden_group_size_x
      - .offset:         62
        .size:           2
        .value_kind:     hidden_group_size_y
      - .offset:         64
        .size:           2
        .value_kind:     hidden_group_size_z
      - .offset:         66
        .size:           2
        .value_kind:     hidden_remainder_x
      - .offset:         68
        .size:           2
        .value_kind:     hidden_remainder_y
      - .offset:         70
        .size:           2
        .value_kind:     hidden_remainder_z
      - .offset:         88
        .size:           8
        .value_kind:     hidden_global_offset_x
      - .offset:         96
        .size:           8
        .value_kind:     hidden_global_offset_y
      - .offset:         104
        .size:           8
        .value_kind:     hidden_global_offset_z
      - .offset:         112
        .size:           2
        .value_kind:     hidden_grid_dims
    .group_segment_fixed_size: 0
    .kernarg_segment_align: 8
    .kernarg_segment_size: 304
    .language:       OpenCL C
    .language_version:
      - 2
      - 0
    .max_flat_workgroup_size: 1024
    .name:           _ZN5aiter30swiglu_act_and_mul_bias_kernelIDF16_DF16_ifLi2EEEvPT0_PKT_PKT1_PKT2_il
    .private_segment_fixed_size: 0
    .sgpr_count:     38
    .sgpr_spill_count: 0
    .symbol:         _ZN5aiter30swiglu_act_and_mul_bias_kernelIDF16_DF16_ifLi2EEEvPT0_PKT_PKT1_PKT2_il.kd
    .uniform_work_group_size: 1
    .uses_dynamic_stack: false
    .vgpr_count:     20
    .vgpr_spill_count: 0
    .wavefront_size: 64
  - .agpr_count:     0
    .args:
      - .actual_access:  write_only
        .address_space:  global
        .offset:         0
        .size:           8
        .value_kind:     global_buffer
      - .actual_access:  read_only
        .address_space:  global
        .offset:         8
        .size:           8
        .value_kind:     global_buffer
      - .actual_access:  read_only
        .address_space:  global
        .offset:         16
        .size:           8
        .value_kind:     global_buffer
      - .actual_access:  read_only
        .address_space:  global
        .offset:         24
        .size:           8
        .value_kind:     global_buffer
      - .offset:         32
        .size:           4
        .value_kind:     by_value
      - .offset:         40
        .size:           8
        .value_kind:     by_value
      - .offset:         48
        .size:           4
        .value_kind:     hidden_block_count_x
      - .offset:         52
        .size:           4
        .value_kind:     hidden_block_count_y
      - .offset:         56
        .size:           4
        .value_kind:     hidden_block_count_z
      - .offset:         60
        .size:           2
        .value_kind:     hidden_group_size_x
      - .offset:         62
        .size:           2
        .value_kind:     hidden_group_size_y
      - .offset:         64
        .size:           2
        .value_kind:     hidden_group_size_z
      - .offset:         66
        .size:           2
        .value_kind:     hidden_remainder_x
      - .offset:         68
        .size:           2
        .value_kind:     hidden_remainder_y
      - .offset:         70
        .size:           2
        .value_kind:     hidden_remainder_z
      - .offset:         88
        .size:           8
        .value_kind:     hidden_global_offset_x
      - .offset:         96
        .size:           8
        .value_kind:     hidden_global_offset_y
      - .offset:         104
        .size:           8
        .value_kind:     hidden_global_offset_z
      - .offset:         112
        .size:           2
        .value_kind:     hidden_grid_dims
    .group_segment_fixed_size: 0
    .kernarg_segment_align: 8
    .kernarg_segment_size: 304
    .language:       OpenCL C
    .language_version:
      - 2
      - 0
    .max_flat_workgroup_size: 1024
    .name:           _ZN5aiter30swiglu_act_and_mul_bias_kernelIDF16_DF16_ifLi1EEEvPT0_PKT_PKT1_PKT2_il
    .private_segment_fixed_size: 0
    .sgpr_count:     37
    .sgpr_spill_count: 0
    .symbol:         _ZN5aiter30swiglu_act_and_mul_bias_kernelIDF16_DF16_ifLi1EEEvPT0_PKT_PKT1_PKT2_il.kd
    .uniform_work_group_size: 1
    .uses_dynamic_stack: false
    .vgpr_count:     12
    .vgpr_spill_count: 0
    .wavefront_size: 64
  - .agpr_count:     0
    .args:
      - .actual_access:  write_only
        .address_space:  global
        .offset:         0
        .size:           8
        .value_kind:     global_buffer
      - .actual_access:  read_only
        .address_space:  global
        .offset:         8
        .size:           8
        .value_kind:     global_buffer
      - .actual_access:  read_only
        .address_space:  global
        .offset:         16
        .size:           8
        .value_kind:     global_buffer
      - .actual_access:  read_only
        .address_space:  global
        .offset:         24
        .size:           8
        .value_kind:     global_buffer
      - .offset:         32
        .size:           4
        .value_kind:     by_value
      - .offset:         40
        .size:           8
        .value_kind:     by_value
      - .offset:         48
        .size:           4
        .value_kind:     hidden_block_count_x
      - .offset:         52
        .size:           4
        .value_kind:     hidden_block_count_y
      - .offset:         56
        .size:           4
        .value_kind:     hidden_block_count_z
      - .offset:         60
        .size:           2
        .value_kind:     hidden_group_size_x
      - .offset:         62
        .size:           2
        .value_kind:     hidden_group_size_y
      - .offset:         64
        .size:           2
        .value_kind:     hidden_group_size_z
      - .offset:         66
        .size:           2
        .value_kind:     hidden_remainder_x
      - .offset:         68
        .size:           2
        .value_kind:     hidden_remainder_y
      - .offset:         70
        .size:           2
        .value_kind:     hidden_remainder_z
      - .offset:         88
        .size:           8
        .value_kind:     hidden_global_offset_x
      - .offset:         96
        .size:           8
        .value_kind:     hidden_global_offset_y
      - .offset:         104
        .size:           8
        .value_kind:     hidden_global_offset_z
      - .offset:         112
        .size:           2
        .value_kind:     hidden_grid_dims
    .group_segment_fixed_size: 0
    .kernarg_segment_align: 8
    .kernarg_segment_size: 304
    .language:       OpenCL C
    .language_version:
      - 2
      - 0
    .max_flat_workgroup_size: 1024
    .name:           _ZN5aiter30swiglu_act_and_mul_bias_kernelIttifLi32EEEvPT0_PKT_PKT1_PKT2_il
    .private_segment_fixed_size: 0
    .sgpr_count:     49
    .sgpr_spill_count: 0
    .symbol:         _ZN5aiter30swiglu_act_and_mul_bias_kernelIttifLi32EEEvPT0_PKT_PKT1_PKT2_il.kd
    .uniform_work_group_size: 1
    .uses_dynamic_stack: false
    .vgpr_count:     60
    .vgpr_spill_count: 0
    .wavefront_size: 64
  - .agpr_count:     0
    .args:
      - .actual_access:  write_only
        .address_space:  global
        .offset:         0
        .size:           8
        .value_kind:     global_buffer
      - .actual_access:  read_only
        .address_space:  global
        .offset:         8
        .size:           8
        .value_kind:     global_buffer
      - .actual_access:  read_only
        .address_space:  global
        .offset:         16
        .size:           8
        .value_kind:     global_buffer
      - .actual_access:  read_only
        .address_space:  global
        .offset:         24
        .size:           8
        .value_kind:     global_buffer
      - .offset:         32
        .size:           4
        .value_kind:     by_value
      - .offset:         40
        .size:           8
        .value_kind:     by_value
      - .offset:         48
        .size:           4
        .value_kind:     hidden_block_count_x
      - .offset:         52
        .size:           4
        .value_kind:     hidden_block_count_y
      - .offset:         56
        .size:           4
        .value_kind:     hidden_block_count_z
      - .offset:         60
        .size:           2
        .value_kind:     hidden_group_size_x
      - .offset:         62
        .size:           2
        .value_kind:     hidden_group_size_y
      - .offset:         64
        .size:           2
        .value_kind:     hidden_group_size_z
      - .offset:         66
        .size:           2
        .value_kind:     hidden_remainder_x
      - .offset:         68
        .size:           2
        .value_kind:     hidden_remainder_y
      - .offset:         70
        .size:           2
        .value_kind:     hidden_remainder_z
      - .offset:         88
        .size:           8
        .value_kind:     hidden_global_offset_x
      - .offset:         96
        .size:           8
        .value_kind:     hidden_global_offset_y
      - .offset:         104
        .size:           8
        .value_kind:     hidden_global_offset_z
      - .offset:         112
        .size:           2
        .value_kind:     hidden_grid_dims
    .group_segment_fixed_size: 0
    .kernarg_segment_align: 8
    .kernarg_segment_size: 304
    .language:       OpenCL C
    .language_version:
      - 2
      - 0
    .max_flat_workgroup_size: 1024
    .name:           _ZN5aiter30swiglu_act_and_mul_bias_kernelIttifLi16EEEvPT0_PKT_PKT1_PKT2_il
    .private_segment_fixed_size: 0
    .sgpr_count:     40
    .sgpr_spill_count: 0
    .symbol:         _ZN5aiter30swiglu_act_and_mul_bias_kernelIttifLi16EEEvPT0_PKT_PKT1_PKT2_il.kd
    .uniform_work_group_size: 1
    .uses_dynamic_stack: false
    .vgpr_count:     60
    .vgpr_spill_count: 0
    .wavefront_size: 64
  - .agpr_count:     0
    .args:
      - .actual_access:  write_only
        .address_space:  global
        .offset:         0
        .size:           8
        .value_kind:     global_buffer
      - .actual_access:  read_only
        .address_space:  global
        .offset:         8
        .size:           8
        .value_kind:     global_buffer
      - .actual_access:  read_only
        .address_space:  global
        .offset:         16
        .size:           8
        .value_kind:     global_buffer
      - .actual_access:  read_only
        .address_space:  global
        .offset:         24
        .size:           8
        .value_kind:     global_buffer
      - .offset:         32
        .size:           4
        .value_kind:     by_value
      - .offset:         40
        .size:           8
        .value_kind:     by_value
      - .offset:         48
        .size:           4
        .value_kind:     hidden_block_count_x
      - .offset:         52
        .size:           4
        .value_kind:     hidden_block_count_y
      - .offset:         56
        .size:           4
        .value_kind:     hidden_block_count_z
      - .offset:         60
        .size:           2
        .value_kind:     hidden_group_size_x
      - .offset:         62
        .size:           2
        .value_kind:     hidden_group_size_y
      - .offset:         64
        .size:           2
        .value_kind:     hidden_group_size_z
      - .offset:         66
        .size:           2
        .value_kind:     hidden_remainder_x
      - .offset:         68
        .size:           2
        .value_kind:     hidden_remainder_y
      - .offset:         70
        .size:           2
        .value_kind:     hidden_remainder_z
      - .offset:         88
        .size:           8
        .value_kind:     hidden_global_offset_x
      - .offset:         96
        .size:           8
        .value_kind:     hidden_global_offset_y
      - .offset:         104
        .size:           8
        .value_kind:     hidden_global_offset_z
      - .offset:         112
        .size:           2
        .value_kind:     hidden_grid_dims
    .group_segment_fixed_size: 0
    .kernarg_segment_align: 8
    .kernarg_segment_size: 304
    .language:       OpenCL C
    .language_version:
      - 2
      - 0
    .max_flat_workgroup_size: 1024
    .name:           _ZN5aiter30swiglu_act_and_mul_bias_kernelIttifLi8EEEvPT0_PKT_PKT1_PKT2_il
    .private_segment_fixed_size: 0
    .sgpr_count:     40
    .sgpr_spill_count: 0
    .symbol:         _ZN5aiter30swiglu_act_and_mul_bias_kernelIttifLi8EEEvPT0_PKT_PKT1_PKT2_il.kd
    .uniform_work_group_size: 1
    .uses_dynamic_stack: false
    .vgpr_count:     47
    .vgpr_spill_count: 0
    .wavefront_size: 64
  - .agpr_count:     0
    .args:
      - .actual_access:  write_only
        .address_space:  global
        .offset:         0
        .size:           8
        .value_kind:     global_buffer
      - .actual_access:  read_only
        .address_space:  global
        .offset:         8
        .size:           8
        .value_kind:     global_buffer
      - .actual_access:  read_only
        .address_space:  global
        .offset:         16
        .size:           8
        .value_kind:     global_buffer
      - .actual_access:  read_only
        .address_space:  global
        .offset:         24
        .size:           8
        .value_kind:     global_buffer
      - .offset:         32
        .size:           4
        .value_kind:     by_value
      - .offset:         40
        .size:           8
        .value_kind:     by_value
      - .offset:         48
        .size:           4
        .value_kind:     hidden_block_count_x
      - .offset:         52
        .size:           4
        .value_kind:     hidden_block_count_y
      - .offset:         56
        .size:           4
        .value_kind:     hidden_block_count_z
      - .offset:         60
        .size:           2
        .value_kind:     hidden_group_size_x
      - .offset:         62
        .size:           2
        .value_kind:     hidden_group_size_y
      - .offset:         64
        .size:           2
        .value_kind:     hidden_group_size_z
      - .offset:         66
        .size:           2
        .value_kind:     hidden_remainder_x
      - .offset:         68
        .size:           2
        .value_kind:     hidden_remainder_y
      - .offset:         70
        .size:           2
        .value_kind:     hidden_remainder_z
      - .offset:         88
        .size:           8
        .value_kind:     hidden_global_offset_x
      - .offset:         96
        .size:           8
        .value_kind:     hidden_global_offset_y
      - .offset:         104
        .size:           8
        .value_kind:     hidden_global_offset_z
      - .offset:         112
        .size:           2
        .value_kind:     hidden_grid_dims
    .group_segment_fixed_size: 0
    .kernarg_segment_align: 8
    .kernarg_segment_size: 304
    .language:       OpenCL C
    .language_version:
      - 2
      - 0
    .max_flat_workgroup_size: 1024
    .name:           _ZN5aiter30swiglu_act_and_mul_bias_kernelIttifLi4EEEvPT0_PKT_PKT1_PKT2_il
    .private_segment_fixed_size: 0
    .sgpr_count:     40
    .sgpr_spill_count: 0
    .symbol:         _ZN5aiter30swiglu_act_and_mul_bias_kernelIttifLi4EEEvPT0_PKT_PKT1_PKT2_il.kd
    .uniform_work_group_size: 1
    .uses_dynamic_stack: false
    .vgpr_count:     30
    .vgpr_spill_count: 0
    .wavefront_size: 64
  - .agpr_count:     0
    .args:
      - .actual_access:  write_only
        .address_space:  global
        .offset:         0
        .size:           8
        .value_kind:     global_buffer
      - .actual_access:  read_only
        .address_space:  global
        .offset:         8
        .size:           8
        .value_kind:     global_buffer
      - .actual_access:  read_only
        .address_space:  global
        .offset:         16
        .size:           8
        .value_kind:     global_buffer
      - .actual_access:  read_only
        .address_space:  global
        .offset:         24
        .size:           8
        .value_kind:     global_buffer
      - .offset:         32
        .size:           4
        .value_kind:     by_value
      - .offset:         40
        .size:           8
        .value_kind:     by_value
      - .offset:         48
        .size:           4
        .value_kind:     hidden_block_count_x
      - .offset:         52
        .size:           4
        .value_kind:     hidden_block_count_y
      - .offset:         56
        .size:           4
        .value_kind:     hidden_block_count_z
      - .offset:         60
        .size:           2
        .value_kind:     hidden_group_size_x
      - .offset:         62
        .size:           2
        .value_kind:     hidden_group_size_y
      - .offset:         64
        .size:           2
        .value_kind:     hidden_group_size_z
      - .offset:         66
        .size:           2
        .value_kind:     hidden_remainder_x
      - .offset:         68
        .size:           2
        .value_kind:     hidden_remainder_y
      - .offset:         70
        .size:           2
        .value_kind:     hidden_remainder_z
      - .offset:         88
        .size:           8
        .value_kind:     hidden_global_offset_x
      - .offset:         96
        .size:           8
        .value_kind:     hidden_global_offset_y
      - .offset:         104
        .size:           8
        .value_kind:     hidden_global_offset_z
      - .offset:         112
        .size:           2
        .value_kind:     hidden_grid_dims
    .group_segment_fixed_size: 0
    .kernarg_segment_align: 8
    .kernarg_segment_size: 304
    .language:       OpenCL C
    .language_version:
      - 2
      - 0
    .max_flat_workgroup_size: 1024
    .name:           _ZN5aiter30swiglu_act_and_mul_bias_kernelIttifLi2EEEvPT0_PKT_PKT1_PKT2_il
    .private_segment_fixed_size: 0
    .sgpr_count:     40
    .sgpr_spill_count: 0
    .symbol:         _ZN5aiter30swiglu_act_and_mul_bias_kernelIttifLi2EEEvPT0_PKT_PKT1_PKT2_il.kd
    .uniform_work_group_size: 1
    .uses_dynamic_stack: false
    .vgpr_count:     20
    .vgpr_spill_count: 0
    .wavefront_size: 64
  - .agpr_count:     0
    .args:
      - .actual_access:  write_only
        .address_space:  global
        .offset:         0
        .size:           8
        .value_kind:     global_buffer
      - .actual_access:  read_only
        .address_space:  global
        .offset:         8
        .size:           8
        .value_kind:     global_buffer
      - .actual_access:  read_only
        .address_space:  global
        .offset:         16
        .size:           8
        .value_kind:     global_buffer
      - .actual_access:  read_only
        .address_space:  global
        .offset:         24
        .size:           8
        .value_kind:     global_buffer
      - .offset:         32
        .size:           4
        .value_kind:     by_value
      - .offset:         40
        .size:           8
        .value_kind:     by_value
      - .offset:         48
        .size:           4
        .value_kind:     hidden_block_count_x
      - .offset:         52
        .size:           4
        .value_kind:     hidden_block_count_y
      - .offset:         56
        .size:           4
        .value_kind:     hidden_block_count_z
      - .offset:         60
        .size:           2
        .value_kind:     hidden_group_size_x
      - .offset:         62
        .size:           2
        .value_kind:     hidden_group_size_y
      - .offset:         64
        .size:           2
        .value_kind:     hidden_group_size_z
      - .offset:         66
        .size:           2
        .value_kind:     hidden_remainder_x
      - .offset:         68
        .size:           2
        .value_kind:     hidden_remainder_y
      - .offset:         70
        .size:           2
        .value_kind:     hidden_remainder_z
      - .offset:         88
        .size:           8
        .value_kind:     hidden_global_offset_x
      - .offset:         96
        .size:           8
        .value_kind:     hidden_global_offset_y
      - .offset:         104
        .size:           8
        .value_kind:     hidden_global_offset_z
      - .offset:         112
        .size:           2
        .value_kind:     hidden_grid_dims
    .group_segment_fixed_size: 0
    .kernarg_segment_align: 8
    .kernarg_segment_size: 304
    .language:       OpenCL C
    .language_version:
      - 2
      - 0
    .max_flat_workgroup_size: 1024
    .name:           _ZN5aiter30swiglu_act_and_mul_bias_kernelIttifLi1EEEvPT0_PKT_PKT1_PKT2_il
    .private_segment_fixed_size: 0
    .sgpr_count:     37
    .sgpr_spill_count: 0
    .symbol:         _ZN5aiter30swiglu_act_and_mul_bias_kernelIttifLi1EEEvPT0_PKT_PKT1_PKT2_il.kd
    .uniform_work_group_size: 1
    .uses_dynamic_stack: false
    .vgpr_count:     12
    .vgpr_spill_count: 0
    .wavefront_size: 64
  - .agpr_count:     0
    .args:
      - .actual_access:  write_only
        .address_space:  global
        .offset:         0
        .size:           8
        .value_kind:     global_buffer
      - .actual_access:  read_only
        .address_space:  global
        .offset:         8
        .size:           8
        .value_kind:     global_buffer
      - .actual_access:  read_only
        .address_space:  global
        .offset:         16
        .size:           8
        .value_kind:     global_buffer
      - .actual_access:  read_only
        .address_space:  global
        .offset:         24
        .size:           8
        .value_kind:     global_buffer
      - .offset:         32
        .size:           4
        .value_kind:     by_value
      - .offset:         40
        .size:           8
        .value_kind:     by_value
      - .offset:         48
        .size:           4
        .value_kind:     hidden_block_count_x
      - .offset:         52
        .size:           4
        .value_kind:     hidden_block_count_y
      - .offset:         56
        .size:           4
        .value_kind:     hidden_block_count_z
      - .offset:         60
        .size:           2
        .value_kind:     hidden_group_size_x
      - .offset:         62
        .size:           2
        .value_kind:     hidden_group_size_y
      - .offset:         64
        .size:           2
        .value_kind:     hidden_group_size_z
      - .offset:         66
        .size:           2
        .value_kind:     hidden_remainder_x
      - .offset:         68
        .size:           2
        .value_kind:     hidden_remainder_y
      - .offset:         70
        .size:           2
        .value_kind:     hidden_remainder_z
      - .offset:         88
        .size:           8
        .value_kind:     hidden_global_offset_x
      - .offset:         96
        .size:           8
        .value_kind:     hidden_global_offset_y
      - .offset:         104
        .size:           8
        .value_kind:     hidden_global_offset_z
      - .offset:         112
        .size:           2
        .value_kind:     hidden_grid_dims
    .group_segment_fixed_size: 0
    .kernarg_segment_align: 8
    .kernarg_segment_size: 304
    .language:       OpenCL C
    .language_version:
      - 2
      - 0
    .max_flat_workgroup_size: 1024
    .name:           _ZN5aiter30swiglu_act_and_mul_bias_kernelIftlfLi16EEEvPT0_PKT_PKT1_PKT2_il
    .private_segment_fixed_size: 0
    .sgpr_count:     96
    .sgpr_spill_count: 0
    .symbol:         _ZN5aiter30swiglu_act_and_mul_bias_kernelIftlfLi16EEEvPT0_PKT_PKT1_PKT2_il.kd
    .uniform_work_group_size: 1
    .uses_dynamic_stack: false
    .vgpr_count:     76
    .vgpr_spill_count: 0
    .wavefront_size: 64
  - .agpr_count:     0
    .args:
      - .actual_access:  write_only
        .address_space:  global
        .offset:         0
        .size:           8
        .value_kind:     global_buffer
      - .actual_access:  read_only
        .address_space:  global
        .offset:         8
        .size:           8
        .value_kind:     global_buffer
      - .actual_access:  read_only
        .address_space:  global
        .offset:         16
        .size:           8
        .value_kind:     global_buffer
      - .actual_access:  read_only
        .address_space:  global
        .offset:         24
        .size:           8
        .value_kind:     global_buffer
      - .offset:         32
        .size:           4
        .value_kind:     by_value
      - .offset:         40
        .size:           8
        .value_kind:     by_value
      - .offset:         48
        .size:           4
        .value_kind:     hidden_block_count_x
      - .offset:         52
        .size:           4
        .value_kind:     hidden_block_count_y
      - .offset:         56
        .size:           4
        .value_kind:     hidden_block_count_z
      - .offset:         60
        .size:           2
        .value_kind:     hidden_group_size_x
      - .offset:         62
        .size:           2
        .value_kind:     hidden_group_size_y
      - .offset:         64
        .size:           2
        .value_kind:     hidden_group_size_z
      - .offset:         66
        .size:           2
        .value_kind:     hidden_remainder_x
      - .offset:         68
        .size:           2
        .value_kind:     hidden_remainder_y
      - .offset:         70
        .size:           2
        .value_kind:     hidden_remainder_z
      - .offset:         88
        .size:           8
        .value_kind:     hidden_global_offset_x
      - .offset:         96
        .size:           8
        .value_kind:     hidden_global_offset_y
      - .offset:         104
        .size:           8
        .value_kind:     hidden_global_offset_z
      - .offset:         112
        .size:           2
        .value_kind:     hidden_grid_dims
    .group_segment_fixed_size: 0
    .kernarg_segment_align: 8
    .kernarg_segment_size: 304
    .language:       OpenCL C
    .language_version:
      - 2
      - 0
    .max_flat_workgroup_size: 1024
    .name:           _ZN5aiter30swiglu_act_and_mul_bias_kernelIftlfLi8EEEvPT0_PKT_PKT1_PKT2_il
    .private_segment_fixed_size: 0
    .sgpr_count:     54
    .sgpr_spill_count: 0
    .symbol:         _ZN5aiter30swiglu_act_and_mul_bias_kernelIftlfLi8EEEvPT0_PKT_PKT1_PKT2_il.kd
    .uniform_work_group_size: 1
    .uses_dynamic_stack: false
    .vgpr_count:     54
    .vgpr_spill_count: 0
    .wavefront_size: 64
  - .agpr_count:     0
    .args:
      - .actual_access:  write_only
        .address_space:  global
        .offset:         0
        .size:           8
        .value_kind:     global_buffer
      - .actual_access:  read_only
        .address_space:  global
        .offset:         8
        .size:           8
        .value_kind:     global_buffer
      - .actual_access:  read_only
        .address_space:  global
        .offset:         16
        .size:           8
        .value_kind:     global_buffer
      - .actual_access:  read_only
        .address_space:  global
        .offset:         24
        .size:           8
        .value_kind:     global_buffer
      - .offset:         32
        .size:           4
        .value_kind:     by_value
      - .offset:         40
        .size:           8
        .value_kind:     by_value
      - .offset:         48
        .size:           4
        .value_kind:     hidden_block_count_x
      - .offset:         52
        .size:           4
        .value_kind:     hidden_block_count_y
      - .offset:         56
        .size:           4
        .value_kind:     hidden_block_count_z
      - .offset:         60
        .size:           2
        .value_kind:     hidden_group_size_x
      - .offset:         62
        .size:           2
        .value_kind:     hidden_group_size_y
      - .offset:         64
        .size:           2
        .value_kind:     hidden_group_size_z
      - .offset:         66
        .size:           2
        .value_kind:     hidden_remainder_x
      - .offset:         68
        .size:           2
        .value_kind:     hidden_remainder_y
      - .offset:         70
        .size:           2
        .value_kind:     hidden_remainder_z
      - .offset:         88
        .size:           8
        .value_kind:     hidden_global_offset_x
      - .offset:         96
        .size:           8
        .value_kind:     hidden_global_offset_y
      - .offset:         104
        .size:           8
        .value_kind:     hidden_global_offset_z
      - .offset:         112
        .size:           2
        .value_kind:     hidden_grid_dims
    .group_segment_fixed_size: 0
    .kernarg_segment_align: 8
    .kernarg_segment_size: 304
    .language:       OpenCL C
    .language_version:
      - 2
      - 0
    .max_flat_workgroup_size: 1024
    .name:           _ZN5aiter30swiglu_act_and_mul_bias_kernelIftlfLi4EEEvPT0_PKT_PKT1_PKT2_il
    .private_segment_fixed_size: 0
    .sgpr_count:     46
    .sgpr_spill_count: 0
    .symbol:         _ZN5aiter30swiglu_act_and_mul_bias_kernelIftlfLi4EEEvPT0_PKT_PKT1_PKT2_il.kd
    .uniform_work_group_size: 1
    .uses_dynamic_stack: false
    .vgpr_count:     30
    .vgpr_spill_count: 0
    .wavefront_size: 64
  - .agpr_count:     0
    .args:
      - .actual_access:  write_only
        .address_space:  global
        .offset:         0
        .size:           8
        .value_kind:     global_buffer
      - .actual_access:  read_only
        .address_space:  global
        .offset:         8
        .size:           8
        .value_kind:     global_buffer
      - .actual_access:  read_only
        .address_space:  global
        .offset:         16
        .size:           8
        .value_kind:     global_buffer
      - .actual_access:  read_only
        .address_space:  global
        .offset:         24
        .size:           8
        .value_kind:     global_buffer
      - .offset:         32
        .size:           4
        .value_kind:     by_value
      - .offset:         40
        .size:           8
        .value_kind:     by_value
      - .offset:         48
        .size:           4
        .value_kind:     hidden_block_count_x
      - .offset:         52
        .size:           4
        .value_kind:     hidden_block_count_y
      - .offset:         56
        .size:           4
        .value_kind:     hidden_block_count_z
      - .offset:         60
        .size:           2
        .value_kind:     hidden_group_size_x
      - .offset:         62
        .size:           2
        .value_kind:     hidden_group_size_y
      - .offset:         64
        .size:           2
        .value_kind:     hidden_group_size_z
      - .offset:         66
        .size:           2
        .value_kind:     hidden_remainder_x
      - .offset:         68
        .size:           2
        .value_kind:     hidden_remainder_y
      - .offset:         70
        .size:           2
        .value_kind:     hidden_remainder_z
      - .offset:         88
        .size:           8
        .value_kind:     hidden_global_offset_x
      - .offset:         96
        .size:           8
        .value_kind:     hidden_global_offset_y
      - .offset:         104
        .size:           8
        .value_kind:     hidden_global_offset_z
      - .offset:         112
        .size:           2
        .value_kind:     hidden_grid_dims
    .group_segment_fixed_size: 0
    .kernarg_segment_align: 8
    .kernarg_segment_size: 304
    .language:       OpenCL C
    .language_version:
      - 2
      - 0
    .max_flat_workgroup_size: 1024
    .name:           _ZN5aiter30swiglu_act_and_mul_bias_kernelIftlfLi2EEEvPT0_PKT_PKT1_PKT2_il
    .private_segment_fixed_size: 0
    .sgpr_count:     42
    .sgpr_spill_count: 0
    .symbol:         _ZN5aiter30swiglu_act_and_mul_bias_kernelIftlfLi2EEEvPT0_PKT_PKT1_PKT2_il.kd
    .uniform_work_group_size: 1
    .uses_dynamic_stack: false
    .vgpr_count:     18
    .vgpr_spill_count: 0
    .wavefront_size: 64
  - .agpr_count:     0
    .args:
      - .actual_access:  write_only
        .address_space:  global
        .offset:         0
        .size:           8
        .value_kind:     global_buffer
      - .actual_access:  read_only
        .address_space:  global
        .offset:         8
        .size:           8
        .value_kind:     global_buffer
      - .actual_access:  read_only
        .address_space:  global
        .offset:         16
        .size:           8
        .value_kind:     global_buffer
      - .actual_access:  read_only
        .address_space:  global
        .offset:         24
        .size:           8
        .value_kind:     global_buffer
      - .offset:         32
        .size:           4
        .value_kind:     by_value
      - .offset:         40
        .size:           8
        .value_kind:     by_value
      - .offset:         48
        .size:           4
        .value_kind:     hidden_block_count_x
      - .offset:         52
        .size:           4
        .value_kind:     hidden_block_count_y
      - .offset:         56
        .size:           4
        .value_kind:     hidden_block_count_z
      - .offset:         60
        .size:           2
        .value_kind:     hidden_group_size_x
      - .offset:         62
        .size:           2
        .value_kind:     hidden_group_size_y
      - .offset:         64
        .size:           2
        .value_kind:     hidden_group_size_z
      - .offset:         66
        .size:           2
        .value_kind:     hidden_remainder_x
      - .offset:         68
        .size:           2
        .value_kind:     hidden_remainder_y
      - .offset:         70
        .size:           2
        .value_kind:     hidden_remainder_z
      - .offset:         88
        .size:           8
        .value_kind:     hidden_global_offset_x
      - .offset:         96
        .size:           8
        .value_kind:     hidden_global_offset_y
      - .offset:         104
        .size:           8
        .value_kind:     hidden_global_offset_z
      - .offset:         112
        .size:           2
        .value_kind:     hidden_grid_dims
    .group_segment_fixed_size: 0
    .kernarg_segment_align: 8
    .kernarg_segment_size: 304
    .language:       OpenCL C
    .language_version:
      - 2
      - 0
    .max_flat_workgroup_size: 1024
    .name:           _ZN5aiter30swiglu_act_and_mul_bias_kernelIftlfLi1EEEvPT0_PKT_PKT1_PKT2_il
    .private_segment_fixed_size: 0
    .sgpr_count:     37
    .sgpr_spill_count: 0
    .symbol:         _ZN5aiter30swiglu_act_and_mul_bias_kernelIftlfLi1EEEvPT0_PKT_PKT1_PKT2_il.kd
    .uniform_work_group_size: 1
    .uses_dynamic_stack: false
    .vgpr_count:     11
    .vgpr_spill_count: 0
    .wavefront_size: 64
  - .agpr_count:     0
    .args:
      - .actual_access:  write_only
        .address_space:  global
        .offset:         0
        .size:           8
        .value_kind:     global_buffer
      - .actual_access:  read_only
        .address_space:  global
        .offset:         8
        .size:           8
        .value_kind:     global_buffer
      - .actual_access:  read_only
        .address_space:  global
        .offset:         16
        .size:           8
        .value_kind:     global_buffer
      - .actual_access:  read_only
        .address_space:  global
        .offset:         24
        .size:           8
        .value_kind:     global_buffer
      - .offset:         32
        .size:           4
        .value_kind:     by_value
      - .offset:         40
        .size:           8
        .value_kind:     by_value
      - .offset:         48
        .size:           4
        .value_kind:     hidden_block_count_x
      - .offset:         52
        .size:           4
        .value_kind:     hidden_block_count_y
      - .offset:         56
        .size:           4
        .value_kind:     hidden_block_count_z
      - .offset:         60
        .size:           2
        .value_kind:     hidden_group_size_x
      - .offset:         62
        .size:           2
        .value_kind:     hidden_group_size_y
      - .offset:         64
        .size:           2
        .value_kind:     hidden_group_size_z
      - .offset:         66
        .size:           2
        .value_kind:     hidden_remainder_x
      - .offset:         68
        .size:           2
        .value_kind:     hidden_remainder_y
      - .offset:         70
        .size:           2
        .value_kind:     hidden_remainder_z
      - .offset:         88
        .size:           8
        .value_kind:     hidden_global_offset_x
      - .offset:         96
        .size:           8
        .value_kind:     hidden_global_offset_y
      - .offset:         104
        .size:           8
        .value_kind:     hidden_global_offset_z
      - .offset:         112
        .size:           2
        .value_kind:     hidden_grid_dims
    .group_segment_fixed_size: 0
    .kernarg_segment_align: 8
    .kernarg_segment_size: 304
    .language:       OpenCL C
    .language_version:
      - 2
      - 0
    .max_flat_workgroup_size: 1024
    .name:           _ZN5aiter30swiglu_act_and_mul_bias_kernelIfDF16_lfLi16EEEvPT0_PKT_PKT1_PKT2_il
    .private_segment_fixed_size: 0
    .sgpr_count:     81
    .sgpr_spill_count: 0
    .symbol:         _ZN5aiter30swiglu_act_and_mul_bias_kernelIfDF16_lfLi16EEEvPT0_PKT_PKT1_PKT2_il.kd
    .uniform_work_group_size: 1
    .uses_dynamic_stack: false
    .vgpr_count:     61
    .vgpr_spill_count: 0
    .wavefront_size: 64
  - .agpr_count:     0
    .args:
      - .actual_access:  write_only
        .address_space:  global
        .offset:         0
        .size:           8
        .value_kind:     global_buffer
      - .actual_access:  read_only
        .address_space:  global
        .offset:         8
        .size:           8
        .value_kind:     global_buffer
      - .actual_access:  read_only
        .address_space:  global
        .offset:         16
        .size:           8
        .value_kind:     global_buffer
      - .actual_access:  read_only
        .address_space:  global
        .offset:         24
        .size:           8
        .value_kind:     global_buffer
      - .offset:         32
        .size:           4
        .value_kind:     by_value
      - .offset:         40
        .size:           8
        .value_kind:     by_value
      - .offset:         48
        .size:           4
        .value_kind:     hidden_block_count_x
      - .offset:         52
        .size:           4
        .value_kind:     hidden_block_count_y
      - .offset:         56
        .size:           4
        .value_kind:     hidden_block_count_z
      - .offset:         60
        .size:           2
        .value_kind:     hidden_group_size_x
      - .offset:         62
        .size:           2
        .value_kind:     hidden_group_size_y
      - .offset:         64
        .size:           2
        .value_kind:     hidden_group_size_z
      - .offset:         66
        .size:           2
        .value_kind:     hidden_remainder_x
      - .offset:         68
        .size:           2
        .value_kind:     hidden_remainder_y
      - .offset:         70
        .size:           2
        .value_kind:     hidden_remainder_z
      - .offset:         88
        .size:           8
        .value_kind:     hidden_global_offset_x
      - .offset:         96
        .size:           8
        .value_kind:     hidden_global_offset_y
      - .offset:         104
        .size:           8
        .value_kind:     hidden_global_offset_z
      - .offset:         112
        .size:           2
        .value_kind:     hidden_grid_dims
    .group_segment_fixed_size: 0
    .kernarg_segment_align: 8
    .kernarg_segment_size: 304
    .language:       OpenCL C
    .language_version:
      - 2
      - 0
    .max_flat_workgroup_size: 1024
    .name:           _ZN5aiter30swiglu_act_and_mul_bias_kernelIfDF16_lfLi8EEEvPT0_PKT_PKT1_PKT2_il
    .private_segment_fixed_size: 0
    .sgpr_count:     53
    .sgpr_spill_count: 0
    .symbol:         _ZN5aiter30swiglu_act_and_mul_bias_kernelIfDF16_lfLi8EEEvPT0_PKT_PKT1_PKT2_il.kd
    .uniform_work_group_size: 1
    .uses_dynamic_stack: false
    .vgpr_count:     54
    .vgpr_spill_count: 0
    .wavefront_size: 64
  - .agpr_count:     0
    .args:
      - .actual_access:  write_only
        .address_space:  global
        .offset:         0
        .size:           8
        .value_kind:     global_buffer
      - .actual_access:  read_only
        .address_space:  global
        .offset:         8
        .size:           8
        .value_kind:     global_buffer
      - .actual_access:  read_only
        .address_space:  global
        .offset:         16
        .size:           8
        .value_kind:     global_buffer
      - .actual_access:  read_only
        .address_space:  global
        .offset:         24
        .size:           8
        .value_kind:     global_buffer
      - .offset:         32
        .size:           4
        .value_kind:     by_value
      - .offset:         40
        .size:           8
        .value_kind:     by_value
      - .offset:         48
        .size:           4
        .value_kind:     hidden_block_count_x
      - .offset:         52
        .size:           4
        .value_kind:     hidden_block_count_y
      - .offset:         56
        .size:           4
        .value_kind:     hidden_block_count_z
      - .offset:         60
        .size:           2
        .value_kind:     hidden_group_size_x
      - .offset:         62
        .size:           2
        .value_kind:     hidden_group_size_y
      - .offset:         64
        .size:           2
        .value_kind:     hidden_group_size_z
      - .offset:         66
        .size:           2
        .value_kind:     hidden_remainder_x
      - .offset:         68
        .size:           2
        .value_kind:     hidden_remainder_y
      - .offset:         70
        .size:           2
        .value_kind:     hidden_remainder_z
      - .offset:         88
        .size:           8
        .value_kind:     hidden_global_offset_x
      - .offset:         96
        .size:           8
        .value_kind:     hidden_global_offset_y
      - .offset:         104
        .size:           8
        .value_kind:     hidden_global_offset_z
      - .offset:         112
        .size:           2
        .value_kind:     hidden_grid_dims
    .group_segment_fixed_size: 0
    .kernarg_segment_align: 8
    .kernarg_segment_size: 304
    .language:       OpenCL C
    .language_version:
      - 2
      - 0
    .max_flat_workgroup_size: 1024
    .name:           _ZN5aiter30swiglu_act_and_mul_bias_kernelIfDF16_lfLi4EEEvPT0_PKT_PKT1_PKT2_il
    .private_segment_fixed_size: 0
    .sgpr_count:     47
    .sgpr_spill_count: 0
    .symbol:         _ZN5aiter30swiglu_act_and_mul_bias_kernelIfDF16_lfLi4EEEvPT0_PKT_PKT1_PKT2_il.kd
    .uniform_work_group_size: 1
    .uses_dynamic_stack: false
    .vgpr_count:     30
    .vgpr_spill_count: 0
    .wavefront_size: 64
  - .agpr_count:     0
    .args:
      - .actual_access:  write_only
        .address_space:  global
        .offset:         0
        .size:           8
        .value_kind:     global_buffer
      - .actual_access:  read_only
        .address_space:  global
        .offset:         8
        .size:           8
        .value_kind:     global_buffer
      - .actual_access:  read_only
        .address_space:  global
        .offset:         16
        .size:           8
        .value_kind:     global_buffer
      - .actual_access:  read_only
        .address_space:  global
        .offset:         24
        .size:           8
        .value_kind:     global_buffer
      - .offset:         32
        .size:           4
        .value_kind:     by_value
      - .offset:         40
        .size:           8
        .value_kind:     by_value
      - .offset:         48
        .size:           4
        .value_kind:     hidden_block_count_x
      - .offset:         52
        .size:           4
        .value_kind:     hidden_block_count_y
      - .offset:         56
        .size:           4
        .value_kind:     hidden_block_count_z
      - .offset:         60
        .size:           2
        .value_kind:     hidden_group_size_x
      - .offset:         62
        .size:           2
        .value_kind:     hidden_group_size_y
      - .offset:         64
        .size:           2
        .value_kind:     hidden_group_size_z
      - .offset:         66
        .size:           2
        .value_kind:     hidden_remainder_x
      - .offset:         68
        .size:           2
        .value_kind:     hidden_remainder_y
      - .offset:         70
        .size:           2
        .value_kind:     hidden_remainder_z
      - .offset:         88
        .size:           8
        .value_kind:     hidden_global_offset_x
      - .offset:         96
        .size:           8
        .value_kind:     hidden_global_offset_y
      - .offset:         104
        .size:           8
        .value_kind:     hidden_global_offset_z
      - .offset:         112
        .size:           2
        .value_kind:     hidden_grid_dims
    .group_segment_fixed_size: 0
    .kernarg_segment_align: 8
    .kernarg_segment_size: 304
    .language:       OpenCL C
    .language_version:
      - 2
      - 0
    .max_flat_workgroup_size: 1024
    .name:           _ZN5aiter30swiglu_act_and_mul_bias_kernelIfDF16_lfLi2EEEvPT0_PKT_PKT1_PKT2_il
    .private_segment_fixed_size: 0
    .sgpr_count:     41
    .sgpr_spill_count: 0
    .symbol:         _ZN5aiter30swiglu_act_and_mul_bias_kernelIfDF16_lfLi2EEEvPT0_PKT_PKT1_PKT2_il.kd
    .uniform_work_group_size: 1
    .uses_dynamic_stack: false
    .vgpr_count:     18
    .vgpr_spill_count: 0
    .wavefront_size: 64
  - .agpr_count:     0
    .args:
      - .actual_access:  write_only
        .address_space:  global
        .offset:         0
        .size:           8
        .value_kind:     global_buffer
      - .actual_access:  read_only
        .address_space:  global
        .offset:         8
        .size:           8
        .value_kind:     global_buffer
      - .actual_access:  read_only
        .address_space:  global
        .offset:         16
        .size:           8
        .value_kind:     global_buffer
      - .actual_access:  read_only
        .address_space:  global
        .offset:         24
        .size:           8
        .value_kind:     global_buffer
      - .offset:         32
        .size:           4
        .value_kind:     by_value
      - .offset:         40
        .size:           8
        .value_kind:     by_value
      - .offset:         48
        .size:           4
        .value_kind:     hidden_block_count_x
      - .offset:         52
        .size:           4
        .value_kind:     hidden_block_count_y
      - .offset:         56
        .size:           4
        .value_kind:     hidden_block_count_z
      - .offset:         60
        .size:           2
        .value_kind:     hidden_group_size_x
      - .offset:         62
        .size:           2
        .value_kind:     hidden_group_size_y
      - .offset:         64
        .size:           2
        .value_kind:     hidden_group_size_z
      - .offset:         66
        .size:           2
        .value_kind:     hidden_remainder_x
      - .offset:         68
        .size:           2
        .value_kind:     hidden_remainder_y
      - .offset:         70
        .size:           2
        .value_kind:     hidden_remainder_z
      - .offset:         88
        .size:           8
        .value_kind:     hidden_global_offset_x
      - .offset:         96
        .size:           8
        .value_kind:     hidden_global_offset_y
      - .offset:         104
        .size:           8
        .value_kind:     hidden_global_offset_z
      - .offset:         112
        .size:           2
        .value_kind:     hidden_grid_dims
    .group_segment_fixed_size: 0
    .kernarg_segment_align: 8
    .kernarg_segment_size: 304
    .language:       OpenCL C
    .language_version:
      - 2
      - 0
    .max_flat_workgroup_size: 1024
    .name:           _ZN5aiter30swiglu_act_and_mul_bias_kernelIfDF16_lfLi1EEEvPT0_PKT_PKT1_PKT2_il
    .private_segment_fixed_size: 0
    .sgpr_count:     37
    .sgpr_spill_count: 0
    .symbol:         _ZN5aiter30swiglu_act_and_mul_bias_kernelIfDF16_lfLi1EEEvPT0_PKT_PKT1_PKT2_il.kd
    .uniform_work_group_size: 1
    .uses_dynamic_stack: false
    .vgpr_count:     11
    .vgpr_spill_count: 0
    .wavefront_size: 64
  - .agpr_count:     0
    .args:
      - .actual_access:  write_only
        .address_space:  global
        .offset:         0
        .size:           8
        .value_kind:     global_buffer
      - .actual_access:  read_only
        .address_space:  global
        .offset:         8
        .size:           8
        .value_kind:     global_buffer
      - .actual_access:  read_only
        .address_space:  global
        .offset:         16
        .size:           8
        .value_kind:     global_buffer
      - .actual_access:  read_only
        .address_space:  global
        .offset:         24
        .size:           8
        .value_kind:     global_buffer
      - .offset:         32
        .size:           4
        .value_kind:     by_value
      - .offset:         40
        .size:           8
        .value_kind:     by_value
      - .offset:         48
        .size:           4
        .value_kind:     hidden_block_count_x
      - .offset:         52
        .size:           4
        .value_kind:     hidden_block_count_y
      - .offset:         56
        .size:           4
        .value_kind:     hidden_block_count_z
      - .offset:         60
        .size:           2
        .value_kind:     hidden_group_size_x
      - .offset:         62
        .size:           2
        .value_kind:     hidden_group_size_y
      - .offset:         64
        .size:           2
        .value_kind:     hidden_group_size_z
      - .offset:         66
        .size:           2
        .value_kind:     hidden_remainder_x
      - .offset:         68
        .size:           2
        .value_kind:     hidden_remainder_y
      - .offset:         70
        .size:           2
        .value_kind:     hidden_remainder_z
      - .offset:         88
        .size:           8
        .value_kind:     hidden_global_offset_x
      - .offset:         96
        .size:           8
        .value_kind:     hidden_global_offset_y
      - .offset:         104
        .size:           8
        .value_kind:     hidden_global_offset_z
      - .offset:         112
        .size:           2
        .value_kind:     hidden_grid_dims
    .group_segment_fixed_size: 0
    .kernarg_segment_align: 8
    .kernarg_segment_size: 304
    .language:       OpenCL C
    .language_version:
      - 2
      - 0
    .max_flat_workgroup_size: 1024
    .name:           _ZN5aiter30swiglu_act_and_mul_bias_kernelIfflfLi16EEEvPT0_PKT_PKT1_PKT2_il
    .private_segment_fixed_size: 0
    .sgpr_count:     40
    .sgpr_spill_count: 0
    .symbol:         _ZN5aiter30swiglu_act_and_mul_bias_kernelIfflfLi16EEEvPT0_PKT_PKT1_PKT2_il.kd
    .uniform_work_group_size: 1
    .uses_dynamic_stack: false
    .vgpr_count:     60
    .vgpr_spill_count: 0
    .wavefront_size: 64
  - .agpr_count:     0
    .args:
      - .actual_access:  write_only
        .address_space:  global
        .offset:         0
        .size:           8
        .value_kind:     global_buffer
      - .actual_access:  read_only
        .address_space:  global
        .offset:         8
        .size:           8
        .value_kind:     global_buffer
      - .actual_access:  read_only
        .address_space:  global
        .offset:         16
        .size:           8
        .value_kind:     global_buffer
      - .actual_access:  read_only
        .address_space:  global
        .offset:         24
        .size:           8
        .value_kind:     global_buffer
      - .offset:         32
        .size:           4
        .value_kind:     by_value
      - .offset:         40
        .size:           8
        .value_kind:     by_value
      - .offset:         48
        .size:           4
        .value_kind:     hidden_block_count_x
      - .offset:         52
        .size:           4
        .value_kind:     hidden_block_count_y
      - .offset:         56
        .size:           4
        .value_kind:     hidden_block_count_z
      - .offset:         60
        .size:           2
        .value_kind:     hidden_group_size_x
      - .offset:         62
        .size:           2
        .value_kind:     hidden_group_size_y
      - .offset:         64
        .size:           2
        .value_kind:     hidden_group_size_z
      - .offset:         66
        .size:           2
        .value_kind:     hidden_remainder_x
      - .offset:         68
        .size:           2
        .value_kind:     hidden_remainder_y
      - .offset:         70
        .size:           2
        .value_kind:     hidden_remainder_z
      - .offset:         88
        .size:           8
        .value_kind:     hidden_global_offset_x
      - .offset:         96
        .size:           8
        .value_kind:     hidden_global_offset_y
      - .offset:         104
        .size:           8
        .value_kind:     hidden_global_offset_z
      - .offset:         112
        .size:           2
        .value_kind:     hidden_grid_dims
    .group_segment_fixed_size: 0
    .kernarg_segment_align: 8
    .kernarg_segment_size: 304
    .language:       OpenCL C
    .language_version:
      - 2
      - 0
    .max_flat_workgroup_size: 1024
    .name:           _ZN5aiter30swiglu_act_and_mul_bias_kernelIfflfLi8EEEvPT0_PKT_PKT1_PKT2_il
    .private_segment_fixed_size: 0
    .sgpr_count:     37
    .sgpr_spill_count: 0
    .symbol:         _ZN5aiter30swiglu_act_and_mul_bias_kernelIfflfLi8EEEvPT0_PKT_PKT1_PKT2_il.kd
    .uniform_work_group_size: 1
    .uses_dynamic_stack: false
    .vgpr_count:     47
    .vgpr_spill_count: 0
    .wavefront_size: 64
  - .agpr_count:     0
    .args:
      - .actual_access:  write_only
        .address_space:  global
        .offset:         0
        .size:           8
        .value_kind:     global_buffer
      - .actual_access:  read_only
        .address_space:  global
        .offset:         8
        .size:           8
        .value_kind:     global_buffer
      - .actual_access:  read_only
        .address_space:  global
        .offset:         16
        .size:           8
        .value_kind:     global_buffer
      - .actual_access:  read_only
        .address_space:  global
        .offset:         24
        .size:           8
        .value_kind:     global_buffer
      - .offset:         32
        .size:           4
        .value_kind:     by_value
      - .offset:         40
        .size:           8
        .value_kind:     by_value
      - .offset:         48
        .size:           4
        .value_kind:     hidden_block_count_x
      - .offset:         52
        .size:           4
        .value_kind:     hidden_block_count_y
      - .offset:         56
        .size:           4
        .value_kind:     hidden_block_count_z
      - .offset:         60
        .size:           2
        .value_kind:     hidden_group_size_x
      - .offset:         62
        .size:           2
        .value_kind:     hidden_group_size_y
      - .offset:         64
        .size:           2
        .value_kind:     hidden_group_size_z
      - .offset:         66
        .size:           2
        .value_kind:     hidden_remainder_x
      - .offset:         68
        .size:           2
        .value_kind:     hidden_remainder_y
      - .offset:         70
        .size:           2
        .value_kind:     hidden_remainder_z
      - .offset:         88
        .size:           8
        .value_kind:     hidden_global_offset_x
      - .offset:         96
        .size:           8
        .value_kind:     hidden_global_offset_y
      - .offset:         104
        .size:           8
        .value_kind:     hidden_global_offset_z
      - .offset:         112
        .size:           2
        .value_kind:     hidden_grid_dims
    .group_segment_fixed_size: 0
    .kernarg_segment_align: 8
    .kernarg_segment_size: 304
    .language:       OpenCL C
    .language_version:
      - 2
      - 0
    .max_flat_workgroup_size: 1024
    .name:           _ZN5aiter30swiglu_act_and_mul_bias_kernelIfflfLi4EEEvPT0_PKT_PKT1_PKT2_il
    .private_segment_fixed_size: 0
    .sgpr_count:     37
    .sgpr_spill_count: 0
    .symbol:         _ZN5aiter30swiglu_act_and_mul_bias_kernelIfflfLi4EEEvPT0_PKT_PKT1_PKT2_il.kd
    .uniform_work_group_size: 1
    .uses_dynamic_stack: false
    .vgpr_count:     29
    .vgpr_spill_count: 0
    .wavefront_size: 64
  - .agpr_count:     0
    .args:
      - .actual_access:  write_only
        .address_space:  global
        .offset:         0
        .size:           8
        .value_kind:     global_buffer
      - .actual_access:  read_only
        .address_space:  global
        .offset:         8
        .size:           8
        .value_kind:     global_buffer
      - .actual_access:  read_only
        .address_space:  global
        .offset:         16
        .size:           8
        .value_kind:     global_buffer
      - .actual_access:  read_only
        .address_space:  global
        .offset:         24
        .size:           8
        .value_kind:     global_buffer
      - .offset:         32
        .size:           4
        .value_kind:     by_value
      - .offset:         40
        .size:           8
        .value_kind:     by_value
      - .offset:         48
        .size:           4
        .value_kind:     hidden_block_count_x
      - .offset:         52
        .size:           4
        .value_kind:     hidden_block_count_y
      - .offset:         56
        .size:           4
        .value_kind:     hidden_block_count_z
      - .offset:         60
        .size:           2
        .value_kind:     hidden_group_size_x
      - .offset:         62
        .size:           2
        .value_kind:     hidden_group_size_y
      - .offset:         64
        .size:           2
        .value_kind:     hidden_group_size_z
      - .offset:         66
        .size:           2
        .value_kind:     hidden_remainder_x
      - .offset:         68
        .size:           2
        .value_kind:     hidden_remainder_y
      - .offset:         70
        .size:           2
        .value_kind:     hidden_remainder_z
      - .offset:         88
        .size:           8
        .value_kind:     hidden_global_offset_x
      - .offset:         96
        .size:           8
        .value_kind:     hidden_global_offset_y
      - .offset:         104
        .size:           8
        .value_kind:     hidden_global_offset_z
      - .offset:         112
        .size:           2
        .value_kind:     hidden_grid_dims
    .group_segment_fixed_size: 0
    .kernarg_segment_align: 8
    .kernarg_segment_size: 304
    .language:       OpenCL C
    .language_version:
      - 2
      - 0
    .max_flat_workgroup_size: 1024
    .name:           _ZN5aiter30swiglu_act_and_mul_bias_kernelIfflfLi2EEEvPT0_PKT_PKT1_PKT2_il
    .private_segment_fixed_size: 0
    .sgpr_count:     37
    .sgpr_spill_count: 0
    .symbol:         _ZN5aiter30swiglu_act_and_mul_bias_kernelIfflfLi2EEEvPT0_PKT_PKT1_PKT2_il.kd
    .uniform_work_group_size: 1
    .uses_dynamic_stack: false
    .vgpr_count:     19
    .vgpr_spill_count: 0
    .wavefront_size: 64
  - .agpr_count:     0
    .args:
      - .actual_access:  write_only
        .address_space:  global
        .offset:         0
        .size:           8
        .value_kind:     global_buffer
      - .actual_access:  read_only
        .address_space:  global
        .offset:         8
        .size:           8
        .value_kind:     global_buffer
      - .actual_access:  read_only
        .address_space:  global
        .offset:         16
        .size:           8
        .value_kind:     global_buffer
      - .actual_access:  read_only
        .address_space:  global
        .offset:         24
        .size:           8
        .value_kind:     global_buffer
      - .offset:         32
        .size:           4
        .value_kind:     by_value
      - .offset:         40
        .size:           8
        .value_kind:     by_value
      - .offset:         48
        .size:           4
        .value_kind:     hidden_block_count_x
      - .offset:         52
        .size:           4
        .value_kind:     hidden_block_count_y
      - .offset:         56
        .size:           4
        .value_kind:     hidden_block_count_z
      - .offset:         60
        .size:           2
        .value_kind:     hidden_group_size_x
      - .offset:         62
        .size:           2
        .value_kind:     hidden_group_size_y
      - .offset:         64
        .size:           2
        .value_kind:     hidden_group_size_z
      - .offset:         66
        .size:           2
        .value_kind:     hidden_remainder_x
      - .offset:         68
        .size:           2
        .value_kind:     hidden_remainder_y
      - .offset:         70
        .size:           2
        .value_kind:     hidden_remainder_z
      - .offset:         88
        .size:           8
        .value_kind:     hidden_global_offset_x
      - .offset:         96
        .size:           8
        .value_kind:     hidden_global_offset_y
      - .offset:         104
        .size:           8
        .value_kind:     hidden_global_offset_z
      - .offset:         112
        .size:           2
        .value_kind:     hidden_grid_dims
    .group_segment_fixed_size: 0
    .kernarg_segment_align: 8
    .kernarg_segment_size: 304
    .language:       OpenCL C
    .language_version:
      - 2
      - 0
    .max_flat_workgroup_size: 1024
    .name:           _ZN5aiter30swiglu_act_and_mul_bias_kernelIfflfLi1EEEvPT0_PKT_PKT1_PKT2_il
    .private_segment_fixed_size: 0
    .sgpr_count:     36
    .sgpr_spill_count: 0
    .symbol:         _ZN5aiter30swiglu_act_and_mul_bias_kernelIfflfLi1EEEvPT0_PKT_PKT1_PKT2_il.kd
    .uniform_work_group_size: 1
    .uses_dynamic_stack: false
    .vgpr_count:     11
    .vgpr_spill_count: 0
    .wavefront_size: 64
  - .agpr_count:     0
    .args:
      - .actual_access:  write_only
        .address_space:  global
        .offset:         0
        .size:           8
        .value_kind:     global_buffer
      - .actual_access:  read_only
        .address_space:  global
        .offset:         8
        .size:           8
        .value_kind:     global_buffer
      - .actual_access:  read_only
        .address_space:  global
        .offset:         16
        .size:           8
        .value_kind:     global_buffer
      - .actual_access:  read_only
        .address_space:  global
        .offset:         24
        .size:           8
        .value_kind:     global_buffer
      - .offset:         32
        .size:           4
        .value_kind:     by_value
      - .offset:         40
        .size:           8
        .value_kind:     by_value
      - .offset:         48
        .size:           4
        .value_kind:     hidden_block_count_x
      - .offset:         52
        .size:           4
        .value_kind:     hidden_block_count_y
      - .offset:         56
        .size:           4
        .value_kind:     hidden_block_count_z
      - .offset:         60
        .size:           2
        .value_kind:     hidden_group_size_x
      - .offset:         62
        .size:           2
        .value_kind:     hidden_group_size_y
      - .offset:         64
        .size:           2
        .value_kind:     hidden_group_size_z
      - .offset:         66
        .size:           2
        .value_kind:     hidden_remainder_x
      - .offset:         68
        .size:           2
        .value_kind:     hidden_remainder_y
      - .offset:         70
        .size:           2
        .value_kind:     hidden_remainder_z
      - .offset:         88
        .size:           8
        .value_kind:     hidden_global_offset_x
      - .offset:         96
        .size:           8
        .value_kind:     hidden_global_offset_y
      - .offset:         104
        .size:           8
        .value_kind:     hidden_global_offset_z
      - .offset:         112
        .size:           2
        .value_kind:     hidden_grid_dims
    .group_segment_fixed_size: 0
    .kernarg_segment_align: 8
    .kernarg_segment_size: 304
    .language:       OpenCL C
    .language_version:
      - 2
      - 0
    .max_flat_workgroup_size: 1024
    .name:           _ZN5aiter30swiglu_act_and_mul_bias_kernelIDF16_DF16_lfLi32EEEvPT0_PKT_PKT1_PKT2_il
    .private_segment_fixed_size: 0
    .sgpr_count:     44
    .sgpr_spill_count: 0
    .symbol:         _ZN5aiter30swiglu_act_and_mul_bias_kernelIDF16_DF16_lfLi32EEEvPT0_PKT_PKT1_PKT2_il.kd
    .uniform_work_group_size: 1
    .uses_dynamic_stack: false
    .vgpr_count:     61
    .vgpr_spill_count: 0
    .wavefront_size: 64
  - .agpr_count:     0
    .args:
      - .actual_access:  write_only
        .address_space:  global
        .offset:         0
        .size:           8
        .value_kind:     global_buffer
      - .actual_access:  read_only
        .address_space:  global
        .offset:         8
        .size:           8
        .value_kind:     global_buffer
      - .actual_access:  read_only
        .address_space:  global
        .offset:         16
        .size:           8
        .value_kind:     global_buffer
      - .actual_access:  read_only
        .address_space:  global
        .offset:         24
        .size:           8
        .value_kind:     global_buffer
      - .offset:         32
        .size:           4
        .value_kind:     by_value
      - .offset:         40
        .size:           8
        .value_kind:     by_value
      - .offset:         48
        .size:           4
        .value_kind:     hidden_block_count_x
      - .offset:         52
        .size:           4
        .value_kind:     hidden_block_count_y
      - .offset:         56
        .size:           4
        .value_kind:     hidden_block_count_z
      - .offset:         60
        .size:           2
        .value_kind:     hidden_group_size_x
      - .offset:         62
        .size:           2
        .value_kind:     hidden_group_size_y
      - .offset:         64
        .size:           2
        .value_kind:     hidden_group_size_z
      - .offset:         66
        .size:           2
        .value_kind:     hidden_remainder_x
      - .offset:         68
        .size:           2
        .value_kind:     hidden_remainder_y
      - .offset:         70
        .size:           2
        .value_kind:     hidden_remainder_z
      - .offset:         88
        .size:           8
        .value_kind:     hidden_global_offset_x
      - .offset:         96
        .size:           8
        .value_kind:     hidden_global_offset_y
      - .offset:         104
        .size:           8
        .value_kind:     hidden_global_offset_z
      - .offset:         112
        .size:           2
        .value_kind:     hidden_grid_dims
    .group_segment_fixed_size: 0
    .kernarg_segment_align: 8
    .kernarg_segment_size: 304
    .language:       OpenCL C
    .language_version:
      - 2
      - 0
    .max_flat_workgroup_size: 1024
    .name:           _ZN5aiter30swiglu_act_and_mul_bias_kernelIDF16_DF16_lfLi16EEEvPT0_PKT_PKT1_PKT2_il
    .private_segment_fixed_size: 0
    .sgpr_count:     43
    .sgpr_spill_count: 0
    .symbol:         _ZN5aiter30swiglu_act_and_mul_bias_kernelIDF16_DF16_lfLi16EEEvPT0_PKT_PKT1_PKT2_il.kd
    .uniform_work_group_size: 1
    .uses_dynamic_stack: false
    .vgpr_count:     56
    .vgpr_spill_count: 0
    .wavefront_size: 64
  - .agpr_count:     0
    .args:
      - .actual_access:  write_only
        .address_space:  global
        .offset:         0
        .size:           8
        .value_kind:     global_buffer
      - .actual_access:  read_only
        .address_space:  global
        .offset:         8
        .size:           8
        .value_kind:     global_buffer
      - .actual_access:  read_only
        .address_space:  global
        .offset:         16
        .size:           8
        .value_kind:     global_buffer
      - .actual_access:  read_only
        .address_space:  global
        .offset:         24
        .size:           8
        .value_kind:     global_buffer
      - .offset:         32
        .size:           4
        .value_kind:     by_value
      - .offset:         40
        .size:           8
        .value_kind:     by_value
      - .offset:         48
        .size:           4
        .value_kind:     hidden_block_count_x
      - .offset:         52
        .size:           4
        .value_kind:     hidden_block_count_y
      - .offset:         56
        .size:           4
        .value_kind:     hidden_block_count_z
      - .offset:         60
        .size:           2
        .value_kind:     hidden_group_size_x
      - .offset:         62
        .size:           2
        .value_kind:     hidden_group_size_y
      - .offset:         64
        .size:           2
        .value_kind:     hidden_group_size_z
      - .offset:         66
        .size:           2
        .value_kind:     hidden_remainder_x
      - .offset:         68
        .size:           2
        .value_kind:     hidden_remainder_y
      - .offset:         70
        .size:           2
        .value_kind:     hidden_remainder_z
      - .offset:         88
        .size:           8
        .value_kind:     hidden_global_offset_x
      - .offset:         96
        .size:           8
        .value_kind:     hidden_global_offset_y
      - .offset:         104
        .size:           8
        .value_kind:     hidden_global_offset_z
      - .offset:         112
        .size:           2
        .value_kind:     hidden_grid_dims
    .group_segment_fixed_size: 0
    .kernarg_segment_align: 8
    .kernarg_segment_size: 304
    .language:       OpenCL C
    .language_version:
      - 2
      - 0
    .max_flat_workgroup_size: 1024
    .name:           _ZN5aiter30swiglu_act_and_mul_bias_kernelIDF16_DF16_lfLi8EEEvPT0_PKT_PKT1_PKT2_il
    .private_segment_fixed_size: 0
    .sgpr_count:     38
    .sgpr_spill_count: 0
    .symbol:         _ZN5aiter30swiglu_act_and_mul_bias_kernelIDF16_DF16_lfLi8EEEvPT0_PKT_PKT1_PKT2_il.kd
    .uniform_work_group_size: 1
    .uses_dynamic_stack: false
    .vgpr_count:     42
    .vgpr_spill_count: 0
    .wavefront_size: 64
  - .agpr_count:     0
    .args:
      - .actual_access:  write_only
        .address_space:  global
        .offset:         0
        .size:           8
        .value_kind:     global_buffer
      - .actual_access:  read_only
        .address_space:  global
        .offset:         8
        .size:           8
        .value_kind:     global_buffer
      - .actual_access:  read_only
        .address_space:  global
        .offset:         16
        .size:           8
        .value_kind:     global_buffer
      - .actual_access:  read_only
        .address_space:  global
        .offset:         24
        .size:           8
        .value_kind:     global_buffer
      - .offset:         32
        .size:           4
        .value_kind:     by_value
      - .offset:         40
        .size:           8
        .value_kind:     by_value
      - .offset:         48
        .size:           4
        .value_kind:     hidden_block_count_x
      - .offset:         52
        .size:           4
        .value_kind:     hidden_block_count_y
      - .offset:         56
        .size:           4
        .value_kind:     hidden_block_count_z
      - .offset:         60
        .size:           2
        .value_kind:     hidden_group_size_x
      - .offset:         62
        .size:           2
        .value_kind:     hidden_group_size_y
      - .offset:         64
        .size:           2
        .value_kind:     hidden_group_size_z
      - .offset:         66
        .size:           2
        .value_kind:     hidden_remainder_x
      - .offset:         68
        .size:           2
        .value_kind:     hidden_remainder_y
      - .offset:         70
        .size:           2
        .value_kind:     hidden_remainder_z
      - .offset:         88
        .size:           8
        .value_kind:     hidden_global_offset_x
      - .offset:         96
        .size:           8
        .value_kind:     hidden_global_offset_y
      - .offset:         104
        .size:           8
        .value_kind:     hidden_global_offset_z
      - .offset:         112
        .size:           2
        .value_kind:     hidden_grid_dims
    .group_segment_fixed_size: 0
    .kernarg_segment_align: 8
    .kernarg_segment_size: 304
    .language:       OpenCL C
    .language_version:
      - 2
      - 0
    .max_flat_workgroup_size: 1024
    .name:           _ZN5aiter30swiglu_act_and_mul_bias_kernelIDF16_DF16_lfLi4EEEvPT0_PKT_PKT1_PKT2_il
    .private_segment_fixed_size: 0
    .sgpr_count:     38
    .sgpr_spill_count: 0
    .symbol:         _ZN5aiter30swiglu_act_and_mul_bias_kernelIDF16_DF16_lfLi4EEEvPT0_PKT_PKT1_PKT2_il.kd
    .uniform_work_group_size: 1
    .uses_dynamic_stack: false
    .vgpr_count:     30
    .vgpr_spill_count: 0
    .wavefront_size: 64
  - .agpr_count:     0
    .args:
      - .actual_access:  write_only
        .address_space:  global
        .offset:         0
        .size:           8
        .value_kind:     global_buffer
      - .actual_access:  read_only
        .address_space:  global
        .offset:         8
        .size:           8
        .value_kind:     global_buffer
      - .actual_access:  read_only
        .address_space:  global
        .offset:         16
        .size:           8
        .value_kind:     global_buffer
      - .actual_access:  read_only
        .address_space:  global
        .offset:         24
        .size:           8
        .value_kind:     global_buffer
      - .offset:         32
        .size:           4
        .value_kind:     by_value
      - .offset:         40
        .size:           8
        .value_kind:     by_value
      - .offset:         48
        .size:           4
        .value_kind:     hidden_block_count_x
      - .offset:         52
        .size:           4
        .value_kind:     hidden_block_count_y
      - .offset:         56
        .size:           4
        .value_kind:     hidden_block_count_z
      - .offset:         60
        .size:           2
        .value_kind:     hidden_group_size_x
      - .offset:         62
        .size:           2
        .value_kind:     hidden_group_size_y
      - .offset:         64
        .size:           2
        .value_kind:     hidden_group_size_z
      - .offset:         66
        .size:           2
        .value_kind:     hidden_remainder_x
      - .offset:         68
        .size:           2
        .value_kind:     hidden_remainder_y
      - .offset:         70
        .size:           2
        .value_kind:     hidden_remainder_z
      - .offset:         88
        .size:           8
        .value_kind:     hidden_global_offset_x
      - .offset:         96
        .size:           8
        .value_kind:     hidden_global_offset_y
      - .offset:         104
        .size:           8
        .value_kind:     hidden_global_offset_z
      - .offset:         112
        .size:           2
        .value_kind:     hidden_grid_dims
    .group_segment_fixed_size: 0
    .kernarg_segment_align: 8
    .kernarg_segment_size: 304
    .language:       OpenCL C
    .language_version:
      - 2
      - 0
    .max_flat_workgroup_size: 1024
    .name:           _ZN5aiter30swiglu_act_and_mul_bias_kernelIDF16_DF16_lfLi2EEEvPT0_PKT_PKT1_PKT2_il
    .private_segment_fixed_size: 0
    .sgpr_count:     38
    .sgpr_spill_count: 0
    .symbol:         _ZN5aiter30swiglu_act_and_mul_bias_kernelIDF16_DF16_lfLi2EEEvPT0_PKT_PKT1_PKT2_il.kd
    .uniform_work_group_size: 1
    .uses_dynamic_stack: false
    .vgpr_count:     20
    .vgpr_spill_count: 0
    .wavefront_size: 64
  - .agpr_count:     0
    .args:
      - .actual_access:  write_only
        .address_space:  global
        .offset:         0
        .size:           8
        .value_kind:     global_buffer
      - .actual_access:  read_only
        .address_space:  global
        .offset:         8
        .size:           8
        .value_kind:     global_buffer
      - .actual_access:  read_only
        .address_space:  global
        .offset:         16
        .size:           8
        .value_kind:     global_buffer
      - .actual_access:  read_only
        .address_space:  global
        .offset:         24
        .size:           8
        .value_kind:     global_buffer
      - .offset:         32
        .size:           4
        .value_kind:     by_value
      - .offset:         40
        .size:           8
        .value_kind:     by_value
      - .offset:         48
        .size:           4
        .value_kind:     hidden_block_count_x
      - .offset:         52
        .size:           4
        .value_kind:     hidden_block_count_y
      - .offset:         56
        .size:           4
        .value_kind:     hidden_block_count_z
      - .offset:         60
        .size:           2
        .value_kind:     hidden_group_size_x
      - .offset:         62
        .size:           2
        .value_kind:     hidden_group_size_y
      - .offset:         64
        .size:           2
        .value_kind:     hidden_group_size_z
      - .offset:         66
        .size:           2
        .value_kind:     hidden_remainder_x
      - .offset:         68
        .size:           2
        .value_kind:     hidden_remainder_y
      - .offset:         70
        .size:           2
        .value_kind:     hidden_remainder_z
      - .offset:         88
        .size:           8
        .value_kind:     hidden_global_offset_x
      - .offset:         96
        .size:           8
        .value_kind:     hidden_global_offset_y
      - .offset:         104
        .size:           8
        .value_kind:     hidden_global_offset_z
      - .offset:         112
        .size:           2
        .value_kind:     hidden_grid_dims
    .group_segment_fixed_size: 0
    .kernarg_segment_align: 8
    .kernarg_segment_size: 304
    .language:       OpenCL C
    .language_version:
      - 2
      - 0
    .max_flat_workgroup_size: 1024
    .name:           _ZN5aiter30swiglu_act_and_mul_bias_kernelIDF16_DF16_lfLi1EEEvPT0_PKT_PKT1_PKT2_il
    .private_segment_fixed_size: 0
    .sgpr_count:     37
    .sgpr_spill_count: 0
    .symbol:         _ZN5aiter30swiglu_act_and_mul_bias_kernelIDF16_DF16_lfLi1EEEvPT0_PKT_PKT1_PKT2_il.kd
    .uniform_work_group_size: 1
    .uses_dynamic_stack: false
    .vgpr_count:     12
    .vgpr_spill_count: 0
    .wavefront_size: 64
  - .agpr_count:     0
    .args:
      - .actual_access:  write_only
        .address_space:  global
        .offset:         0
        .size:           8
        .value_kind:     global_buffer
      - .actual_access:  read_only
        .address_space:  global
        .offset:         8
        .size:           8
        .value_kind:     global_buffer
      - .actual_access:  read_only
        .address_space:  global
        .offset:         16
        .size:           8
        .value_kind:     global_buffer
      - .actual_access:  read_only
        .address_space:  global
        .offset:         24
        .size:           8
        .value_kind:     global_buffer
      - .offset:         32
        .size:           4
        .value_kind:     by_value
      - .offset:         40
        .size:           8
        .value_kind:     by_value
      - .offset:         48
        .size:           4
        .value_kind:     hidden_block_count_x
      - .offset:         52
        .size:           4
        .value_kind:     hidden_block_count_y
      - .offset:         56
        .size:           4
        .value_kind:     hidden_block_count_z
      - .offset:         60
        .size:           2
        .value_kind:     hidden_group_size_x
      - .offset:         62
        .size:           2
        .value_kind:     hidden_group_size_y
      - .offset:         64
        .size:           2
        .value_kind:     hidden_group_size_z
      - .offset:         66
        .size:           2
        .value_kind:     hidden_remainder_x
      - .offset:         68
        .size:           2
        .value_kind:     hidden_remainder_y
      - .offset:         70
        .size:           2
        .value_kind:     hidden_remainder_z
      - .offset:         88
        .size:           8
        .value_kind:     hidden_global_offset_x
      - .offset:         96
        .size:           8
        .value_kind:     hidden_global_offset_y
      - .offset:         104
        .size:           8
        .value_kind:     hidden_global_offset_z
      - .offset:         112
        .size:           2
        .value_kind:     hidden_grid_dims
    .group_segment_fixed_size: 0
    .kernarg_segment_align: 8
    .kernarg_segment_size: 304
    .language:       OpenCL C
    .language_version:
      - 2
      - 0
    .max_flat_workgroup_size: 1024
    .name:           _ZN5aiter30swiglu_act_and_mul_bias_kernelIttlfLi32EEEvPT0_PKT_PKT1_PKT2_il
    .private_segment_fixed_size: 0
    .sgpr_count:     49
    .sgpr_spill_count: 0
    .symbol:         _ZN5aiter30swiglu_act_and_mul_bias_kernelIttlfLi32EEEvPT0_PKT_PKT1_PKT2_il.kd
    .uniform_work_group_size: 1
    .uses_dynamic_stack: false
    .vgpr_count:     60
    .vgpr_spill_count: 0
    .wavefront_size: 64
  - .agpr_count:     0
    .args:
      - .actual_access:  write_only
        .address_space:  global
        .offset:         0
        .size:           8
        .value_kind:     global_buffer
      - .actual_access:  read_only
        .address_space:  global
        .offset:         8
        .size:           8
        .value_kind:     global_buffer
      - .actual_access:  read_only
        .address_space:  global
        .offset:         16
        .size:           8
        .value_kind:     global_buffer
      - .actual_access:  read_only
        .address_space:  global
        .offset:         24
        .size:           8
        .value_kind:     global_buffer
      - .offset:         32
        .size:           4
        .value_kind:     by_value
      - .offset:         40
        .size:           8
        .value_kind:     by_value
      - .offset:         48
        .size:           4
        .value_kind:     hidden_block_count_x
      - .offset:         52
        .size:           4
        .value_kind:     hidden_block_count_y
      - .offset:         56
        .size:           4
        .value_kind:     hidden_block_count_z
      - .offset:         60
        .size:           2
        .value_kind:     hidden_group_size_x
      - .offset:         62
        .size:           2
        .value_kind:     hidden_group_size_y
      - .offset:         64
        .size:           2
        .value_kind:     hidden_group_size_z
      - .offset:         66
        .size:           2
        .value_kind:     hidden_remainder_x
      - .offset:         68
        .size:           2
        .value_kind:     hidden_remainder_y
      - .offset:         70
        .size:           2
        .value_kind:     hidden_remainder_z
      - .offset:         88
        .size:           8
        .value_kind:     hidden_global_offset_x
      - .offset:         96
        .size:           8
        .value_kind:     hidden_global_offset_y
      - .offset:         104
        .size:           8
        .value_kind:     hidden_global_offset_z
      - .offset:         112
        .size:           2
        .value_kind:     hidden_grid_dims
    .group_segment_fixed_size: 0
    .kernarg_segment_align: 8
    .kernarg_segment_size: 304
    .language:       OpenCL C
    .language_version:
      - 2
      - 0
    .max_flat_workgroup_size: 1024
    .name:           _ZN5aiter30swiglu_act_and_mul_bias_kernelIttlfLi16EEEvPT0_PKT_PKT1_PKT2_il
    .private_segment_fixed_size: 0
    .sgpr_count:     40
    .sgpr_spill_count: 0
    .symbol:         _ZN5aiter30swiglu_act_and_mul_bias_kernelIttlfLi16EEEvPT0_PKT_PKT1_PKT2_il.kd
    .uniform_work_group_size: 1
    .uses_dynamic_stack: false
    .vgpr_count:     60
    .vgpr_spill_count: 0
    .wavefront_size: 64
  - .agpr_count:     0
    .args:
      - .actual_access:  write_only
        .address_space:  global
        .offset:         0
        .size:           8
        .value_kind:     global_buffer
      - .actual_access:  read_only
        .address_space:  global
        .offset:         8
        .size:           8
        .value_kind:     global_buffer
      - .actual_access:  read_only
        .address_space:  global
        .offset:         16
        .size:           8
        .value_kind:     global_buffer
      - .actual_access:  read_only
        .address_space:  global
        .offset:         24
        .size:           8
        .value_kind:     global_buffer
      - .offset:         32
        .size:           4
        .value_kind:     by_value
      - .offset:         40
        .size:           8
        .value_kind:     by_value
      - .offset:         48
        .size:           4
        .value_kind:     hidden_block_count_x
      - .offset:         52
        .size:           4
        .value_kind:     hidden_block_count_y
      - .offset:         56
        .size:           4
        .value_kind:     hidden_block_count_z
      - .offset:         60
        .size:           2
        .value_kind:     hidden_group_size_x
      - .offset:         62
        .size:           2
        .value_kind:     hidden_group_size_y
      - .offset:         64
        .size:           2
        .value_kind:     hidden_group_size_z
      - .offset:         66
        .size:           2
        .value_kind:     hidden_remainder_x
      - .offset:         68
        .size:           2
        .value_kind:     hidden_remainder_y
      - .offset:         70
        .size:           2
        .value_kind:     hidden_remainder_z
      - .offset:         88
        .size:           8
        .value_kind:     hidden_global_offset_x
      - .offset:         96
        .size:           8
        .value_kind:     hidden_global_offset_y
      - .offset:         104
        .size:           8
        .value_kind:     hidden_global_offset_z
      - .offset:         112
        .size:           2
        .value_kind:     hidden_grid_dims
    .group_segment_fixed_size: 0
    .kernarg_segment_align: 8
    .kernarg_segment_size: 304
    .language:       OpenCL C
    .language_version:
      - 2
      - 0
    .max_flat_workgroup_size: 1024
    .name:           _ZN5aiter30swiglu_act_and_mul_bias_kernelIttlfLi8EEEvPT0_PKT_PKT1_PKT2_il
    .private_segment_fixed_size: 0
    .sgpr_count:     40
    .sgpr_spill_count: 0
    .symbol:         _ZN5aiter30swiglu_act_and_mul_bias_kernelIttlfLi8EEEvPT0_PKT_PKT1_PKT2_il.kd
    .uniform_work_group_size: 1
    .uses_dynamic_stack: false
    .vgpr_count:     47
    .vgpr_spill_count: 0
    .wavefront_size: 64
  - .agpr_count:     0
    .args:
      - .actual_access:  write_only
        .address_space:  global
        .offset:         0
        .size:           8
        .value_kind:     global_buffer
      - .actual_access:  read_only
        .address_space:  global
        .offset:         8
        .size:           8
        .value_kind:     global_buffer
      - .actual_access:  read_only
        .address_space:  global
        .offset:         16
        .size:           8
        .value_kind:     global_buffer
      - .actual_access:  read_only
        .address_space:  global
        .offset:         24
        .size:           8
        .value_kind:     global_buffer
      - .offset:         32
        .size:           4
        .value_kind:     by_value
      - .offset:         40
        .size:           8
        .value_kind:     by_value
      - .offset:         48
        .size:           4
        .value_kind:     hidden_block_count_x
      - .offset:         52
        .size:           4
        .value_kind:     hidden_block_count_y
      - .offset:         56
        .size:           4
        .value_kind:     hidden_block_count_z
      - .offset:         60
        .size:           2
        .value_kind:     hidden_group_size_x
      - .offset:         62
        .size:           2
        .value_kind:     hidden_group_size_y
      - .offset:         64
        .size:           2
        .value_kind:     hidden_group_size_z
      - .offset:         66
        .size:           2
        .value_kind:     hidden_remainder_x
      - .offset:         68
        .size:           2
        .value_kind:     hidden_remainder_y
      - .offset:         70
        .size:           2
        .value_kind:     hidden_remainder_z
      - .offset:         88
        .size:           8
        .value_kind:     hidden_global_offset_x
      - .offset:         96
        .size:           8
        .value_kind:     hidden_global_offset_y
      - .offset:         104
        .size:           8
        .value_kind:     hidden_global_offset_z
      - .offset:         112
        .size:           2
        .value_kind:     hidden_grid_dims
    .group_segment_fixed_size: 0
    .kernarg_segment_align: 8
    .kernarg_segment_size: 304
    .language:       OpenCL C
    .language_version:
      - 2
      - 0
    .max_flat_workgroup_size: 1024
    .name:           _ZN5aiter30swiglu_act_and_mul_bias_kernelIttlfLi4EEEvPT0_PKT_PKT1_PKT2_il
    .private_segment_fixed_size: 0
    .sgpr_count:     40
    .sgpr_spill_count: 0
    .symbol:         _ZN5aiter30swiglu_act_and_mul_bias_kernelIttlfLi4EEEvPT0_PKT_PKT1_PKT2_il.kd
    .uniform_work_group_size: 1
    .uses_dynamic_stack: false
    .vgpr_count:     30
    .vgpr_spill_count: 0
    .wavefront_size: 64
  - .agpr_count:     0
    .args:
      - .actual_access:  write_only
        .address_space:  global
        .offset:         0
        .size:           8
        .value_kind:     global_buffer
      - .actual_access:  read_only
        .address_space:  global
        .offset:         8
        .size:           8
        .value_kind:     global_buffer
      - .actual_access:  read_only
        .address_space:  global
        .offset:         16
        .size:           8
        .value_kind:     global_buffer
      - .actual_access:  read_only
        .address_space:  global
        .offset:         24
        .size:           8
        .value_kind:     global_buffer
      - .offset:         32
        .size:           4
        .value_kind:     by_value
      - .offset:         40
        .size:           8
        .value_kind:     by_value
      - .offset:         48
        .size:           4
        .value_kind:     hidden_block_count_x
      - .offset:         52
        .size:           4
        .value_kind:     hidden_block_count_y
      - .offset:         56
        .size:           4
        .value_kind:     hidden_block_count_z
      - .offset:         60
        .size:           2
        .value_kind:     hidden_group_size_x
      - .offset:         62
        .size:           2
        .value_kind:     hidden_group_size_y
      - .offset:         64
        .size:           2
        .value_kind:     hidden_group_size_z
      - .offset:         66
        .size:           2
        .value_kind:     hidden_remainder_x
      - .offset:         68
        .size:           2
        .value_kind:     hidden_remainder_y
      - .offset:         70
        .size:           2
        .value_kind:     hidden_remainder_z
      - .offset:         88
        .size:           8
        .value_kind:     hidden_global_offset_x
      - .offset:         96
        .size:           8
        .value_kind:     hidden_global_offset_y
      - .offset:         104
        .size:           8
        .value_kind:     hidden_global_offset_z
      - .offset:         112
        .size:           2
        .value_kind:     hidden_grid_dims
    .group_segment_fixed_size: 0
    .kernarg_segment_align: 8
    .kernarg_segment_size: 304
    .language:       OpenCL C
    .language_version:
      - 2
      - 0
    .max_flat_workgroup_size: 1024
    .name:           _ZN5aiter30swiglu_act_and_mul_bias_kernelIttlfLi2EEEvPT0_PKT_PKT1_PKT2_il
    .private_segment_fixed_size: 0
    .sgpr_count:     40
    .sgpr_spill_count: 0
    .symbol:         _ZN5aiter30swiglu_act_and_mul_bias_kernelIttlfLi2EEEvPT0_PKT_PKT1_PKT2_il.kd
    .uniform_work_group_size: 1
    .uses_dynamic_stack: false
    .vgpr_count:     20
    .vgpr_spill_count: 0
    .wavefront_size: 64
  - .agpr_count:     0
    .args:
      - .actual_access:  write_only
        .address_space:  global
        .offset:         0
        .size:           8
        .value_kind:     global_buffer
      - .actual_access:  read_only
        .address_space:  global
        .offset:         8
        .size:           8
        .value_kind:     global_buffer
      - .actual_access:  read_only
        .address_space:  global
        .offset:         16
        .size:           8
        .value_kind:     global_buffer
      - .actual_access:  read_only
        .address_space:  global
        .offset:         24
        .size:           8
        .value_kind:     global_buffer
      - .offset:         32
        .size:           4
        .value_kind:     by_value
      - .offset:         40
        .size:           8
        .value_kind:     by_value
      - .offset:         48
        .size:           4
        .value_kind:     hidden_block_count_x
      - .offset:         52
        .size:           4
        .value_kind:     hidden_block_count_y
      - .offset:         56
        .size:           4
        .value_kind:     hidden_block_count_z
      - .offset:         60
        .size:           2
        .value_kind:     hidden_group_size_x
      - .offset:         62
        .size:           2
        .value_kind:     hidden_group_size_y
      - .offset:         64
        .size:           2
        .value_kind:     hidden_group_size_z
      - .offset:         66
        .size:           2
        .value_kind:     hidden_remainder_x
      - .offset:         68
        .size:           2
        .value_kind:     hidden_remainder_y
      - .offset:         70
        .size:           2
        .value_kind:     hidden_remainder_z
      - .offset:         88
        .size:           8
        .value_kind:     hidden_global_offset_x
      - .offset:         96
        .size:           8
        .value_kind:     hidden_global_offset_y
      - .offset:         104
        .size:           8
        .value_kind:     hidden_global_offset_z
      - .offset:         112
        .size:           2
        .value_kind:     hidden_grid_dims
    .group_segment_fixed_size: 0
    .kernarg_segment_align: 8
    .kernarg_segment_size: 304
    .language:       OpenCL C
    .language_version:
      - 2
      - 0
    .max_flat_workgroup_size: 1024
    .name:           _ZN5aiter30swiglu_act_and_mul_bias_kernelIttlfLi1EEEvPT0_PKT_PKT1_PKT2_il
    .private_segment_fixed_size: 0
    .sgpr_count:     37
    .sgpr_spill_count: 0
    .symbol:         _ZN5aiter30swiglu_act_and_mul_bias_kernelIttlfLi1EEEvPT0_PKT_PKT1_PKT2_il.kd
    .uniform_work_group_size: 1
    .uses_dynamic_stack: false
    .vgpr_count:     12
    .vgpr_spill_count: 0
    .wavefront_size: 64
  - .agpr_count:     0
    .args:
      - .actual_access:  write_only
        .address_space:  global
        .offset:         0
        .size:           8
        .value_kind:     global_buffer
      - .actual_access:  read_only
        .address_space:  global
        .offset:         8
        .size:           8
        .value_kind:     global_buffer
      - .actual_access:  read_only
        .address_space:  global
        .offset:         16
        .size:           8
        .value_kind:     global_buffer
      - .actual_access:  read_only
        .address_space:  global
        .offset:         24
        .size:           8
        .value_kind:     global_buffer
      - .offset:         32
        .size:           4
        .value_kind:     by_value
      - .offset:         40
        .size:           8
        .value_kind:     by_value
      - .offset:         48
        .size:           4
        .value_kind:     hidden_block_count_x
      - .offset:         52
        .size:           4
        .value_kind:     hidden_block_count_y
      - .offset:         56
        .size:           4
        .value_kind:     hidden_block_count_z
      - .offset:         60
        .size:           2
        .value_kind:     hidden_group_size_x
      - .offset:         62
        .size:           2
        .value_kind:     hidden_group_size_y
      - .offset:         64
        .size:           2
        .value_kind:     hidden_group_size_z
      - .offset:         66
        .size:           2
        .value_kind:     hidden_remainder_x
      - .offset:         68
        .size:           2
        .value_kind:     hidden_remainder_y
      - .offset:         70
        .size:           2
        .value_kind:     hidden_remainder_z
      - .offset:         88
        .size:           8
        .value_kind:     hidden_global_offset_x
      - .offset:         96
        .size:           8
        .value_kind:     hidden_global_offset_y
      - .offset:         104
        .size:           8
        .value_kind:     hidden_global_offset_z
      - .offset:         112
        .size:           2
        .value_kind:     hidden_grid_dims
    .group_segment_fixed_size: 0
    .kernarg_segment_align: 8
    .kernarg_segment_size: 304
    .language:       OpenCL C
    .language_version:
      - 2
      - 0
    .max_flat_workgroup_size: 1024
    .name:           _ZN5aiter23act_and_mul_bias_kernelIfthfTnPFfRKT2_EXadL_ZNS_11gelu_kernelIfEEfRKT_EELi16EEEvPT0_PS8_PKT1_PS2_il
    .private_segment_fixed_size: 0
    .sgpr_count:     48
    .sgpr_spill_count: 0
    .symbol:         _ZN5aiter23act_and_mul_bias_kernelIfthfTnPFfRKT2_EXadL_ZNS_11gelu_kernelIfEEfRKT_EELi16EEEvPT0_PS8_PKT1_PS2_il.kd
    .uniform_work_group_size: 1
    .uses_dynamic_stack: false
    .vgpr_count:     74
    .vgpr_spill_count: 0
    .wavefront_size: 64
  - .agpr_count:     0
    .args:
      - .actual_access:  write_only
        .address_space:  global
        .offset:         0
        .size:           8
        .value_kind:     global_buffer
      - .actual_access:  read_only
        .address_space:  global
        .offset:         8
        .size:           8
        .value_kind:     global_buffer
      - .actual_access:  read_only
        .address_space:  global
        .offset:         16
        .size:           8
        .value_kind:     global_buffer
      - .actual_access:  read_only
        .address_space:  global
        .offset:         24
        .size:           8
        .value_kind:     global_buffer
      - .offset:         32
        .size:           4
        .value_kind:     by_value
      - .offset:         40
        .size:           8
        .value_kind:     by_value
      - .offset:         48
        .size:           4
        .value_kind:     hidden_block_count_x
      - .offset:         52
        .size:           4
        .value_kind:     hidden_block_count_y
      - .offset:         56
        .size:           4
        .value_kind:     hidden_block_count_z
      - .offset:         60
        .size:           2
        .value_kind:     hidden_group_size_x
      - .offset:         62
        .size:           2
        .value_kind:     hidden_group_size_y
      - .offset:         64
        .size:           2
        .value_kind:     hidden_group_size_z
      - .offset:         66
        .size:           2
        .value_kind:     hidden_remainder_x
      - .offset:         68
        .size:           2
        .value_kind:     hidden_remainder_y
      - .offset:         70
        .size:           2
        .value_kind:     hidden_remainder_z
      - .offset:         88
        .size:           8
        .value_kind:     hidden_global_offset_x
      - .offset:         96
        .size:           8
        .value_kind:     hidden_global_offset_y
      - .offset:         104
        .size:           8
        .value_kind:     hidden_global_offset_z
      - .offset:         112
        .size:           2
        .value_kind:     hidden_grid_dims
    .group_segment_fixed_size: 0
    .kernarg_segment_align: 8
    .kernarg_segment_size: 304
    .language:       OpenCL C
    .language_version:
      - 2
      - 0
    .max_flat_workgroup_size: 1024
    .name:           _ZN5aiter23act_and_mul_bias_kernelIfthfTnPFfRKT2_EXadL_ZNS_11gelu_kernelIfEEfRKT_EELi8EEEvPT0_PS8_PKT1_PS2_il
    .private_segment_fixed_size: 0
    .sgpr_count:     48
    .sgpr_spill_count: 0
    .symbol:         _ZN5aiter23act_and_mul_bias_kernelIfthfTnPFfRKT2_EXadL_ZNS_11gelu_kernelIfEEfRKT_EELi8EEEvPT0_PS8_PKT1_PS2_il.kd
    .uniform_work_group_size: 1
    .uses_dynamic_stack: false
    .vgpr_count:     42
    .vgpr_spill_count: 0
    .wavefront_size: 64
  - .agpr_count:     0
    .args:
      - .actual_access:  write_only
        .address_space:  global
        .offset:         0
        .size:           8
        .value_kind:     global_buffer
      - .actual_access:  read_only
        .address_space:  global
        .offset:         8
        .size:           8
        .value_kind:     global_buffer
      - .actual_access:  read_only
        .address_space:  global
        .offset:         16
        .size:           8
        .value_kind:     global_buffer
      - .actual_access:  read_only
        .address_space:  global
        .offset:         24
        .size:           8
        .value_kind:     global_buffer
      - .offset:         32
        .size:           4
        .value_kind:     by_value
      - .offset:         40
        .size:           8
        .value_kind:     by_value
      - .offset:         48
        .size:           4
        .value_kind:     hidden_block_count_x
      - .offset:         52
        .size:           4
        .value_kind:     hidden_block_count_y
      - .offset:         56
        .size:           4
        .value_kind:     hidden_block_count_z
      - .offset:         60
        .size:           2
        .value_kind:     hidden_group_size_x
      - .offset:         62
        .size:           2
        .value_kind:     hidden_group_size_y
      - .offset:         64
        .size:           2
        .value_kind:     hidden_group_size_z
      - .offset:         66
        .size:           2
        .value_kind:     hidden_remainder_x
      - .offset:         68
        .size:           2
        .value_kind:     hidden_remainder_y
      - .offset:         70
        .size:           2
        .value_kind:     hidden_remainder_z
      - .offset:         88
        .size:           8
        .value_kind:     hidden_global_offset_x
      - .offset:         96
        .size:           8
        .value_kind:     hidden_global_offset_y
      - .offset:         104
        .size:           8
        .value_kind:     hidden_global_offset_z
      - .offset:         112
        .size:           2
        .value_kind:     hidden_grid_dims
    .group_segment_fixed_size: 0
    .kernarg_segment_align: 8
    .kernarg_segment_size: 304
    .language:       OpenCL C
    .language_version:
      - 2
      - 0
    .max_flat_workgroup_size: 1024
    .name:           _ZN5aiter23act_and_mul_bias_kernelIfthfTnPFfRKT2_EXadL_ZNS_11gelu_kernelIfEEfRKT_EELi4EEEvPT0_PS8_PKT1_PS2_il
    .private_segment_fixed_size: 0
    .sgpr_count:     46
    .sgpr_spill_count: 0
    .symbol:         _ZN5aiter23act_and_mul_bias_kernelIfthfTnPFfRKT2_EXadL_ZNS_11gelu_kernelIfEEfRKT_EELi4EEEvPT0_PS8_PKT1_PS2_il.kd
    .uniform_work_group_size: 1
    .uses_dynamic_stack: false
    .vgpr_count:     26
    .vgpr_spill_count: 0
    .wavefront_size: 64
  - .agpr_count:     0
    .args:
      - .actual_access:  write_only
        .address_space:  global
        .offset:         0
        .size:           8
        .value_kind:     global_buffer
      - .actual_access:  read_only
        .address_space:  global
        .offset:         8
        .size:           8
        .value_kind:     global_buffer
      - .actual_access:  read_only
        .address_space:  global
        .offset:         16
        .size:           8
        .value_kind:     global_buffer
      - .actual_access:  read_only
        .address_space:  global
        .offset:         24
        .size:           8
        .value_kind:     global_buffer
      - .offset:         32
        .size:           4
        .value_kind:     by_value
      - .offset:         40
        .size:           8
        .value_kind:     by_value
      - .offset:         48
        .size:           4
        .value_kind:     hidden_block_count_x
      - .offset:         52
        .size:           4
        .value_kind:     hidden_block_count_y
      - .offset:         56
        .size:           4
        .value_kind:     hidden_block_count_z
      - .offset:         60
        .size:           2
        .value_kind:     hidden_group_size_x
      - .offset:         62
        .size:           2
        .value_kind:     hidden_group_size_y
      - .offset:         64
        .size:           2
        .value_kind:     hidden_group_size_z
      - .offset:         66
        .size:           2
        .value_kind:     hidden_remainder_x
      - .offset:         68
        .size:           2
        .value_kind:     hidden_remainder_y
      - .offset:         70
        .size:           2
        .value_kind:     hidden_remainder_z
      - .offset:         88
        .size:           8
        .value_kind:     hidden_global_offset_x
      - .offset:         96
        .size:           8
        .value_kind:     hidden_global_offset_y
      - .offset:         104
        .size:           8
        .value_kind:     hidden_global_offset_z
      - .offset:         112
        .size:           2
        .value_kind:     hidden_grid_dims
    .group_segment_fixed_size: 0
    .kernarg_segment_align: 8
    .kernarg_segment_size: 304
    .language:       OpenCL C
    .language_version:
      - 2
      - 0
    .max_flat_workgroup_size: 1024
    .name:           _ZN5aiter23act_and_mul_bias_kernelIfthfTnPFfRKT2_EXadL_ZNS_11gelu_kernelIfEEfRKT_EELi2EEEvPT0_PS8_PKT1_PS2_il
    .private_segment_fixed_size: 0
    .sgpr_count:     47
    .sgpr_spill_count: 0
    .symbol:         _ZN5aiter23act_and_mul_bias_kernelIfthfTnPFfRKT2_EXadL_ZNS_11gelu_kernelIfEEfRKT_EELi2EEEvPT0_PS8_PKT1_PS2_il.kd
    .uniform_work_group_size: 1
    .uses_dynamic_stack: false
    .vgpr_count:     19
    .vgpr_spill_count: 0
    .wavefront_size: 64
  - .agpr_count:     0
    .args:
      - .actual_access:  write_only
        .address_space:  global
        .offset:         0
        .size:           8
        .value_kind:     global_buffer
      - .actual_access:  read_only
        .address_space:  global
        .offset:         8
        .size:           8
        .value_kind:     global_buffer
      - .actual_access:  read_only
        .address_space:  global
        .offset:         16
        .size:           8
        .value_kind:     global_buffer
      - .actual_access:  read_only
        .address_space:  global
        .offset:         24
        .size:           8
        .value_kind:     global_buffer
      - .offset:         32
        .size:           4
        .value_kind:     by_value
      - .offset:         40
        .size:           8
        .value_kind:     by_value
      - .offset:         48
        .size:           4
        .value_kind:     hidden_block_count_x
      - .offset:         52
        .size:           4
        .value_kind:     hidden_block_count_y
      - .offset:         56
        .size:           4
        .value_kind:     hidden_block_count_z
      - .offset:         60
        .size:           2
        .value_kind:     hidden_group_size_x
      - .offset:         62
        .size:           2
        .value_kind:     hidden_group_size_y
      - .offset:         64
        .size:           2
        .value_kind:     hidden_group_size_z
      - .offset:         66
        .size:           2
        .value_kind:     hidden_remainder_x
      - .offset:         68
        .size:           2
        .value_kind:     hidden_remainder_y
      - .offset:         70
        .size:           2
        .value_kind:     hidden_remainder_z
      - .offset:         88
        .size:           8
        .value_kind:     hidden_global_offset_x
      - .offset:         96
        .size:           8
        .value_kind:     hidden_global_offset_y
      - .offset:         104
        .size:           8
        .value_kind:     hidden_global_offset_z
      - .offset:         112
        .size:           2
        .value_kind:     hidden_grid_dims
    .group_segment_fixed_size: 0
    .kernarg_segment_align: 8
    .kernarg_segment_size: 304
    .language:       OpenCL C
    .language_version:
      - 2
      - 0
    .max_flat_workgroup_size: 1024
    .name:           _ZN5aiter23act_and_mul_bias_kernelIfthfTnPFfRKT2_EXadL_ZNS_11gelu_kernelIfEEfRKT_EELi1EEEvPT0_PS8_PKT1_PS2_il
    .private_segment_fixed_size: 0
    .sgpr_count:     48
    .sgpr_spill_count: 0
    .symbol:         _ZN5aiter23act_and_mul_bias_kernelIfthfTnPFfRKT2_EXadL_ZNS_11gelu_kernelIfEEfRKT_EELi1EEEvPT0_PS8_PKT1_PS2_il.kd
    .uniform_work_group_size: 1
    .uses_dynamic_stack: false
    .vgpr_count:     15
    .vgpr_spill_count: 0
    .wavefront_size: 64
  - .agpr_count:     0
    .args:
      - .actual_access:  write_only
        .address_space:  global
        .offset:         0
        .size:           8
        .value_kind:     global_buffer
      - .actual_access:  read_only
        .address_space:  global
        .offset:         8
        .size:           8
        .value_kind:     global_buffer
      - .actual_access:  read_only
        .address_space:  global
        .offset:         16
        .size:           8
        .value_kind:     global_buffer
      - .actual_access:  read_only
        .address_space:  global
        .offset:         24
        .size:           8
        .value_kind:     global_buffer
      - .offset:         32
        .size:           4
        .value_kind:     by_value
      - .offset:         40
        .size:           8
        .value_kind:     by_value
      - .offset:         48
        .size:           4
        .value_kind:     hidden_block_count_x
      - .offset:         52
        .size:           4
        .value_kind:     hidden_block_count_y
      - .offset:         56
        .size:           4
        .value_kind:     hidden_block_count_z
      - .offset:         60
        .size:           2
        .value_kind:     hidden_group_size_x
      - .offset:         62
        .size:           2
        .value_kind:     hidden_group_size_y
      - .offset:         64
        .size:           2
        .value_kind:     hidden_group_size_z
      - .offset:         66
        .size:           2
        .value_kind:     hidden_remainder_x
      - .offset:         68
        .size:           2
        .value_kind:     hidden_remainder_y
      - .offset:         70
        .size:           2
        .value_kind:     hidden_remainder_z
      - .offset:         88
        .size:           8
        .value_kind:     hidden_global_offset_x
      - .offset:         96
        .size:           8
        .value_kind:     hidden_global_offset_y
      - .offset:         104
        .size:           8
        .value_kind:     hidden_global_offset_z
      - .offset:         112
        .size:           2
        .value_kind:     hidden_grid_dims
    .group_segment_fixed_size: 0
    .kernarg_segment_align: 8
    .kernarg_segment_size: 304
    .language:       OpenCL C
    .language_version:
      - 2
      - 0
    .max_flat_workgroup_size: 1024
    .name:           _ZN5aiter23act_and_mul_bias_kernelIfDF16_hfTnPFfRKT2_EXadL_ZNS_11gelu_kernelIfEEfRKT_EELi16EEEvPT0_PS8_PKT1_PS2_il
    .private_segment_fixed_size: 0
    .sgpr_count:     48
    .sgpr_spill_count: 0
    .symbol:         _ZN5aiter23act_and_mul_bias_kernelIfDF16_hfTnPFfRKT2_EXadL_ZNS_11gelu_kernelIfEEfRKT_EELi16EEEvPT0_PS8_PKT1_PS2_il.kd
    .uniform_work_group_size: 1
    .uses_dynamic_stack: false
    .vgpr_count:     74
    .vgpr_spill_count: 0
    .wavefront_size: 64
  - .agpr_count:     0
    .args:
      - .actual_access:  write_only
        .address_space:  global
        .offset:         0
        .size:           8
        .value_kind:     global_buffer
      - .actual_access:  read_only
        .address_space:  global
        .offset:         8
        .size:           8
        .value_kind:     global_buffer
      - .actual_access:  read_only
        .address_space:  global
        .offset:         16
        .size:           8
        .value_kind:     global_buffer
      - .actual_access:  read_only
        .address_space:  global
        .offset:         24
        .size:           8
        .value_kind:     global_buffer
      - .offset:         32
        .size:           4
        .value_kind:     by_value
      - .offset:         40
        .size:           8
        .value_kind:     by_value
      - .offset:         48
        .size:           4
        .value_kind:     hidden_block_count_x
      - .offset:         52
        .size:           4
        .value_kind:     hidden_block_count_y
      - .offset:         56
        .size:           4
        .value_kind:     hidden_block_count_z
      - .offset:         60
        .size:           2
        .value_kind:     hidden_group_size_x
      - .offset:         62
        .size:           2
        .value_kind:     hidden_group_size_y
      - .offset:         64
        .size:           2
        .value_kind:     hidden_group_size_z
      - .offset:         66
        .size:           2
        .value_kind:     hidden_remainder_x
      - .offset:         68
        .size:           2
        .value_kind:     hidden_remainder_y
      - .offset:         70
        .size:           2
        .value_kind:     hidden_remainder_z
      - .offset:         88
        .size:           8
        .value_kind:     hidden_global_offset_x
      - .offset:         96
        .size:           8
        .value_kind:     hidden_global_offset_y
      - .offset:         104
        .size:           8
        .value_kind:     hidden_global_offset_z
      - .offset:         112
        .size:           2
        .value_kind:     hidden_grid_dims
    .group_segment_fixed_size: 0
    .kernarg_segment_align: 8
    .kernarg_segment_size: 304
    .language:       OpenCL C
    .language_version:
      - 2
      - 0
    .max_flat_workgroup_size: 1024
    .name:           _ZN5aiter23act_and_mul_bias_kernelIfDF16_hfTnPFfRKT2_EXadL_ZNS_11gelu_kernelIfEEfRKT_EELi8EEEvPT0_PS8_PKT1_PS2_il
    .private_segment_fixed_size: 0
    .sgpr_count:     48
    .sgpr_spill_count: 0
    .symbol:         _ZN5aiter23act_and_mul_bias_kernelIfDF16_hfTnPFfRKT2_EXadL_ZNS_11gelu_kernelIfEEfRKT_EELi8EEEvPT0_PS8_PKT1_PS2_il.kd
    .uniform_work_group_size: 1
    .uses_dynamic_stack: false
    .vgpr_count:     42
    .vgpr_spill_count: 0
    .wavefront_size: 64
  - .agpr_count:     0
    .args:
      - .actual_access:  write_only
        .address_space:  global
        .offset:         0
        .size:           8
        .value_kind:     global_buffer
      - .actual_access:  read_only
        .address_space:  global
        .offset:         8
        .size:           8
        .value_kind:     global_buffer
      - .actual_access:  read_only
        .address_space:  global
        .offset:         16
        .size:           8
        .value_kind:     global_buffer
      - .actual_access:  read_only
        .address_space:  global
        .offset:         24
        .size:           8
        .value_kind:     global_buffer
      - .offset:         32
        .size:           4
        .value_kind:     by_value
      - .offset:         40
        .size:           8
        .value_kind:     by_value
      - .offset:         48
        .size:           4
        .value_kind:     hidden_block_count_x
      - .offset:         52
        .size:           4
        .value_kind:     hidden_block_count_y
      - .offset:         56
        .size:           4
        .value_kind:     hidden_block_count_z
      - .offset:         60
        .size:           2
        .value_kind:     hidden_group_size_x
      - .offset:         62
        .size:           2
        .value_kind:     hidden_group_size_y
      - .offset:         64
        .size:           2
        .value_kind:     hidden_group_size_z
      - .offset:         66
        .size:           2
        .value_kind:     hidden_remainder_x
      - .offset:         68
        .size:           2
        .value_kind:     hidden_remainder_y
      - .offset:         70
        .size:           2
        .value_kind:     hidden_remainder_z
      - .offset:         88
        .size:           8
        .value_kind:     hidden_global_offset_x
      - .offset:         96
        .size:           8
        .value_kind:     hidden_global_offset_y
      - .offset:         104
        .size:           8
        .value_kind:     hidden_global_offset_z
      - .offset:         112
        .size:           2
        .value_kind:     hidden_grid_dims
    .group_segment_fixed_size: 0
    .kernarg_segment_align: 8
    .kernarg_segment_size: 304
    .language:       OpenCL C
    .language_version:
      - 2
      - 0
    .max_flat_workgroup_size: 1024
    .name:           _ZN5aiter23act_and_mul_bias_kernelIfDF16_hfTnPFfRKT2_EXadL_ZNS_11gelu_kernelIfEEfRKT_EELi4EEEvPT0_PS8_PKT1_PS2_il
    .private_segment_fixed_size: 0
    .sgpr_count:     48
    .sgpr_spill_count: 0
    .symbol:         _ZN5aiter23act_and_mul_bias_kernelIfDF16_hfTnPFfRKT2_EXadL_ZNS_11gelu_kernelIfEEfRKT_EELi4EEEvPT0_PS8_PKT1_PS2_il.kd
    .uniform_work_group_size: 1
    .uses_dynamic_stack: false
    .vgpr_count:     26
    .vgpr_spill_count: 0
    .wavefront_size: 64
  - .agpr_count:     0
    .args:
      - .actual_access:  write_only
        .address_space:  global
        .offset:         0
        .size:           8
        .value_kind:     global_buffer
      - .actual_access:  read_only
        .address_space:  global
        .offset:         8
        .size:           8
        .value_kind:     global_buffer
      - .actual_access:  read_only
        .address_space:  global
        .offset:         16
        .size:           8
        .value_kind:     global_buffer
      - .actual_access:  read_only
        .address_space:  global
        .offset:         24
        .size:           8
        .value_kind:     global_buffer
      - .offset:         32
        .size:           4
        .value_kind:     by_value
      - .offset:         40
        .size:           8
        .value_kind:     by_value
      - .offset:         48
        .size:           4
        .value_kind:     hidden_block_count_x
      - .offset:         52
        .size:           4
        .value_kind:     hidden_block_count_y
      - .offset:         56
        .size:           4
        .value_kind:     hidden_block_count_z
      - .offset:         60
        .size:           2
        .value_kind:     hidden_group_size_x
      - .offset:         62
        .size:           2
        .value_kind:     hidden_group_size_y
      - .offset:         64
        .size:           2
        .value_kind:     hidden_group_size_z
      - .offset:         66
        .size:           2
        .value_kind:     hidden_remainder_x
      - .offset:         68
        .size:           2
        .value_kind:     hidden_remainder_y
      - .offset:         70
        .size:           2
        .value_kind:     hidden_remainder_z
      - .offset:         88
        .size:           8
        .value_kind:     hidden_global_offset_x
      - .offset:         96
        .size:           8
        .value_kind:     hidden_global_offset_y
      - .offset:         104
        .size:           8
        .value_kind:     hidden_global_offset_z
      - .offset:         112
        .size:           2
        .value_kind:     hidden_grid_dims
    .group_segment_fixed_size: 0
    .kernarg_segment_align: 8
    .kernarg_segment_size: 304
    .language:       OpenCL C
    .language_version:
      - 2
      - 0
    .max_flat_workgroup_size: 1024
    .name:           _ZN5aiter23act_and_mul_bias_kernelIfDF16_hfTnPFfRKT2_EXadL_ZNS_11gelu_kernelIfEEfRKT_EELi2EEEvPT0_PS8_PKT1_PS2_il
    .private_segment_fixed_size: 0
    .sgpr_count:     48
    .sgpr_spill_count: 0
    .symbol:         _ZN5aiter23act_and_mul_bias_kernelIfDF16_hfTnPFfRKT2_EXadL_ZNS_11gelu_kernelIfEEfRKT_EELi2EEEvPT0_PS8_PKT1_PS2_il.kd
    .uniform_work_group_size: 1
    .uses_dynamic_stack: false
    .vgpr_count:     19
    .vgpr_spill_count: 0
    .wavefront_size: 64
  - .agpr_count:     0
    .args:
      - .actual_access:  write_only
        .address_space:  global
        .offset:         0
        .size:           8
        .value_kind:     global_buffer
      - .actual_access:  read_only
        .address_space:  global
        .offset:         8
        .size:           8
        .value_kind:     global_buffer
      - .actual_access:  read_only
        .address_space:  global
        .offset:         16
        .size:           8
        .value_kind:     global_buffer
      - .actual_access:  read_only
        .address_space:  global
        .offset:         24
        .size:           8
        .value_kind:     global_buffer
      - .offset:         32
        .size:           4
        .value_kind:     by_value
      - .offset:         40
        .size:           8
        .value_kind:     by_value
      - .offset:         48
        .size:           4
        .value_kind:     hidden_block_count_x
      - .offset:         52
        .size:           4
        .value_kind:     hidden_block_count_y
      - .offset:         56
        .size:           4
        .value_kind:     hidden_block_count_z
      - .offset:         60
        .size:           2
        .value_kind:     hidden_group_size_x
      - .offset:         62
        .size:           2
        .value_kind:     hidden_group_size_y
      - .offset:         64
        .size:           2
        .value_kind:     hidden_group_size_z
      - .offset:         66
        .size:           2
        .value_kind:     hidden_remainder_x
      - .offset:         68
        .size:           2
        .value_kind:     hidden_remainder_y
      - .offset:         70
        .size:           2
        .value_kind:     hidden_remainder_z
      - .offset:         88
        .size:           8
        .value_kind:     hidden_global_offset_x
      - .offset:         96
        .size:           8
        .value_kind:     hidden_global_offset_y
      - .offset:         104
        .size:           8
        .value_kind:     hidden_global_offset_z
      - .offset:         112
        .size:           2
        .value_kind:     hidden_grid_dims
    .group_segment_fixed_size: 0
    .kernarg_segment_align: 8
    .kernarg_segment_size: 304
    .language:       OpenCL C
    .language_version:
      - 2
      - 0
    .max_flat_workgroup_size: 1024
    .name:           _ZN5aiter23act_and_mul_bias_kernelIfDF16_hfTnPFfRKT2_EXadL_ZNS_11gelu_kernelIfEEfRKT_EELi1EEEvPT0_PS8_PKT1_PS2_il
    .private_segment_fixed_size: 0
    .sgpr_count:     48
    .sgpr_spill_count: 0
    .symbol:         _ZN5aiter23act_and_mul_bias_kernelIfDF16_hfTnPFfRKT2_EXadL_ZNS_11gelu_kernelIfEEfRKT_EELi1EEEvPT0_PS8_PKT1_PS2_il.kd
    .uniform_work_group_size: 1
    .uses_dynamic_stack: false
    .vgpr_count:     15
    .vgpr_spill_count: 0
    .wavefront_size: 64
  - .agpr_count:     0
    .args:
      - .actual_access:  write_only
        .address_space:  global
        .offset:         0
        .size:           8
        .value_kind:     global_buffer
      - .actual_access:  read_only
        .address_space:  global
        .offset:         8
        .size:           8
        .value_kind:     global_buffer
      - .actual_access:  read_only
        .address_space:  global
        .offset:         16
        .size:           8
        .value_kind:     global_buffer
      - .actual_access:  read_only
        .address_space:  global
        .offset:         24
        .size:           8
        .value_kind:     global_buffer
      - .offset:         32
        .size:           4
        .value_kind:     by_value
      - .offset:         40
        .size:           8
        .value_kind:     by_value
      - .offset:         48
        .size:           4
        .value_kind:     hidden_block_count_x
      - .offset:         52
        .size:           4
        .value_kind:     hidden_block_count_y
      - .offset:         56
        .size:           4
        .value_kind:     hidden_block_count_z
      - .offset:         60
        .size:           2
        .value_kind:     hidden_group_size_x
      - .offset:         62
        .size:           2
        .value_kind:     hidden_group_size_y
      - .offset:         64
        .size:           2
        .value_kind:     hidden_group_size_z
      - .offset:         66
        .size:           2
        .value_kind:     hidden_remainder_x
      - .offset:         68
        .size:           2
        .value_kind:     hidden_remainder_y
      - .offset:         70
        .size:           2
        .value_kind:     hidden_remainder_z
      - .offset:         88
        .size:           8
        .value_kind:     hidden_global_offset_x
      - .offset:         96
        .size:           8
        .value_kind:     hidden_global_offset_y
      - .offset:         104
        .size:           8
        .value_kind:     hidden_global_offset_z
      - .offset:         112
        .size:           2
        .value_kind:     hidden_grid_dims
    .group_segment_fixed_size: 0
    .kernarg_segment_align: 8
    .kernarg_segment_size: 304
    .language:       OpenCL C
    .language_version:
      - 2
      - 0
    .max_flat_workgroup_size: 1024
    .name:           _ZN5aiter23act_and_mul_bias_kernelIffhfTnPFfRKT2_EXadL_ZNS_11gelu_kernelIfEEfRKT_EELi16EEEvPT0_PS8_PKT1_PS2_il
    .private_segment_fixed_size: 0
    .sgpr_count:     48
    .sgpr_spill_count: 0
    .symbol:         _ZN5aiter23act_and_mul_bias_kernelIffhfTnPFfRKT2_EXadL_ZNS_11gelu_kernelIfEEfRKT_EELi16EEEvPT0_PS8_PKT1_PS2_il.kd
    .uniform_work_group_size: 1
    .uses_dynamic_stack: false
    .vgpr_count:     75
    .vgpr_spill_count: 0
    .wavefront_size: 64
  - .agpr_count:     0
    .args:
      - .actual_access:  write_only
        .address_space:  global
        .offset:         0
        .size:           8
        .value_kind:     global_buffer
      - .actual_access:  read_only
        .address_space:  global
        .offset:         8
        .size:           8
        .value_kind:     global_buffer
      - .actual_access:  read_only
        .address_space:  global
        .offset:         16
        .size:           8
        .value_kind:     global_buffer
      - .actual_access:  read_only
        .address_space:  global
        .offset:         24
        .size:           8
        .value_kind:     global_buffer
      - .offset:         32
        .size:           4
        .value_kind:     by_value
      - .offset:         40
        .size:           8
        .value_kind:     by_value
      - .offset:         48
        .size:           4
        .value_kind:     hidden_block_count_x
      - .offset:         52
        .size:           4
        .value_kind:     hidden_block_count_y
      - .offset:         56
        .size:           4
        .value_kind:     hidden_block_count_z
      - .offset:         60
        .size:           2
        .value_kind:     hidden_group_size_x
      - .offset:         62
        .size:           2
        .value_kind:     hidden_group_size_y
      - .offset:         64
        .size:           2
        .value_kind:     hidden_group_size_z
      - .offset:         66
        .size:           2
        .value_kind:     hidden_remainder_x
      - .offset:         68
        .size:           2
        .value_kind:     hidden_remainder_y
      - .offset:         70
        .size:           2
        .value_kind:     hidden_remainder_z
      - .offset:         88
        .size:           8
        .value_kind:     hidden_global_offset_x
      - .offset:         96
        .size:           8
        .value_kind:     hidden_global_offset_y
      - .offset:         104
        .size:           8
        .value_kind:     hidden_global_offset_z
      - .offset:         112
        .size:           2
        .value_kind:     hidden_grid_dims
    .group_segment_fixed_size: 0
    .kernarg_segment_align: 8
    .kernarg_segment_size: 304
    .language:       OpenCL C
    .language_version:
      - 2
      - 0
    .max_flat_workgroup_size: 1024
    .name:           _ZN5aiter23act_and_mul_bias_kernelIffhfTnPFfRKT2_EXadL_ZNS_11gelu_kernelIfEEfRKT_EELi8EEEvPT0_PS8_PKT1_PS2_il
    .private_segment_fixed_size: 0
    .sgpr_count:     48
    .sgpr_spill_count: 0
    .symbol:         _ZN5aiter23act_and_mul_bias_kernelIffhfTnPFfRKT2_EXadL_ZNS_11gelu_kernelIfEEfRKT_EELi8EEEvPT0_PS8_PKT1_PS2_il.kd
    .uniform_work_group_size: 1
    .uses_dynamic_stack: false
    .vgpr_count:     43
    .vgpr_spill_count: 0
    .wavefront_size: 64
  - .agpr_count:     0
    .args:
      - .actual_access:  write_only
        .address_space:  global
        .offset:         0
        .size:           8
        .value_kind:     global_buffer
      - .actual_access:  read_only
        .address_space:  global
        .offset:         8
        .size:           8
        .value_kind:     global_buffer
      - .actual_access:  read_only
        .address_space:  global
        .offset:         16
        .size:           8
        .value_kind:     global_buffer
      - .actual_access:  read_only
        .address_space:  global
        .offset:         24
        .size:           8
        .value_kind:     global_buffer
      - .offset:         32
        .size:           4
        .value_kind:     by_value
      - .offset:         40
        .size:           8
        .value_kind:     by_value
      - .offset:         48
        .size:           4
        .value_kind:     hidden_block_count_x
      - .offset:         52
        .size:           4
        .value_kind:     hidden_block_count_y
      - .offset:         56
        .size:           4
        .value_kind:     hidden_block_count_z
      - .offset:         60
        .size:           2
        .value_kind:     hidden_group_size_x
      - .offset:         62
        .size:           2
        .value_kind:     hidden_group_size_y
      - .offset:         64
        .size:           2
        .value_kind:     hidden_group_size_z
      - .offset:         66
        .size:           2
        .value_kind:     hidden_remainder_x
      - .offset:         68
        .size:           2
        .value_kind:     hidden_remainder_y
      - .offset:         70
        .size:           2
        .value_kind:     hidden_remainder_z
      - .offset:         88
        .size:           8
        .value_kind:     hidden_global_offset_x
      - .offset:         96
        .size:           8
        .value_kind:     hidden_global_offset_y
      - .offset:         104
        .size:           8
        .value_kind:     hidden_global_offset_z
      - .offset:         112
        .size:           2
        .value_kind:     hidden_grid_dims
    .group_segment_fixed_size: 0
    .kernarg_segment_align: 8
    .kernarg_segment_size: 304
    .language:       OpenCL C
    .language_version:
      - 2
      - 0
    .max_flat_workgroup_size: 1024
    .name:           _ZN5aiter23act_and_mul_bias_kernelIffhfTnPFfRKT2_EXadL_ZNS_11gelu_kernelIfEEfRKT_EELi4EEEvPT0_PS8_PKT1_PS2_il
    .private_segment_fixed_size: 0
    .sgpr_count:     48
    .sgpr_spill_count: 0
    .symbol:         _ZN5aiter23act_and_mul_bias_kernelIffhfTnPFfRKT2_EXadL_ZNS_11gelu_kernelIfEEfRKT_EELi4EEEvPT0_PS8_PKT1_PS2_il.kd
    .uniform_work_group_size: 1
    .uses_dynamic_stack: false
    .vgpr_count:     27
    .vgpr_spill_count: 0
    .wavefront_size: 64
  - .agpr_count:     0
    .args:
      - .actual_access:  write_only
        .address_space:  global
        .offset:         0
        .size:           8
        .value_kind:     global_buffer
      - .actual_access:  read_only
        .address_space:  global
        .offset:         8
        .size:           8
        .value_kind:     global_buffer
      - .actual_access:  read_only
        .address_space:  global
        .offset:         16
        .size:           8
        .value_kind:     global_buffer
      - .actual_access:  read_only
        .address_space:  global
        .offset:         24
        .size:           8
        .value_kind:     global_buffer
      - .offset:         32
        .size:           4
        .value_kind:     by_value
      - .offset:         40
        .size:           8
        .value_kind:     by_value
      - .offset:         48
        .size:           4
        .value_kind:     hidden_block_count_x
      - .offset:         52
        .size:           4
        .value_kind:     hidden_block_count_y
      - .offset:         56
        .size:           4
        .value_kind:     hidden_block_count_z
      - .offset:         60
        .size:           2
        .value_kind:     hidden_group_size_x
      - .offset:         62
        .size:           2
        .value_kind:     hidden_group_size_y
      - .offset:         64
        .size:           2
        .value_kind:     hidden_group_size_z
      - .offset:         66
        .size:           2
        .value_kind:     hidden_remainder_x
      - .offset:         68
        .size:           2
        .value_kind:     hidden_remainder_y
      - .offset:         70
        .size:           2
        .value_kind:     hidden_remainder_z
      - .offset:         88
        .size:           8
        .value_kind:     hidden_global_offset_x
      - .offset:         96
        .size:           8
        .value_kind:     hidden_global_offset_y
      - .offset:         104
        .size:           8
        .value_kind:     hidden_global_offset_z
      - .offset:         112
        .size:           2
        .value_kind:     hidden_grid_dims
    .group_segment_fixed_size: 0
    .kernarg_segment_align: 8
    .kernarg_segment_size: 304
    .language:       OpenCL C
    .language_version:
      - 2
      - 0
    .max_flat_workgroup_size: 1024
    .name:           _ZN5aiter23act_and_mul_bias_kernelIffhfTnPFfRKT2_EXadL_ZNS_11gelu_kernelIfEEfRKT_EELi2EEEvPT0_PS8_PKT1_PS2_il
    .private_segment_fixed_size: 0
    .sgpr_count:     48
    .sgpr_spill_count: 0
    .symbol:         _ZN5aiter23act_and_mul_bias_kernelIffhfTnPFfRKT2_EXadL_ZNS_11gelu_kernelIfEEfRKT_EELi2EEEvPT0_PS8_PKT1_PS2_il.kd
    .uniform_work_group_size: 1
    .uses_dynamic_stack: false
    .vgpr_count:     20
    .vgpr_spill_count: 0
    .wavefront_size: 64
  - .agpr_count:     0
    .args:
      - .actual_access:  write_only
        .address_space:  global
        .offset:         0
        .size:           8
        .value_kind:     global_buffer
      - .actual_access:  read_only
        .address_space:  global
        .offset:         8
        .size:           8
        .value_kind:     global_buffer
      - .actual_access:  read_only
        .address_space:  global
        .offset:         16
        .size:           8
        .value_kind:     global_buffer
      - .actual_access:  read_only
        .address_space:  global
        .offset:         24
        .size:           8
        .value_kind:     global_buffer
      - .offset:         32
        .size:           4
        .value_kind:     by_value
      - .offset:         40
        .size:           8
        .value_kind:     by_value
      - .offset:         48
        .size:           4
        .value_kind:     hidden_block_count_x
      - .offset:         52
        .size:           4
        .value_kind:     hidden_block_count_y
      - .offset:         56
        .size:           4
        .value_kind:     hidden_block_count_z
      - .offset:         60
        .size:           2
        .value_kind:     hidden_group_size_x
      - .offset:         62
        .size:           2
        .value_kind:     hidden_group_size_y
      - .offset:         64
        .size:           2
        .value_kind:     hidden_group_size_z
      - .offset:         66
        .size:           2
        .value_kind:     hidden_remainder_x
      - .offset:         68
        .size:           2
        .value_kind:     hidden_remainder_y
      - .offset:         70
        .size:           2
        .value_kind:     hidden_remainder_z
      - .offset:         88
        .size:           8
        .value_kind:     hidden_global_offset_x
      - .offset:         96
        .size:           8
        .value_kind:     hidden_global_offset_y
      - .offset:         104
        .size:           8
        .value_kind:     hidden_global_offset_z
      - .offset:         112
        .size:           2
        .value_kind:     hidden_grid_dims
    .group_segment_fixed_size: 0
    .kernarg_segment_align: 8
    .kernarg_segment_size: 304
    .language:       OpenCL C
    .language_version:
      - 2
      - 0
    .max_flat_workgroup_size: 1024
    .name:           _ZN5aiter23act_and_mul_bias_kernelIffhfTnPFfRKT2_EXadL_ZNS_11gelu_kernelIfEEfRKT_EELi1EEEvPT0_PS8_PKT1_PS2_il
    .private_segment_fixed_size: 0
    .sgpr_count:     44
    .sgpr_spill_count: 0
    .symbol:         _ZN5aiter23act_and_mul_bias_kernelIffhfTnPFfRKT2_EXadL_ZNS_11gelu_kernelIfEEfRKT_EELi1EEEvPT0_PS8_PKT1_PS2_il.kd
    .uniform_work_group_size: 1
    .uses_dynamic_stack: false
    .vgpr_count:     14
    .vgpr_spill_count: 0
    .wavefront_size: 64
  - .agpr_count:     0
    .args:
      - .actual_access:  write_only
        .address_space:  global
        .offset:         0
        .size:           8
        .value_kind:     global_buffer
      - .actual_access:  read_only
        .address_space:  global
        .offset:         8
        .size:           8
        .value_kind:     global_buffer
      - .actual_access:  read_only
        .address_space:  global
        .offset:         16
        .size:           8
        .value_kind:     global_buffer
      - .actual_access:  read_only
        .address_space:  global
        .offset:         24
        .size:           8
        .value_kind:     global_buffer
      - .offset:         32
        .size:           4
        .value_kind:     by_value
      - .offset:         40
        .size:           8
        .value_kind:     by_value
      - .offset:         48
        .size:           4
        .value_kind:     hidden_block_count_x
      - .offset:         52
        .size:           4
        .value_kind:     hidden_block_count_y
      - .offset:         56
        .size:           4
        .value_kind:     hidden_block_count_z
      - .offset:         60
        .size:           2
        .value_kind:     hidden_group_size_x
      - .offset:         62
        .size:           2
        .value_kind:     hidden_group_size_y
      - .offset:         64
        .size:           2
        .value_kind:     hidden_group_size_z
      - .offset:         66
        .size:           2
        .value_kind:     hidden_remainder_x
      - .offset:         68
        .size:           2
        .value_kind:     hidden_remainder_y
      - .offset:         70
        .size:           2
        .value_kind:     hidden_remainder_z
      - .offset:         88
        .size:           8
        .value_kind:     hidden_global_offset_x
      - .offset:         96
        .size:           8
        .value_kind:     hidden_global_offset_y
      - .offset:         104
        .size:           8
        .value_kind:     hidden_global_offset_z
      - .offset:         112
        .size:           2
        .value_kind:     hidden_grid_dims
    .group_segment_fixed_size: 0
    .kernarg_segment_align: 8
    .kernarg_segment_size: 304
    .language:       OpenCL C
    .language_version:
      - 2
      - 0
    .max_flat_workgroup_size: 1024
    .name:           _ZN5aiter23act_and_mul_bias_kernelIDF16_DF16_hfTnPFfRKT2_EXadL_ZNS_11gelu_kernelIfEEfRKT_EELi32EEEvPT0_PS8_PKT1_PS2_il
    .private_segment_fixed_size: 0
    .sgpr_count:     50
    .sgpr_spill_count: 0
    .symbol:         _ZN5aiter23act_and_mul_bias_kernelIDF16_DF16_hfTnPFfRKT2_EXadL_ZNS_11gelu_kernelIfEEfRKT_EELi32EEEvPT0_PS8_PKT1_PS2_il.kd
    .uniform_work_group_size: 1
    .uses_dynamic_stack: false
    .vgpr_count:     108
    .vgpr_spill_count: 0
    .wavefront_size: 64
  - .agpr_count:     0
    .args:
      - .actual_access:  write_only
        .address_space:  global
        .offset:         0
        .size:           8
        .value_kind:     global_buffer
      - .actual_access:  read_only
        .address_space:  global
        .offset:         8
        .size:           8
        .value_kind:     global_buffer
      - .actual_access:  read_only
        .address_space:  global
        .offset:         16
        .size:           8
        .value_kind:     global_buffer
      - .actual_access:  read_only
        .address_space:  global
        .offset:         24
        .size:           8
        .value_kind:     global_buffer
      - .offset:         32
        .size:           4
        .value_kind:     by_value
      - .offset:         40
        .size:           8
        .value_kind:     by_value
      - .offset:         48
        .size:           4
        .value_kind:     hidden_block_count_x
      - .offset:         52
        .size:           4
        .value_kind:     hidden_block_count_y
      - .offset:         56
        .size:           4
        .value_kind:     hidden_block_count_z
      - .offset:         60
        .size:           2
        .value_kind:     hidden_group_size_x
      - .offset:         62
        .size:           2
        .value_kind:     hidden_group_size_y
      - .offset:         64
        .size:           2
        .value_kind:     hidden_group_size_z
      - .offset:         66
        .size:           2
        .value_kind:     hidden_remainder_x
      - .offset:         68
        .size:           2
        .value_kind:     hidden_remainder_y
      - .offset:         70
        .size:           2
        .value_kind:     hidden_remainder_z
      - .offset:         88
        .size:           8
        .value_kind:     hidden_global_offset_x
      - .offset:         96
        .size:           8
        .value_kind:     hidden_global_offset_y
      - .offset:         104
        .size:           8
        .value_kind:     hidden_global_offset_z
      - .offset:         112
        .size:           2
        .value_kind:     hidden_grid_dims
    .group_segment_fixed_size: 0
    .kernarg_segment_align: 8
    .kernarg_segment_size: 304
    .language:       OpenCL C
    .language_version:
      - 2
      - 0
    .max_flat_workgroup_size: 1024
    .name:           _ZN5aiter23act_and_mul_bias_kernelIDF16_DF16_hfTnPFfRKT2_EXadL_ZNS_11gelu_kernelIfEEfRKT_EELi16EEEvPT0_PS8_PKT1_PS2_il
    .private_segment_fixed_size: 0
    .sgpr_count:     48
    .sgpr_spill_count: 0
    .symbol:         _ZN5aiter23act_and_mul_bias_kernelIDF16_DF16_hfTnPFfRKT2_EXadL_ZNS_11gelu_kernelIfEEfRKT_EELi16EEEvPT0_PS8_PKT1_PS2_il.kd
    .uniform_work_group_size: 1
    .uses_dynamic_stack: false
    .vgpr_count:     60
    .vgpr_spill_count: 0
    .wavefront_size: 64
  - .agpr_count:     0
    .args:
      - .actual_access:  write_only
        .address_space:  global
        .offset:         0
        .size:           8
        .value_kind:     global_buffer
      - .actual_access:  read_only
        .address_space:  global
        .offset:         8
        .size:           8
        .value_kind:     global_buffer
      - .actual_access:  read_only
        .address_space:  global
        .offset:         16
        .size:           8
        .value_kind:     global_buffer
      - .actual_access:  read_only
        .address_space:  global
        .offset:         24
        .size:           8
        .value_kind:     global_buffer
      - .offset:         32
        .size:           4
        .value_kind:     by_value
      - .offset:         40
        .size:           8
        .value_kind:     by_value
      - .offset:         48
        .size:           4
        .value_kind:     hidden_block_count_x
      - .offset:         52
        .size:           4
        .value_kind:     hidden_block_count_y
      - .offset:         56
        .size:           4
        .value_kind:     hidden_block_count_z
      - .offset:         60
        .size:           2
        .value_kind:     hidden_group_size_x
      - .offset:         62
        .size:           2
        .value_kind:     hidden_group_size_y
      - .offset:         64
        .size:           2
        .value_kind:     hidden_group_size_z
      - .offset:         66
        .size:           2
        .value_kind:     hidden_remainder_x
      - .offset:         68
        .size:           2
        .value_kind:     hidden_remainder_y
      - .offset:         70
        .size:           2
        .value_kind:     hidden_remainder_z
      - .offset:         88
        .size:           8
        .value_kind:     hidden_global_offset_x
      - .offset:         96
        .size:           8
        .value_kind:     hidden_global_offset_y
      - .offset:         104
        .size:           8
        .value_kind:     hidden_global_offset_z
      - .offset:         112
        .size:           2
        .value_kind:     hidden_grid_dims
    .group_segment_fixed_size: 0
    .kernarg_segment_align: 8
    .kernarg_segment_size: 304
    .language:       OpenCL C
    .language_version:
      - 2
      - 0
    .max_flat_workgroup_size: 1024
    .name:           _ZN5aiter23act_and_mul_bias_kernelIDF16_DF16_hfTnPFfRKT2_EXadL_ZNS_11gelu_kernelIfEEfRKT_EELi8EEEvPT0_PS8_PKT1_PS2_il
    .private_segment_fixed_size: 0
    .sgpr_count:     48
    .sgpr_spill_count: 0
    .symbol:         _ZN5aiter23act_and_mul_bias_kernelIDF16_DF16_hfTnPFfRKT2_EXadL_ZNS_11gelu_kernelIfEEfRKT_EELi8EEEvPT0_PS8_PKT1_PS2_il.kd
    .uniform_work_group_size: 1
    .uses_dynamic_stack: false
    .vgpr_count:     36
    .vgpr_spill_count: 0
    .wavefront_size: 64
  - .agpr_count:     0
    .args:
      - .actual_access:  write_only
        .address_space:  global
        .offset:         0
        .size:           8
        .value_kind:     global_buffer
      - .actual_access:  read_only
        .address_space:  global
        .offset:         8
        .size:           8
        .value_kind:     global_buffer
      - .actual_access:  read_only
        .address_space:  global
        .offset:         16
        .size:           8
        .value_kind:     global_buffer
      - .actual_access:  read_only
        .address_space:  global
        .offset:         24
        .size:           8
        .value_kind:     global_buffer
      - .offset:         32
        .size:           4
        .value_kind:     by_value
      - .offset:         40
        .size:           8
        .value_kind:     by_value
      - .offset:         48
        .size:           4
        .value_kind:     hidden_block_count_x
      - .offset:         52
        .size:           4
        .value_kind:     hidden_block_count_y
      - .offset:         56
        .size:           4
        .value_kind:     hidden_block_count_z
      - .offset:         60
        .size:           2
        .value_kind:     hidden_group_size_x
      - .offset:         62
        .size:           2
        .value_kind:     hidden_group_size_y
      - .offset:         64
        .size:           2
        .value_kind:     hidden_group_size_z
      - .offset:         66
        .size:           2
        .value_kind:     hidden_remainder_x
      - .offset:         68
        .size:           2
        .value_kind:     hidden_remainder_y
      - .offset:         70
        .size:           2
        .value_kind:     hidden_remainder_z
      - .offset:         88
        .size:           8
        .value_kind:     hidden_global_offset_x
      - .offset:         96
        .size:           8
        .value_kind:     hidden_global_offset_y
      - .offset:         104
        .size:           8
        .value_kind:     hidden_global_offset_z
      - .offset:         112
        .size:           2
        .value_kind:     hidden_grid_dims
    .group_segment_fixed_size: 0
    .kernarg_segment_align: 8
    .kernarg_segment_size: 304
    .language:       OpenCL C
    .language_version:
      - 2
      - 0
    .max_flat_workgroup_size: 1024
    .name:           _ZN5aiter23act_and_mul_bias_kernelIDF16_DF16_hfTnPFfRKT2_EXadL_ZNS_11gelu_kernelIfEEfRKT_EELi4EEEvPT0_PS8_PKT1_PS2_il
    .private_segment_fixed_size: 0
    .sgpr_count:     48
    .sgpr_spill_count: 0
    .symbol:         _ZN5aiter23act_and_mul_bias_kernelIDF16_DF16_hfTnPFfRKT2_EXadL_ZNS_11gelu_kernelIfEEfRKT_EELi4EEEvPT0_PS8_PKT1_PS2_il.kd
    .uniform_work_group_size: 1
    .uses_dynamic_stack: false
    .vgpr_count:     24
    .vgpr_spill_count: 0
    .wavefront_size: 64
  - .agpr_count:     0
    .args:
      - .actual_access:  write_only
        .address_space:  global
        .offset:         0
        .size:           8
        .value_kind:     global_buffer
      - .actual_access:  read_only
        .address_space:  global
        .offset:         8
        .size:           8
        .value_kind:     global_buffer
      - .actual_access:  read_only
        .address_space:  global
        .offset:         16
        .size:           8
        .value_kind:     global_buffer
      - .actual_access:  read_only
        .address_space:  global
        .offset:         24
        .size:           8
        .value_kind:     global_buffer
      - .offset:         32
        .size:           4
        .value_kind:     by_value
      - .offset:         40
        .size:           8
        .value_kind:     by_value
      - .offset:         48
        .size:           4
        .value_kind:     hidden_block_count_x
      - .offset:         52
        .size:           4
        .value_kind:     hidden_block_count_y
      - .offset:         56
        .size:           4
        .value_kind:     hidden_block_count_z
      - .offset:         60
        .size:           2
        .value_kind:     hidden_group_size_x
      - .offset:         62
        .size:           2
        .value_kind:     hidden_group_size_y
      - .offset:         64
        .size:           2
        .value_kind:     hidden_group_size_z
      - .offset:         66
        .size:           2
        .value_kind:     hidden_remainder_x
      - .offset:         68
        .size:           2
        .value_kind:     hidden_remainder_y
      - .offset:         70
        .size:           2
        .value_kind:     hidden_remainder_z
      - .offset:         88
        .size:           8
        .value_kind:     hidden_global_offset_x
      - .offset:         96
        .size:           8
        .value_kind:     hidden_global_offset_y
      - .offset:         104
        .size:           8
        .value_kind:     hidden_global_offset_z
      - .offset:         112
        .size:           2
        .value_kind:     hidden_grid_dims
    .group_segment_fixed_size: 0
    .kernarg_segment_align: 8
    .kernarg_segment_size: 304
    .language:       OpenCL C
    .language_version:
      - 2
      - 0
    .max_flat_workgroup_size: 1024
    .name:           _ZN5aiter23act_and_mul_bias_kernelIDF16_DF16_hfTnPFfRKT2_EXadL_ZNS_11gelu_kernelIfEEfRKT_EELi2EEEvPT0_PS8_PKT1_PS2_il
    .private_segment_fixed_size: 0
    .sgpr_count:     48
    .sgpr_spill_count: 0
    .symbol:         _ZN5aiter23act_and_mul_bias_kernelIDF16_DF16_hfTnPFfRKT2_EXadL_ZNS_11gelu_kernelIfEEfRKT_EELi2EEEvPT0_PS8_PKT1_PS2_il.kd
    .uniform_work_group_size: 1
    .uses_dynamic_stack: false
    .vgpr_count:     20
    .vgpr_spill_count: 0
    .wavefront_size: 64
  - .agpr_count:     0
    .args:
      - .actual_access:  write_only
        .address_space:  global
        .offset:         0
        .size:           8
        .value_kind:     global_buffer
      - .actual_access:  read_only
        .address_space:  global
        .offset:         8
        .size:           8
        .value_kind:     global_buffer
      - .actual_access:  read_only
        .address_space:  global
        .offset:         16
        .size:           8
        .value_kind:     global_buffer
      - .actual_access:  read_only
        .address_space:  global
        .offset:         24
        .size:           8
        .value_kind:     global_buffer
      - .offset:         32
        .size:           4
        .value_kind:     by_value
      - .offset:         40
        .size:           8
        .value_kind:     by_value
      - .offset:         48
        .size:           4
        .value_kind:     hidden_block_count_x
      - .offset:         52
        .size:           4
        .value_kind:     hidden_block_count_y
      - .offset:         56
        .size:           4
        .value_kind:     hidden_block_count_z
      - .offset:         60
        .size:           2
        .value_kind:     hidden_group_size_x
      - .offset:         62
        .size:           2
        .value_kind:     hidden_group_size_y
      - .offset:         64
        .size:           2
        .value_kind:     hidden_group_size_z
      - .offset:         66
        .size:           2
        .value_kind:     hidden_remainder_x
      - .offset:         68
        .size:           2
        .value_kind:     hidden_remainder_y
      - .offset:         70
        .size:           2
        .value_kind:     hidden_remainder_z
      - .offset:         88
        .size:           8
        .value_kind:     hidden_global_offset_x
      - .offset:         96
        .size:           8
        .value_kind:     hidden_global_offset_y
      - .offset:         104
        .size:           8
        .value_kind:     hidden_global_offset_z
      - .offset:         112
        .size:           2
        .value_kind:     hidden_grid_dims
    .group_segment_fixed_size: 0
    .kernarg_segment_align: 8
    .kernarg_segment_size: 304
    .language:       OpenCL C
    .language_version:
      - 2
      - 0
    .max_flat_workgroup_size: 1024
    .name:           _ZN5aiter23act_and_mul_bias_kernelIDF16_DF16_hfTnPFfRKT2_EXadL_ZNS_11gelu_kernelIfEEfRKT_EELi1EEEvPT0_PS8_PKT1_PS2_il
    .private_segment_fixed_size: 0
    .sgpr_count:     48
    .sgpr_spill_count: 0
    .symbol:         _ZN5aiter23act_and_mul_bias_kernelIDF16_DF16_hfTnPFfRKT2_EXadL_ZNS_11gelu_kernelIfEEfRKT_EELi1EEEvPT0_PS8_PKT1_PS2_il.kd
    .uniform_work_group_size: 1
    .uses_dynamic_stack: false
    .vgpr_count:     15
    .vgpr_spill_count: 0
    .wavefront_size: 64
  - .agpr_count:     0
    .args:
      - .actual_access:  write_only
        .address_space:  global
        .offset:         0
        .size:           8
        .value_kind:     global_buffer
      - .actual_access:  read_only
        .address_space:  global
        .offset:         8
        .size:           8
        .value_kind:     global_buffer
      - .actual_access:  read_only
        .address_space:  global
        .offset:         16
        .size:           8
        .value_kind:     global_buffer
      - .actual_access:  read_only
        .address_space:  global
        .offset:         24
        .size:           8
        .value_kind:     global_buffer
      - .offset:         32
        .size:           4
        .value_kind:     by_value
      - .offset:         40
        .size:           8
        .value_kind:     by_value
      - .offset:         48
        .size:           4
        .value_kind:     hidden_block_count_x
      - .offset:         52
        .size:           4
        .value_kind:     hidden_block_count_y
      - .offset:         56
        .size:           4
        .value_kind:     hidden_block_count_z
      - .offset:         60
        .size:           2
        .value_kind:     hidden_group_size_x
      - .offset:         62
        .size:           2
        .value_kind:     hidden_group_size_y
      - .offset:         64
        .size:           2
        .value_kind:     hidden_group_size_z
      - .offset:         66
        .size:           2
        .value_kind:     hidden_remainder_x
      - .offset:         68
        .size:           2
        .value_kind:     hidden_remainder_y
      - .offset:         70
        .size:           2
        .value_kind:     hidden_remainder_z
      - .offset:         88
        .size:           8
        .value_kind:     hidden_global_offset_x
      - .offset:         96
        .size:           8
        .value_kind:     hidden_global_offset_y
      - .offset:         104
        .size:           8
        .value_kind:     hidden_global_offset_z
      - .offset:         112
        .size:           2
        .value_kind:     hidden_grid_dims
    .group_segment_fixed_size: 0
    .kernarg_segment_align: 8
    .kernarg_segment_size: 304
    .language:       OpenCL C
    .language_version:
      - 2
      - 0
    .max_flat_workgroup_size: 1024
    .name:           _ZN5aiter23act_and_mul_bias_kernelItthfTnPFfRKT2_EXadL_ZNS_11gelu_kernelIfEEfRKT_EELi32EEEvPT0_PS8_PKT1_PS2_il
    .private_segment_fixed_size: 0
    .sgpr_count:     52
    .sgpr_spill_count: 0
    .symbol:         _ZN5aiter23act_and_mul_bias_kernelItthfTnPFfRKT2_EXadL_ZNS_11gelu_kernelIfEEfRKT_EELi32EEEvPT0_PS8_PKT1_PS2_il.kd
    .uniform_work_group_size: 1
    .uses_dynamic_stack: false
    .vgpr_count:     108
    .vgpr_spill_count: 0
    .wavefront_size: 64
  - .agpr_count:     0
    .args:
      - .actual_access:  write_only
        .address_space:  global
        .offset:         0
        .size:           8
        .value_kind:     global_buffer
      - .actual_access:  read_only
        .address_space:  global
        .offset:         8
        .size:           8
        .value_kind:     global_buffer
      - .actual_access:  read_only
        .address_space:  global
        .offset:         16
        .size:           8
        .value_kind:     global_buffer
      - .actual_access:  read_only
        .address_space:  global
        .offset:         24
        .size:           8
        .value_kind:     global_buffer
      - .offset:         32
        .size:           4
        .value_kind:     by_value
      - .offset:         40
        .size:           8
        .value_kind:     by_value
      - .offset:         48
        .size:           4
        .value_kind:     hidden_block_count_x
      - .offset:         52
        .size:           4
        .value_kind:     hidden_block_count_y
      - .offset:         56
        .size:           4
        .value_kind:     hidden_block_count_z
      - .offset:         60
        .size:           2
        .value_kind:     hidden_group_size_x
      - .offset:         62
        .size:           2
        .value_kind:     hidden_group_size_y
      - .offset:         64
        .size:           2
        .value_kind:     hidden_group_size_z
      - .offset:         66
        .size:           2
        .value_kind:     hidden_remainder_x
      - .offset:         68
        .size:           2
        .value_kind:     hidden_remainder_y
      - .offset:         70
        .size:           2
        .value_kind:     hidden_remainder_z
      - .offset:         88
        .size:           8
        .value_kind:     hidden_global_offset_x
      - .offset:         96
        .size:           8
        .value_kind:     hidden_global_offset_y
      - .offset:         104
        .size:           8
        .value_kind:     hidden_global_offset_z
      - .offset:         112
        .size:           2
        .value_kind:     hidden_grid_dims
    .group_segment_fixed_size: 0
    .kernarg_segment_align: 8
    .kernarg_segment_size: 304
    .language:       OpenCL C
    .language_version:
      - 2
      - 0
    .max_flat_workgroup_size: 1024
    .name:           _ZN5aiter23act_and_mul_bias_kernelItthfTnPFfRKT2_EXadL_ZNS_11gelu_kernelIfEEfRKT_EELi16EEEvPT0_PS8_PKT1_PS2_il
    .private_segment_fixed_size: 0
    .sgpr_count:     48
    .sgpr_spill_count: 0
    .symbol:         _ZN5aiter23act_and_mul_bias_kernelItthfTnPFfRKT2_EXadL_ZNS_11gelu_kernelIfEEfRKT_EELi16EEEvPT0_PS8_PKT1_PS2_il.kd
    .uniform_work_group_size: 1
    .uses_dynamic_stack: false
    .vgpr_count:     60
    .vgpr_spill_count: 0
    .wavefront_size: 64
  - .agpr_count:     0
    .args:
      - .actual_access:  write_only
        .address_space:  global
        .offset:         0
        .size:           8
        .value_kind:     global_buffer
      - .actual_access:  read_only
        .address_space:  global
        .offset:         8
        .size:           8
        .value_kind:     global_buffer
      - .actual_access:  read_only
        .address_space:  global
        .offset:         16
        .size:           8
        .value_kind:     global_buffer
      - .actual_access:  read_only
        .address_space:  global
        .offset:         24
        .size:           8
        .value_kind:     global_buffer
      - .offset:         32
        .size:           4
        .value_kind:     by_value
      - .offset:         40
        .size:           8
        .value_kind:     by_value
      - .offset:         48
        .size:           4
        .value_kind:     hidden_block_count_x
      - .offset:         52
        .size:           4
        .value_kind:     hidden_block_count_y
      - .offset:         56
        .size:           4
        .value_kind:     hidden_block_count_z
      - .offset:         60
        .size:           2
        .value_kind:     hidden_group_size_x
      - .offset:         62
        .size:           2
        .value_kind:     hidden_group_size_y
      - .offset:         64
        .size:           2
        .value_kind:     hidden_group_size_z
      - .offset:         66
        .size:           2
        .value_kind:     hidden_remainder_x
      - .offset:         68
        .size:           2
        .value_kind:     hidden_remainder_y
      - .offset:         70
        .size:           2
        .value_kind:     hidden_remainder_z
      - .offset:         88
        .size:           8
        .value_kind:     hidden_global_offset_x
      - .offset:         96
        .size:           8
        .value_kind:     hidden_global_offset_y
      - .offset:         104
        .size:           8
        .value_kind:     hidden_global_offset_z
      - .offset:         112
        .size:           2
        .value_kind:     hidden_grid_dims
    .group_segment_fixed_size: 0
    .kernarg_segment_align: 8
    .kernarg_segment_size: 304
    .language:       OpenCL C
    .language_version:
      - 2
      - 0
    .max_flat_workgroup_size: 1024
    .name:           _ZN5aiter23act_and_mul_bias_kernelItthfTnPFfRKT2_EXadL_ZNS_11gelu_kernelIfEEfRKT_EELi8EEEvPT0_PS8_PKT1_PS2_il
    .private_segment_fixed_size: 0
    .sgpr_count:     48
    .sgpr_spill_count: 0
    .symbol:         _ZN5aiter23act_and_mul_bias_kernelItthfTnPFfRKT2_EXadL_ZNS_11gelu_kernelIfEEfRKT_EELi8EEEvPT0_PS8_PKT1_PS2_il.kd
    .uniform_work_group_size: 1
    .uses_dynamic_stack: false
    .vgpr_count:     36
    .vgpr_spill_count: 0
    .wavefront_size: 64
  - .agpr_count:     0
    .args:
      - .actual_access:  write_only
        .address_space:  global
        .offset:         0
        .size:           8
        .value_kind:     global_buffer
      - .actual_access:  read_only
        .address_space:  global
        .offset:         8
        .size:           8
        .value_kind:     global_buffer
      - .actual_access:  read_only
        .address_space:  global
        .offset:         16
        .size:           8
        .value_kind:     global_buffer
      - .actual_access:  read_only
        .address_space:  global
        .offset:         24
        .size:           8
        .value_kind:     global_buffer
      - .offset:         32
        .size:           4
        .value_kind:     by_value
      - .offset:         40
        .size:           8
        .value_kind:     by_value
      - .offset:         48
        .size:           4
        .value_kind:     hidden_block_count_x
      - .offset:         52
        .size:           4
        .value_kind:     hidden_block_count_y
      - .offset:         56
        .size:           4
        .value_kind:     hidden_block_count_z
      - .offset:         60
        .size:           2
        .value_kind:     hidden_group_size_x
      - .offset:         62
        .size:           2
        .value_kind:     hidden_group_size_y
      - .offset:         64
        .size:           2
        .value_kind:     hidden_group_size_z
      - .offset:         66
        .size:           2
        .value_kind:     hidden_remainder_x
      - .offset:         68
        .size:           2
        .value_kind:     hidden_remainder_y
      - .offset:         70
        .size:           2
        .value_kind:     hidden_remainder_z
      - .offset:         88
        .size:           8
        .value_kind:     hidden_global_offset_x
      - .offset:         96
        .size:           8
        .value_kind:     hidden_global_offset_y
      - .offset:         104
        .size:           8
        .value_kind:     hidden_global_offset_z
      - .offset:         112
        .size:           2
        .value_kind:     hidden_grid_dims
    .group_segment_fixed_size: 0
    .kernarg_segment_align: 8
    .kernarg_segment_size: 304
    .language:       OpenCL C
    .language_version:
      - 2
      - 0
    .max_flat_workgroup_size: 1024
    .name:           _ZN5aiter23act_and_mul_bias_kernelItthfTnPFfRKT2_EXadL_ZNS_11gelu_kernelIfEEfRKT_EELi4EEEvPT0_PS8_PKT1_PS2_il
    .private_segment_fixed_size: 0
    .sgpr_count:     48
    .sgpr_spill_count: 0
    .symbol:         _ZN5aiter23act_and_mul_bias_kernelItthfTnPFfRKT2_EXadL_ZNS_11gelu_kernelIfEEfRKT_EELi4EEEvPT0_PS8_PKT1_PS2_il.kd
    .uniform_work_group_size: 1
    .uses_dynamic_stack: false
    .vgpr_count:     24
    .vgpr_spill_count: 0
    .wavefront_size: 64
  - .agpr_count:     0
    .args:
      - .actual_access:  write_only
        .address_space:  global
        .offset:         0
        .size:           8
        .value_kind:     global_buffer
      - .actual_access:  read_only
        .address_space:  global
        .offset:         8
        .size:           8
        .value_kind:     global_buffer
      - .actual_access:  read_only
        .address_space:  global
        .offset:         16
        .size:           8
        .value_kind:     global_buffer
      - .actual_access:  read_only
        .address_space:  global
        .offset:         24
        .size:           8
        .value_kind:     global_buffer
      - .offset:         32
        .size:           4
        .value_kind:     by_value
      - .offset:         40
        .size:           8
        .value_kind:     by_value
      - .offset:         48
        .size:           4
        .value_kind:     hidden_block_count_x
      - .offset:         52
        .size:           4
        .value_kind:     hidden_block_count_y
      - .offset:         56
        .size:           4
        .value_kind:     hidden_block_count_z
      - .offset:         60
        .size:           2
        .value_kind:     hidden_group_size_x
      - .offset:         62
        .size:           2
        .value_kind:     hidden_group_size_y
      - .offset:         64
        .size:           2
        .value_kind:     hidden_group_size_z
      - .offset:         66
        .size:           2
        .value_kind:     hidden_remainder_x
      - .offset:         68
        .size:           2
        .value_kind:     hidden_remainder_y
      - .offset:         70
        .size:           2
        .value_kind:     hidden_remainder_z
      - .offset:         88
        .size:           8
        .value_kind:     hidden_global_offset_x
      - .offset:         96
        .size:           8
        .value_kind:     hidden_global_offset_y
      - .offset:         104
        .size:           8
        .value_kind:     hidden_global_offset_z
      - .offset:         112
        .size:           2
        .value_kind:     hidden_grid_dims
    .group_segment_fixed_size: 0
    .kernarg_segment_align: 8
    .kernarg_segment_size: 304
    .language:       OpenCL C
    .language_version:
      - 2
      - 0
    .max_flat_workgroup_size: 1024
    .name:           _ZN5aiter23act_and_mul_bias_kernelItthfTnPFfRKT2_EXadL_ZNS_11gelu_kernelIfEEfRKT_EELi2EEEvPT0_PS8_PKT1_PS2_il
    .private_segment_fixed_size: 0
    .sgpr_count:     50
    .sgpr_spill_count: 0
    .symbol:         _ZN5aiter23act_and_mul_bias_kernelItthfTnPFfRKT2_EXadL_ZNS_11gelu_kernelIfEEfRKT_EELi2EEEvPT0_PS8_PKT1_PS2_il.kd
    .uniform_work_group_size: 1
    .uses_dynamic_stack: false
    .vgpr_count:     20
    .vgpr_spill_count: 0
    .wavefront_size: 64
  - .agpr_count:     0
    .args:
      - .actual_access:  write_only
        .address_space:  global
        .offset:         0
        .size:           8
        .value_kind:     global_buffer
      - .actual_access:  read_only
        .address_space:  global
        .offset:         8
        .size:           8
        .value_kind:     global_buffer
      - .actual_access:  read_only
        .address_space:  global
        .offset:         16
        .size:           8
        .value_kind:     global_buffer
      - .actual_access:  read_only
        .address_space:  global
        .offset:         24
        .size:           8
        .value_kind:     global_buffer
      - .offset:         32
        .size:           4
        .value_kind:     by_value
      - .offset:         40
        .size:           8
        .value_kind:     by_value
      - .offset:         48
        .size:           4
        .value_kind:     hidden_block_count_x
      - .offset:         52
        .size:           4
        .value_kind:     hidden_block_count_y
      - .offset:         56
        .size:           4
        .value_kind:     hidden_block_count_z
      - .offset:         60
        .size:           2
        .value_kind:     hidden_group_size_x
      - .offset:         62
        .size:           2
        .value_kind:     hidden_group_size_y
      - .offset:         64
        .size:           2
        .value_kind:     hidden_group_size_z
      - .offset:         66
        .size:           2
        .value_kind:     hidden_remainder_x
      - .offset:         68
        .size:           2
        .value_kind:     hidden_remainder_y
      - .offset:         70
        .size:           2
        .value_kind:     hidden_remainder_z
      - .offset:         88
        .size:           8
        .value_kind:     hidden_global_offset_x
      - .offset:         96
        .size:           8
        .value_kind:     hidden_global_offset_y
      - .offset:         104
        .size:           8
        .value_kind:     hidden_global_offset_z
      - .offset:         112
        .size:           2
        .value_kind:     hidden_grid_dims
    .group_segment_fixed_size: 0
    .kernarg_segment_align: 8
    .kernarg_segment_size: 304
    .language:       OpenCL C
    .language_version:
      - 2
      - 0
    .max_flat_workgroup_size: 1024
    .name:           _ZN5aiter23act_and_mul_bias_kernelItthfTnPFfRKT2_EXadL_ZNS_11gelu_kernelIfEEfRKT_EELi1EEEvPT0_PS8_PKT1_PS2_il
    .private_segment_fixed_size: 0
    .sgpr_count:     48
    .sgpr_spill_count: 0
    .symbol:         _ZN5aiter23act_and_mul_bias_kernelItthfTnPFfRKT2_EXadL_ZNS_11gelu_kernelIfEEfRKT_EELi1EEEvPT0_PS8_PKT1_PS2_il.kd
    .uniform_work_group_size: 1
    .uses_dynamic_stack: false
    .vgpr_count:     15
    .vgpr_spill_count: 0
    .wavefront_size: 64
  - .agpr_count:     0
    .args:
      - .actual_access:  write_only
        .address_space:  global
        .offset:         0
        .size:           8
        .value_kind:     global_buffer
      - .actual_access:  read_only
        .address_space:  global
        .offset:         8
        .size:           8
        .value_kind:     global_buffer
      - .actual_access:  read_only
        .address_space:  global
        .offset:         16
        .size:           8
        .value_kind:     global_buffer
      - .actual_access:  read_only
        .address_space:  global
        .offset:         24
        .size:           8
        .value_kind:     global_buffer
      - .offset:         32
        .size:           4
        .value_kind:     by_value
      - .offset:         40
        .size:           8
        .value_kind:     by_value
      - .offset:         48
        .size:           4
        .value_kind:     hidden_block_count_x
      - .offset:         52
        .size:           4
        .value_kind:     hidden_block_count_y
      - .offset:         56
        .size:           4
        .value_kind:     hidden_block_count_z
      - .offset:         60
        .size:           2
        .value_kind:     hidden_group_size_x
      - .offset:         62
        .size:           2
        .value_kind:     hidden_group_size_y
      - .offset:         64
        .size:           2
        .value_kind:     hidden_group_size_z
      - .offset:         66
        .size:           2
        .value_kind:     hidden_remainder_x
      - .offset:         68
        .size:           2
        .value_kind:     hidden_remainder_y
      - .offset:         70
        .size:           2
        .value_kind:     hidden_remainder_z
      - .offset:         88
        .size:           8
        .value_kind:     hidden_global_offset_x
      - .offset:         96
        .size:           8
        .value_kind:     hidden_global_offset_y
      - .offset:         104
        .size:           8
        .value_kind:     hidden_global_offset_z
      - .offset:         112
        .size:           2
        .value_kind:     hidden_grid_dims
    .group_segment_fixed_size: 0
    .kernarg_segment_align: 8
    .kernarg_segment_size: 304
    .language:       OpenCL C
    .language_version:
      - 2
      - 0
    .max_flat_workgroup_size: 1024
    .name:           _ZN5aiter23act_and_mul_bias_kernelIftafTnPFfRKT2_EXadL_ZNS_11gelu_kernelIfEEfRKT_EELi16EEEvPT0_PS8_PKT1_PS2_il
    .private_segment_fixed_size: 0
    .sgpr_count:     48
    .sgpr_spill_count: 0
    .symbol:         _ZN5aiter23act_and_mul_bias_kernelIftafTnPFfRKT2_EXadL_ZNS_11gelu_kernelIfEEfRKT_EELi16EEEvPT0_PS8_PKT1_PS2_il.kd
    .uniform_work_group_size: 1
    .uses_dynamic_stack: false
    .vgpr_count:     74
    .vgpr_spill_count: 0
    .wavefront_size: 64
  - .agpr_count:     0
    .args:
      - .actual_access:  write_only
        .address_space:  global
        .offset:         0
        .size:           8
        .value_kind:     global_buffer
      - .actual_access:  read_only
        .address_space:  global
        .offset:         8
        .size:           8
        .value_kind:     global_buffer
      - .actual_access:  read_only
        .address_space:  global
        .offset:         16
        .size:           8
        .value_kind:     global_buffer
      - .actual_access:  read_only
        .address_space:  global
        .offset:         24
        .size:           8
        .value_kind:     global_buffer
      - .offset:         32
        .size:           4
        .value_kind:     by_value
      - .offset:         40
        .size:           8
        .value_kind:     by_value
      - .offset:         48
        .size:           4
        .value_kind:     hidden_block_count_x
      - .offset:         52
        .size:           4
        .value_kind:     hidden_block_count_y
      - .offset:         56
        .size:           4
        .value_kind:     hidden_block_count_z
      - .offset:         60
        .size:           2
        .value_kind:     hidden_group_size_x
      - .offset:         62
        .size:           2
        .value_kind:     hidden_group_size_y
      - .offset:         64
        .size:           2
        .value_kind:     hidden_group_size_z
      - .offset:         66
        .size:           2
        .value_kind:     hidden_remainder_x
      - .offset:         68
        .size:           2
        .value_kind:     hidden_remainder_y
      - .offset:         70
        .size:           2
        .value_kind:     hidden_remainder_z
      - .offset:         88
        .size:           8
        .value_kind:     hidden_global_offset_x
      - .offset:         96
        .size:           8
        .value_kind:     hidden_global_offset_y
      - .offset:         104
        .size:           8
        .value_kind:     hidden_global_offset_z
      - .offset:         112
        .size:           2
        .value_kind:     hidden_grid_dims
    .group_segment_fixed_size: 0
    .kernarg_segment_align: 8
    .kernarg_segment_size: 304
    .language:       OpenCL C
    .language_version:
      - 2
      - 0
    .max_flat_workgroup_size: 1024
    .name:           _ZN5aiter23act_and_mul_bias_kernelIftafTnPFfRKT2_EXadL_ZNS_11gelu_kernelIfEEfRKT_EELi8EEEvPT0_PS8_PKT1_PS2_il
    .private_segment_fixed_size: 0
    .sgpr_count:     48
    .sgpr_spill_count: 0
    .symbol:         _ZN5aiter23act_and_mul_bias_kernelIftafTnPFfRKT2_EXadL_ZNS_11gelu_kernelIfEEfRKT_EELi8EEEvPT0_PS8_PKT1_PS2_il.kd
    .uniform_work_group_size: 1
    .uses_dynamic_stack: false
    .vgpr_count:     42
    .vgpr_spill_count: 0
    .wavefront_size: 64
  - .agpr_count:     0
    .args:
      - .actual_access:  write_only
        .address_space:  global
        .offset:         0
        .size:           8
        .value_kind:     global_buffer
      - .actual_access:  read_only
        .address_space:  global
        .offset:         8
        .size:           8
        .value_kind:     global_buffer
      - .actual_access:  read_only
        .address_space:  global
        .offset:         16
        .size:           8
        .value_kind:     global_buffer
      - .actual_access:  read_only
        .address_space:  global
        .offset:         24
        .size:           8
        .value_kind:     global_buffer
      - .offset:         32
        .size:           4
        .value_kind:     by_value
      - .offset:         40
        .size:           8
        .value_kind:     by_value
      - .offset:         48
        .size:           4
        .value_kind:     hidden_block_count_x
      - .offset:         52
        .size:           4
        .value_kind:     hidden_block_count_y
      - .offset:         56
        .size:           4
        .value_kind:     hidden_block_count_z
      - .offset:         60
        .size:           2
        .value_kind:     hidden_group_size_x
      - .offset:         62
        .size:           2
        .value_kind:     hidden_group_size_y
      - .offset:         64
        .size:           2
        .value_kind:     hidden_group_size_z
      - .offset:         66
        .size:           2
        .value_kind:     hidden_remainder_x
      - .offset:         68
        .size:           2
        .value_kind:     hidden_remainder_y
      - .offset:         70
        .size:           2
        .value_kind:     hidden_remainder_z
      - .offset:         88
        .size:           8
        .value_kind:     hidden_global_offset_x
      - .offset:         96
        .size:           8
        .value_kind:     hidden_global_offset_y
      - .offset:         104
        .size:           8
        .value_kind:     hidden_global_offset_z
      - .offset:         112
        .size:           2
        .value_kind:     hidden_grid_dims
    .group_segment_fixed_size: 0
    .kernarg_segment_align: 8
    .kernarg_segment_size: 304
    .language:       OpenCL C
    .language_version:
      - 2
      - 0
    .max_flat_workgroup_size: 1024
    .name:           _ZN5aiter23act_and_mul_bias_kernelIftafTnPFfRKT2_EXadL_ZNS_11gelu_kernelIfEEfRKT_EELi4EEEvPT0_PS8_PKT1_PS2_il
    .private_segment_fixed_size: 0
    .sgpr_count:     48
    .sgpr_spill_count: 0
    .symbol:         _ZN5aiter23act_and_mul_bias_kernelIftafTnPFfRKT2_EXadL_ZNS_11gelu_kernelIfEEfRKT_EELi4EEEvPT0_PS8_PKT1_PS2_il.kd
    .uniform_work_group_size: 1
    .uses_dynamic_stack: false
    .vgpr_count:     26
    .vgpr_spill_count: 0
    .wavefront_size: 64
  - .agpr_count:     0
    .args:
      - .actual_access:  write_only
        .address_space:  global
        .offset:         0
        .size:           8
        .value_kind:     global_buffer
      - .actual_access:  read_only
        .address_space:  global
        .offset:         8
        .size:           8
        .value_kind:     global_buffer
      - .actual_access:  read_only
        .address_space:  global
        .offset:         16
        .size:           8
        .value_kind:     global_buffer
      - .actual_access:  read_only
        .address_space:  global
        .offset:         24
        .size:           8
        .value_kind:     global_buffer
      - .offset:         32
        .size:           4
        .value_kind:     by_value
      - .offset:         40
        .size:           8
        .value_kind:     by_value
      - .offset:         48
        .size:           4
        .value_kind:     hidden_block_count_x
      - .offset:         52
        .size:           4
        .value_kind:     hidden_block_count_y
      - .offset:         56
        .size:           4
        .value_kind:     hidden_block_count_z
      - .offset:         60
        .size:           2
        .value_kind:     hidden_group_size_x
      - .offset:         62
        .size:           2
        .value_kind:     hidden_group_size_y
      - .offset:         64
        .size:           2
        .value_kind:     hidden_group_size_z
      - .offset:         66
        .size:           2
        .value_kind:     hidden_remainder_x
      - .offset:         68
        .size:           2
        .value_kind:     hidden_remainder_y
      - .offset:         70
        .size:           2
        .value_kind:     hidden_remainder_z
      - .offset:         88
        .size:           8
        .value_kind:     hidden_global_offset_x
      - .offset:         96
        .size:           8
        .value_kind:     hidden_global_offset_y
      - .offset:         104
        .size:           8
        .value_kind:     hidden_global_offset_z
      - .offset:         112
        .size:           2
        .value_kind:     hidden_grid_dims
    .group_segment_fixed_size: 0
    .kernarg_segment_align: 8
    .kernarg_segment_size: 304
    .language:       OpenCL C
    .language_version:
      - 2
      - 0
    .max_flat_workgroup_size: 1024
    .name:           _ZN5aiter23act_and_mul_bias_kernelIftafTnPFfRKT2_EXadL_ZNS_11gelu_kernelIfEEfRKT_EELi2EEEvPT0_PS8_PKT1_PS2_il
    .private_segment_fixed_size: 0
    .sgpr_count:     50
    .sgpr_spill_count: 0
    .symbol:         _ZN5aiter23act_and_mul_bias_kernelIftafTnPFfRKT2_EXadL_ZNS_11gelu_kernelIfEEfRKT_EELi2EEEvPT0_PS8_PKT1_PS2_il.kd
    .uniform_work_group_size: 1
    .uses_dynamic_stack: false
    .vgpr_count:     19
    .vgpr_spill_count: 0
    .wavefront_size: 64
  - .agpr_count:     0
    .args:
      - .actual_access:  write_only
        .address_space:  global
        .offset:         0
        .size:           8
        .value_kind:     global_buffer
      - .actual_access:  read_only
        .address_space:  global
        .offset:         8
        .size:           8
        .value_kind:     global_buffer
      - .actual_access:  read_only
        .address_space:  global
        .offset:         16
        .size:           8
        .value_kind:     global_buffer
      - .actual_access:  read_only
        .address_space:  global
        .offset:         24
        .size:           8
        .value_kind:     global_buffer
      - .offset:         32
        .size:           4
        .value_kind:     by_value
      - .offset:         40
        .size:           8
        .value_kind:     by_value
      - .offset:         48
        .size:           4
        .value_kind:     hidden_block_count_x
      - .offset:         52
        .size:           4
        .value_kind:     hidden_block_count_y
      - .offset:         56
        .size:           4
        .value_kind:     hidden_block_count_z
      - .offset:         60
        .size:           2
        .value_kind:     hidden_group_size_x
      - .offset:         62
        .size:           2
        .value_kind:     hidden_group_size_y
      - .offset:         64
        .size:           2
        .value_kind:     hidden_group_size_z
      - .offset:         66
        .size:           2
        .value_kind:     hidden_remainder_x
      - .offset:         68
        .size:           2
        .value_kind:     hidden_remainder_y
      - .offset:         70
        .size:           2
        .value_kind:     hidden_remainder_z
      - .offset:         88
        .size:           8
        .value_kind:     hidden_global_offset_x
      - .offset:         96
        .size:           8
        .value_kind:     hidden_global_offset_y
      - .offset:         104
        .size:           8
        .value_kind:     hidden_global_offset_z
      - .offset:         112
        .size:           2
        .value_kind:     hidden_grid_dims
    .group_segment_fixed_size: 0
    .kernarg_segment_align: 8
    .kernarg_segment_size: 304
    .language:       OpenCL C
    .language_version:
      - 2
      - 0
    .max_flat_workgroup_size: 1024
    .name:           _ZN5aiter23act_and_mul_bias_kernelIftafTnPFfRKT2_EXadL_ZNS_11gelu_kernelIfEEfRKT_EELi1EEEvPT0_PS8_PKT1_PS2_il
    .private_segment_fixed_size: 0
    .sgpr_count:     48
    .sgpr_spill_count: 0
    .symbol:         _ZN5aiter23act_and_mul_bias_kernelIftafTnPFfRKT2_EXadL_ZNS_11gelu_kernelIfEEfRKT_EELi1EEEvPT0_PS8_PKT1_PS2_il.kd
    .uniform_work_group_size: 1
    .uses_dynamic_stack: false
    .vgpr_count:     15
    .vgpr_spill_count: 0
    .wavefront_size: 64
  - .agpr_count:     0
    .args:
      - .actual_access:  write_only
        .address_space:  global
        .offset:         0
        .size:           8
        .value_kind:     global_buffer
      - .actual_access:  read_only
        .address_space:  global
        .offset:         8
        .size:           8
        .value_kind:     global_buffer
      - .actual_access:  read_only
        .address_space:  global
        .offset:         16
        .size:           8
        .value_kind:     global_buffer
      - .actual_access:  read_only
        .address_space:  global
        .offset:         24
        .size:           8
        .value_kind:     global_buffer
      - .offset:         32
        .size:           4
        .value_kind:     by_value
      - .offset:         40
        .size:           8
        .value_kind:     by_value
      - .offset:         48
        .size:           4
        .value_kind:     hidden_block_count_x
      - .offset:         52
        .size:           4
        .value_kind:     hidden_block_count_y
      - .offset:         56
        .size:           4
        .value_kind:     hidden_block_count_z
      - .offset:         60
        .size:           2
        .value_kind:     hidden_group_size_x
      - .offset:         62
        .size:           2
        .value_kind:     hidden_group_size_y
      - .offset:         64
        .size:           2
        .value_kind:     hidden_group_size_z
      - .offset:         66
        .size:           2
        .value_kind:     hidden_remainder_x
      - .offset:         68
        .size:           2
        .value_kind:     hidden_remainder_y
      - .offset:         70
        .size:           2
        .value_kind:     hidden_remainder_z
      - .offset:         88
        .size:           8
        .value_kind:     hidden_global_offset_x
      - .offset:         96
        .size:           8
        .value_kind:     hidden_global_offset_y
      - .offset:         104
        .size:           8
        .value_kind:     hidden_global_offset_z
      - .offset:         112
        .size:           2
        .value_kind:     hidden_grid_dims
    .group_segment_fixed_size: 0
    .kernarg_segment_align: 8
    .kernarg_segment_size: 304
    .language:       OpenCL C
    .language_version:
      - 2
      - 0
    .max_flat_workgroup_size: 1024
    .name:           _ZN5aiter23act_and_mul_bias_kernelIfDF16_afTnPFfRKT2_EXadL_ZNS_11gelu_kernelIfEEfRKT_EELi16EEEvPT0_PS8_PKT1_PS2_il
    .private_segment_fixed_size: 0
    .sgpr_count:     48
    .sgpr_spill_count: 0
    .symbol:         _ZN5aiter23act_and_mul_bias_kernelIfDF16_afTnPFfRKT2_EXadL_ZNS_11gelu_kernelIfEEfRKT_EELi16EEEvPT0_PS8_PKT1_PS2_il.kd
    .uniform_work_group_size: 1
    .uses_dynamic_stack: false
    .vgpr_count:     74
    .vgpr_spill_count: 0
    .wavefront_size: 64
  - .agpr_count:     0
    .args:
      - .actual_access:  write_only
        .address_space:  global
        .offset:         0
        .size:           8
        .value_kind:     global_buffer
      - .actual_access:  read_only
        .address_space:  global
        .offset:         8
        .size:           8
        .value_kind:     global_buffer
      - .actual_access:  read_only
        .address_space:  global
        .offset:         16
        .size:           8
        .value_kind:     global_buffer
      - .actual_access:  read_only
        .address_space:  global
        .offset:         24
        .size:           8
        .value_kind:     global_buffer
      - .offset:         32
        .size:           4
        .value_kind:     by_value
      - .offset:         40
        .size:           8
        .value_kind:     by_value
      - .offset:         48
        .size:           4
        .value_kind:     hidden_block_count_x
      - .offset:         52
        .size:           4
        .value_kind:     hidden_block_count_y
      - .offset:         56
        .size:           4
        .value_kind:     hidden_block_count_z
      - .offset:         60
        .size:           2
        .value_kind:     hidden_group_size_x
      - .offset:         62
        .size:           2
        .value_kind:     hidden_group_size_y
      - .offset:         64
        .size:           2
        .value_kind:     hidden_group_size_z
      - .offset:         66
        .size:           2
        .value_kind:     hidden_remainder_x
      - .offset:         68
        .size:           2
        .value_kind:     hidden_remainder_y
      - .offset:         70
        .size:           2
        .value_kind:     hidden_remainder_z
      - .offset:         88
        .size:           8
        .value_kind:     hidden_global_offset_x
      - .offset:         96
        .size:           8
        .value_kind:     hidden_global_offset_y
      - .offset:         104
        .size:           8
        .value_kind:     hidden_global_offset_z
      - .offset:         112
        .size:           2
        .value_kind:     hidden_grid_dims
    .group_segment_fixed_size: 0
    .kernarg_segment_align: 8
    .kernarg_segment_size: 304
    .language:       OpenCL C
    .language_version:
      - 2
      - 0
    .max_flat_workgroup_size: 1024
    .name:           _ZN5aiter23act_and_mul_bias_kernelIfDF16_afTnPFfRKT2_EXadL_ZNS_11gelu_kernelIfEEfRKT_EELi8EEEvPT0_PS8_PKT1_PS2_il
    .private_segment_fixed_size: 0
    .sgpr_count:     48
    .sgpr_spill_count: 0
    .symbol:         _ZN5aiter23act_and_mul_bias_kernelIfDF16_afTnPFfRKT2_EXadL_ZNS_11gelu_kernelIfEEfRKT_EELi8EEEvPT0_PS8_PKT1_PS2_il.kd
    .uniform_work_group_size: 1
    .uses_dynamic_stack: false
    .vgpr_count:     42
    .vgpr_spill_count: 0
    .wavefront_size: 64
  - .agpr_count:     0
    .args:
      - .actual_access:  write_only
        .address_space:  global
        .offset:         0
        .size:           8
        .value_kind:     global_buffer
      - .actual_access:  read_only
        .address_space:  global
        .offset:         8
        .size:           8
        .value_kind:     global_buffer
      - .actual_access:  read_only
        .address_space:  global
        .offset:         16
        .size:           8
        .value_kind:     global_buffer
      - .actual_access:  read_only
        .address_space:  global
        .offset:         24
        .size:           8
        .value_kind:     global_buffer
      - .offset:         32
        .size:           4
        .value_kind:     by_value
      - .offset:         40
        .size:           8
        .value_kind:     by_value
      - .offset:         48
        .size:           4
        .value_kind:     hidden_block_count_x
      - .offset:         52
        .size:           4
        .value_kind:     hidden_block_count_y
      - .offset:         56
        .size:           4
        .value_kind:     hidden_block_count_z
      - .offset:         60
        .size:           2
        .value_kind:     hidden_group_size_x
      - .offset:         62
        .size:           2
        .value_kind:     hidden_group_size_y
      - .offset:         64
        .size:           2
        .value_kind:     hidden_group_size_z
      - .offset:         66
        .size:           2
        .value_kind:     hidden_remainder_x
      - .offset:         68
        .size:           2
        .value_kind:     hidden_remainder_y
      - .offset:         70
        .size:           2
        .value_kind:     hidden_remainder_z
      - .offset:         88
        .size:           8
        .value_kind:     hidden_global_offset_x
      - .offset:         96
        .size:           8
        .value_kind:     hidden_global_offset_y
      - .offset:         104
        .size:           8
        .value_kind:     hidden_global_offset_z
      - .offset:         112
        .size:           2
        .value_kind:     hidden_grid_dims
    .group_segment_fixed_size: 0
    .kernarg_segment_align: 8
    .kernarg_segment_size: 304
    .language:       OpenCL C
    .language_version:
      - 2
      - 0
    .max_flat_workgroup_size: 1024
    .name:           _ZN5aiter23act_and_mul_bias_kernelIfDF16_afTnPFfRKT2_EXadL_ZNS_11gelu_kernelIfEEfRKT_EELi4EEEvPT0_PS8_PKT1_PS2_il
    .private_segment_fixed_size: 0
    .sgpr_count:     48
    .sgpr_spill_count: 0
    .symbol:         _ZN5aiter23act_and_mul_bias_kernelIfDF16_afTnPFfRKT2_EXadL_ZNS_11gelu_kernelIfEEfRKT_EELi4EEEvPT0_PS8_PKT1_PS2_il.kd
    .uniform_work_group_size: 1
    .uses_dynamic_stack: false
    .vgpr_count:     26
    .vgpr_spill_count: 0
    .wavefront_size: 64
  - .agpr_count:     0
    .args:
      - .actual_access:  write_only
        .address_space:  global
        .offset:         0
        .size:           8
        .value_kind:     global_buffer
      - .actual_access:  read_only
        .address_space:  global
        .offset:         8
        .size:           8
        .value_kind:     global_buffer
      - .actual_access:  read_only
        .address_space:  global
        .offset:         16
        .size:           8
        .value_kind:     global_buffer
      - .actual_access:  read_only
        .address_space:  global
        .offset:         24
        .size:           8
        .value_kind:     global_buffer
      - .offset:         32
        .size:           4
        .value_kind:     by_value
      - .offset:         40
        .size:           8
        .value_kind:     by_value
      - .offset:         48
        .size:           4
        .value_kind:     hidden_block_count_x
      - .offset:         52
        .size:           4
        .value_kind:     hidden_block_count_y
      - .offset:         56
        .size:           4
        .value_kind:     hidden_block_count_z
      - .offset:         60
        .size:           2
        .value_kind:     hidden_group_size_x
      - .offset:         62
        .size:           2
        .value_kind:     hidden_group_size_y
      - .offset:         64
        .size:           2
        .value_kind:     hidden_group_size_z
      - .offset:         66
        .size:           2
        .value_kind:     hidden_remainder_x
      - .offset:         68
        .size:           2
        .value_kind:     hidden_remainder_y
      - .offset:         70
        .size:           2
        .value_kind:     hidden_remainder_z
      - .offset:         88
        .size:           8
        .value_kind:     hidden_global_offset_x
      - .offset:         96
        .size:           8
        .value_kind:     hidden_global_offset_y
      - .offset:         104
        .size:           8
        .value_kind:     hidden_global_offset_z
      - .offset:         112
        .size:           2
        .value_kind:     hidden_grid_dims
    .group_segment_fixed_size: 0
    .kernarg_segment_align: 8
    .kernarg_segment_size: 304
    .language:       OpenCL C
    .language_version:
      - 2
      - 0
    .max_flat_workgroup_size: 1024
    .name:           _ZN5aiter23act_and_mul_bias_kernelIfDF16_afTnPFfRKT2_EXadL_ZNS_11gelu_kernelIfEEfRKT_EELi2EEEvPT0_PS8_PKT1_PS2_il
    .private_segment_fixed_size: 0
    .sgpr_count:     48
    .sgpr_spill_count: 0
    .symbol:         _ZN5aiter23act_and_mul_bias_kernelIfDF16_afTnPFfRKT2_EXadL_ZNS_11gelu_kernelIfEEfRKT_EELi2EEEvPT0_PS8_PKT1_PS2_il.kd
    .uniform_work_group_size: 1
    .uses_dynamic_stack: false
    .vgpr_count:     19
    .vgpr_spill_count: 0
    .wavefront_size: 64
  - .agpr_count:     0
    .args:
      - .actual_access:  write_only
        .address_space:  global
        .offset:         0
        .size:           8
        .value_kind:     global_buffer
      - .actual_access:  read_only
        .address_space:  global
        .offset:         8
        .size:           8
        .value_kind:     global_buffer
      - .actual_access:  read_only
        .address_space:  global
        .offset:         16
        .size:           8
        .value_kind:     global_buffer
      - .actual_access:  read_only
        .address_space:  global
        .offset:         24
        .size:           8
        .value_kind:     global_buffer
      - .offset:         32
        .size:           4
        .value_kind:     by_value
      - .offset:         40
        .size:           8
        .value_kind:     by_value
      - .offset:         48
        .size:           4
        .value_kind:     hidden_block_count_x
      - .offset:         52
        .size:           4
        .value_kind:     hidden_block_count_y
      - .offset:         56
        .size:           4
        .value_kind:     hidden_block_count_z
      - .offset:         60
        .size:           2
        .value_kind:     hidden_group_size_x
      - .offset:         62
        .size:           2
        .value_kind:     hidden_group_size_y
      - .offset:         64
        .size:           2
        .value_kind:     hidden_group_size_z
      - .offset:         66
        .size:           2
        .value_kind:     hidden_remainder_x
      - .offset:         68
        .size:           2
        .value_kind:     hidden_remainder_y
      - .offset:         70
        .size:           2
        .value_kind:     hidden_remainder_z
      - .offset:         88
        .size:           8
        .value_kind:     hidden_global_offset_x
      - .offset:         96
        .size:           8
        .value_kind:     hidden_global_offset_y
      - .offset:         104
        .size:           8
        .value_kind:     hidden_global_offset_z
      - .offset:         112
        .size:           2
        .value_kind:     hidden_grid_dims
    .group_segment_fixed_size: 0
    .kernarg_segment_align: 8
    .kernarg_segment_size: 304
    .language:       OpenCL C
    .language_version:
      - 2
      - 0
    .max_flat_workgroup_size: 1024
    .name:           _ZN5aiter23act_and_mul_bias_kernelIfDF16_afTnPFfRKT2_EXadL_ZNS_11gelu_kernelIfEEfRKT_EELi1EEEvPT0_PS8_PKT1_PS2_il
    .private_segment_fixed_size: 0
    .sgpr_count:     48
    .sgpr_spill_count: 0
    .symbol:         _ZN5aiter23act_and_mul_bias_kernelIfDF16_afTnPFfRKT2_EXadL_ZNS_11gelu_kernelIfEEfRKT_EELi1EEEvPT0_PS8_PKT1_PS2_il.kd
    .uniform_work_group_size: 1
    .uses_dynamic_stack: false
    .vgpr_count:     15
    .vgpr_spill_count: 0
    .wavefront_size: 64
  - .agpr_count:     0
    .args:
      - .actual_access:  write_only
        .address_space:  global
        .offset:         0
        .size:           8
        .value_kind:     global_buffer
      - .actual_access:  read_only
        .address_space:  global
        .offset:         8
        .size:           8
        .value_kind:     global_buffer
      - .actual_access:  read_only
        .address_space:  global
        .offset:         16
        .size:           8
        .value_kind:     global_buffer
      - .actual_access:  read_only
        .address_space:  global
        .offset:         24
        .size:           8
        .value_kind:     global_buffer
      - .offset:         32
        .size:           4
        .value_kind:     by_value
      - .offset:         40
        .size:           8
        .value_kind:     by_value
      - .offset:         48
        .size:           4
        .value_kind:     hidden_block_count_x
      - .offset:         52
        .size:           4
        .value_kind:     hidden_block_count_y
      - .offset:         56
        .size:           4
        .value_kind:     hidden_block_count_z
      - .offset:         60
        .size:           2
        .value_kind:     hidden_group_size_x
      - .offset:         62
        .size:           2
        .value_kind:     hidden_group_size_y
      - .offset:         64
        .size:           2
        .value_kind:     hidden_group_size_z
      - .offset:         66
        .size:           2
        .value_kind:     hidden_remainder_x
      - .offset:         68
        .size:           2
        .value_kind:     hidden_remainder_y
      - .offset:         70
        .size:           2
        .value_kind:     hidden_remainder_z
      - .offset:         88
        .size:           8
        .value_kind:     hidden_global_offset_x
      - .offset:         96
        .size:           8
        .value_kind:     hidden_global_offset_y
      - .offset:         104
        .size:           8
        .value_kind:     hidden_global_offset_z
      - .offset:         112
        .size:           2
        .value_kind:     hidden_grid_dims
    .group_segment_fixed_size: 0
    .kernarg_segment_align: 8
    .kernarg_segment_size: 304
    .language:       OpenCL C
    .language_version:
      - 2
      - 0
    .max_flat_workgroup_size: 1024
    .name:           _ZN5aiter23act_and_mul_bias_kernelIffafTnPFfRKT2_EXadL_ZNS_11gelu_kernelIfEEfRKT_EELi16EEEvPT0_PS8_PKT1_PS2_il
    .private_segment_fixed_size: 0
    .sgpr_count:     48
    .sgpr_spill_count: 0
    .symbol:         _ZN5aiter23act_and_mul_bias_kernelIffafTnPFfRKT2_EXadL_ZNS_11gelu_kernelIfEEfRKT_EELi16EEEvPT0_PS8_PKT1_PS2_il.kd
    .uniform_work_group_size: 1
    .uses_dynamic_stack: false
    .vgpr_count:     75
    .vgpr_spill_count: 0
    .wavefront_size: 64
  - .agpr_count:     0
    .args:
      - .actual_access:  write_only
        .address_space:  global
        .offset:         0
        .size:           8
        .value_kind:     global_buffer
      - .actual_access:  read_only
        .address_space:  global
        .offset:         8
        .size:           8
        .value_kind:     global_buffer
      - .actual_access:  read_only
        .address_space:  global
        .offset:         16
        .size:           8
        .value_kind:     global_buffer
      - .actual_access:  read_only
        .address_space:  global
        .offset:         24
        .size:           8
        .value_kind:     global_buffer
      - .offset:         32
        .size:           4
        .value_kind:     by_value
      - .offset:         40
        .size:           8
        .value_kind:     by_value
      - .offset:         48
        .size:           4
        .value_kind:     hidden_block_count_x
      - .offset:         52
        .size:           4
        .value_kind:     hidden_block_count_y
      - .offset:         56
        .size:           4
        .value_kind:     hidden_block_count_z
      - .offset:         60
        .size:           2
        .value_kind:     hidden_group_size_x
      - .offset:         62
        .size:           2
        .value_kind:     hidden_group_size_y
      - .offset:         64
        .size:           2
        .value_kind:     hidden_group_size_z
      - .offset:         66
        .size:           2
        .value_kind:     hidden_remainder_x
      - .offset:         68
        .size:           2
        .value_kind:     hidden_remainder_y
      - .offset:         70
        .size:           2
        .value_kind:     hidden_remainder_z
      - .offset:         88
        .size:           8
        .value_kind:     hidden_global_offset_x
      - .offset:         96
        .size:           8
        .value_kind:     hidden_global_offset_y
      - .offset:         104
        .size:           8
        .value_kind:     hidden_global_offset_z
      - .offset:         112
        .size:           2
        .value_kind:     hidden_grid_dims
    .group_segment_fixed_size: 0
    .kernarg_segment_align: 8
    .kernarg_segment_size: 304
    .language:       OpenCL C
    .language_version:
      - 2
      - 0
    .max_flat_workgroup_size: 1024
    .name:           _ZN5aiter23act_and_mul_bias_kernelIffafTnPFfRKT2_EXadL_ZNS_11gelu_kernelIfEEfRKT_EELi8EEEvPT0_PS8_PKT1_PS2_il
    .private_segment_fixed_size: 0
    .sgpr_count:     48
    .sgpr_spill_count: 0
    .symbol:         _ZN5aiter23act_and_mul_bias_kernelIffafTnPFfRKT2_EXadL_ZNS_11gelu_kernelIfEEfRKT_EELi8EEEvPT0_PS8_PKT1_PS2_il.kd
    .uniform_work_group_size: 1
    .uses_dynamic_stack: false
    .vgpr_count:     43
    .vgpr_spill_count: 0
    .wavefront_size: 64
  - .agpr_count:     0
    .args:
      - .actual_access:  write_only
        .address_space:  global
        .offset:         0
        .size:           8
        .value_kind:     global_buffer
      - .actual_access:  read_only
        .address_space:  global
        .offset:         8
        .size:           8
        .value_kind:     global_buffer
      - .actual_access:  read_only
        .address_space:  global
        .offset:         16
        .size:           8
        .value_kind:     global_buffer
      - .actual_access:  read_only
        .address_space:  global
        .offset:         24
        .size:           8
        .value_kind:     global_buffer
      - .offset:         32
        .size:           4
        .value_kind:     by_value
      - .offset:         40
        .size:           8
        .value_kind:     by_value
      - .offset:         48
        .size:           4
        .value_kind:     hidden_block_count_x
      - .offset:         52
        .size:           4
        .value_kind:     hidden_block_count_y
      - .offset:         56
        .size:           4
        .value_kind:     hidden_block_count_z
      - .offset:         60
        .size:           2
        .value_kind:     hidden_group_size_x
      - .offset:         62
        .size:           2
        .value_kind:     hidden_group_size_y
      - .offset:         64
        .size:           2
        .value_kind:     hidden_group_size_z
      - .offset:         66
        .size:           2
        .value_kind:     hidden_remainder_x
      - .offset:         68
        .size:           2
        .value_kind:     hidden_remainder_y
      - .offset:         70
        .size:           2
        .value_kind:     hidden_remainder_z
      - .offset:         88
        .size:           8
        .value_kind:     hidden_global_offset_x
      - .offset:         96
        .size:           8
        .value_kind:     hidden_global_offset_y
      - .offset:         104
        .size:           8
        .value_kind:     hidden_global_offset_z
      - .offset:         112
        .size:           2
        .value_kind:     hidden_grid_dims
    .group_segment_fixed_size: 0
    .kernarg_segment_align: 8
    .kernarg_segment_size: 304
    .language:       OpenCL C
    .language_version:
      - 2
      - 0
    .max_flat_workgroup_size: 1024
    .name:           _ZN5aiter23act_and_mul_bias_kernelIffafTnPFfRKT2_EXadL_ZNS_11gelu_kernelIfEEfRKT_EELi4EEEvPT0_PS8_PKT1_PS2_il
    .private_segment_fixed_size: 0
    .sgpr_count:     48
    .sgpr_spill_count: 0
    .symbol:         _ZN5aiter23act_and_mul_bias_kernelIffafTnPFfRKT2_EXadL_ZNS_11gelu_kernelIfEEfRKT_EELi4EEEvPT0_PS8_PKT1_PS2_il.kd
    .uniform_work_group_size: 1
    .uses_dynamic_stack: false
    .vgpr_count:     27
    .vgpr_spill_count: 0
    .wavefront_size: 64
  - .agpr_count:     0
    .args:
      - .actual_access:  write_only
        .address_space:  global
        .offset:         0
        .size:           8
        .value_kind:     global_buffer
      - .actual_access:  read_only
        .address_space:  global
        .offset:         8
        .size:           8
        .value_kind:     global_buffer
      - .actual_access:  read_only
        .address_space:  global
        .offset:         16
        .size:           8
        .value_kind:     global_buffer
      - .actual_access:  read_only
        .address_space:  global
        .offset:         24
        .size:           8
        .value_kind:     global_buffer
      - .offset:         32
        .size:           4
        .value_kind:     by_value
      - .offset:         40
        .size:           8
        .value_kind:     by_value
      - .offset:         48
        .size:           4
        .value_kind:     hidden_block_count_x
      - .offset:         52
        .size:           4
        .value_kind:     hidden_block_count_y
      - .offset:         56
        .size:           4
        .value_kind:     hidden_block_count_z
      - .offset:         60
        .size:           2
        .value_kind:     hidden_group_size_x
      - .offset:         62
        .size:           2
        .value_kind:     hidden_group_size_y
      - .offset:         64
        .size:           2
        .value_kind:     hidden_group_size_z
      - .offset:         66
        .size:           2
        .value_kind:     hidden_remainder_x
      - .offset:         68
        .size:           2
        .value_kind:     hidden_remainder_y
      - .offset:         70
        .size:           2
        .value_kind:     hidden_remainder_z
      - .offset:         88
        .size:           8
        .value_kind:     hidden_global_offset_x
      - .offset:         96
        .size:           8
        .value_kind:     hidden_global_offset_y
      - .offset:         104
        .size:           8
        .value_kind:     hidden_global_offset_z
      - .offset:         112
        .size:           2
        .value_kind:     hidden_grid_dims
    .group_segment_fixed_size: 0
    .kernarg_segment_align: 8
    .kernarg_segment_size: 304
    .language:       OpenCL C
    .language_version:
      - 2
      - 0
    .max_flat_workgroup_size: 1024
    .name:           _ZN5aiter23act_and_mul_bias_kernelIffafTnPFfRKT2_EXadL_ZNS_11gelu_kernelIfEEfRKT_EELi2EEEvPT0_PS8_PKT1_PS2_il
    .private_segment_fixed_size: 0
    .sgpr_count:     48
    .sgpr_spill_count: 0
    .symbol:         _ZN5aiter23act_and_mul_bias_kernelIffafTnPFfRKT2_EXadL_ZNS_11gelu_kernelIfEEfRKT_EELi2EEEvPT0_PS8_PKT1_PS2_il.kd
    .uniform_work_group_size: 1
    .uses_dynamic_stack: false
    .vgpr_count:     20
    .vgpr_spill_count: 0
    .wavefront_size: 64
  - .agpr_count:     0
    .args:
      - .actual_access:  write_only
        .address_space:  global
        .offset:         0
        .size:           8
        .value_kind:     global_buffer
      - .actual_access:  read_only
        .address_space:  global
        .offset:         8
        .size:           8
        .value_kind:     global_buffer
      - .actual_access:  read_only
        .address_space:  global
        .offset:         16
        .size:           8
        .value_kind:     global_buffer
      - .actual_access:  read_only
        .address_space:  global
        .offset:         24
        .size:           8
        .value_kind:     global_buffer
      - .offset:         32
        .size:           4
        .value_kind:     by_value
      - .offset:         40
        .size:           8
        .value_kind:     by_value
      - .offset:         48
        .size:           4
        .value_kind:     hidden_block_count_x
      - .offset:         52
        .size:           4
        .value_kind:     hidden_block_count_y
      - .offset:         56
        .size:           4
        .value_kind:     hidden_block_count_z
      - .offset:         60
        .size:           2
        .value_kind:     hidden_group_size_x
      - .offset:         62
        .size:           2
        .value_kind:     hidden_group_size_y
      - .offset:         64
        .size:           2
        .value_kind:     hidden_group_size_z
      - .offset:         66
        .size:           2
        .value_kind:     hidden_remainder_x
      - .offset:         68
        .size:           2
        .value_kind:     hidden_remainder_y
      - .offset:         70
        .size:           2
        .value_kind:     hidden_remainder_z
      - .offset:         88
        .size:           8
        .value_kind:     hidden_global_offset_x
      - .offset:         96
        .size:           8
        .value_kind:     hidden_global_offset_y
      - .offset:         104
        .size:           8
        .value_kind:     hidden_global_offset_z
      - .offset:         112
        .size:           2
        .value_kind:     hidden_grid_dims
    .group_segment_fixed_size: 0
    .kernarg_segment_align: 8
    .kernarg_segment_size: 304
    .language:       OpenCL C
    .language_version:
      - 2
      - 0
    .max_flat_workgroup_size: 1024
    .name:           _ZN5aiter23act_and_mul_bias_kernelIffafTnPFfRKT2_EXadL_ZNS_11gelu_kernelIfEEfRKT_EELi1EEEvPT0_PS8_PKT1_PS2_il
    .private_segment_fixed_size: 0
    .sgpr_count:     46
    .sgpr_spill_count: 0
    .symbol:         _ZN5aiter23act_and_mul_bias_kernelIffafTnPFfRKT2_EXadL_ZNS_11gelu_kernelIfEEfRKT_EELi1EEEvPT0_PS8_PKT1_PS2_il.kd
    .uniform_work_group_size: 1
    .uses_dynamic_stack: false
    .vgpr_count:     14
    .vgpr_spill_count: 0
    .wavefront_size: 64
  - .agpr_count:     0
    .args:
      - .actual_access:  write_only
        .address_space:  global
        .offset:         0
        .size:           8
        .value_kind:     global_buffer
      - .actual_access:  read_only
        .address_space:  global
        .offset:         8
        .size:           8
        .value_kind:     global_buffer
      - .actual_access:  read_only
        .address_space:  global
        .offset:         16
        .size:           8
        .value_kind:     global_buffer
      - .actual_access:  read_only
        .address_space:  global
        .offset:         24
        .size:           8
        .value_kind:     global_buffer
      - .offset:         32
        .size:           4
        .value_kind:     by_value
      - .offset:         40
        .size:           8
        .value_kind:     by_value
      - .offset:         48
        .size:           4
        .value_kind:     hidden_block_count_x
      - .offset:         52
        .size:           4
        .value_kind:     hidden_block_count_y
      - .offset:         56
        .size:           4
        .value_kind:     hidden_block_count_z
      - .offset:         60
        .size:           2
        .value_kind:     hidden_group_size_x
      - .offset:         62
        .size:           2
        .value_kind:     hidden_group_size_y
      - .offset:         64
        .size:           2
        .value_kind:     hidden_group_size_z
      - .offset:         66
        .size:           2
        .value_kind:     hidden_remainder_x
      - .offset:         68
        .size:           2
        .value_kind:     hidden_remainder_y
      - .offset:         70
        .size:           2
        .value_kind:     hidden_remainder_z
      - .offset:         88
        .size:           8
        .value_kind:     hidden_global_offset_x
      - .offset:         96
        .size:           8
        .value_kind:     hidden_global_offset_y
      - .offset:         104
        .size:           8
        .value_kind:     hidden_global_offset_z
      - .offset:         112
        .size:           2
        .value_kind:     hidden_grid_dims
    .group_segment_fixed_size: 0
    .kernarg_segment_align: 8
    .kernarg_segment_size: 304
    .language:       OpenCL C
    .language_version:
      - 2
      - 0
    .max_flat_workgroup_size: 1024
    .name:           _ZN5aiter23act_and_mul_bias_kernelIDF16_DF16_afTnPFfRKT2_EXadL_ZNS_11gelu_kernelIfEEfRKT_EELi32EEEvPT0_PS8_PKT1_PS2_il
    .private_segment_fixed_size: 0
    .sgpr_count:     50
    .sgpr_spill_count: 0
    .symbol:         _ZN5aiter23act_and_mul_bias_kernelIDF16_DF16_afTnPFfRKT2_EXadL_ZNS_11gelu_kernelIfEEfRKT_EELi32EEEvPT0_PS8_PKT1_PS2_il.kd
    .uniform_work_group_size: 1
    .uses_dynamic_stack: false
    .vgpr_count:     108
    .vgpr_spill_count: 0
    .wavefront_size: 64
  - .agpr_count:     0
    .args:
      - .actual_access:  write_only
        .address_space:  global
        .offset:         0
        .size:           8
        .value_kind:     global_buffer
      - .actual_access:  read_only
        .address_space:  global
        .offset:         8
        .size:           8
        .value_kind:     global_buffer
      - .actual_access:  read_only
        .address_space:  global
        .offset:         16
        .size:           8
        .value_kind:     global_buffer
      - .actual_access:  read_only
        .address_space:  global
        .offset:         24
        .size:           8
        .value_kind:     global_buffer
      - .offset:         32
        .size:           4
        .value_kind:     by_value
      - .offset:         40
        .size:           8
        .value_kind:     by_value
      - .offset:         48
        .size:           4
        .value_kind:     hidden_block_count_x
      - .offset:         52
        .size:           4
        .value_kind:     hidden_block_count_y
      - .offset:         56
        .size:           4
        .value_kind:     hidden_block_count_z
      - .offset:         60
        .size:           2
        .value_kind:     hidden_group_size_x
      - .offset:         62
        .size:           2
        .value_kind:     hidden_group_size_y
      - .offset:         64
        .size:           2
        .value_kind:     hidden_group_size_z
      - .offset:         66
        .size:           2
        .value_kind:     hidden_remainder_x
      - .offset:         68
        .size:           2
        .value_kind:     hidden_remainder_y
      - .offset:         70
        .size:           2
        .value_kind:     hidden_remainder_z
      - .offset:         88
        .size:           8
        .value_kind:     hidden_global_offset_x
      - .offset:         96
        .size:           8
        .value_kind:     hidden_global_offset_y
      - .offset:         104
        .size:           8
        .value_kind:     hidden_global_offset_z
      - .offset:         112
        .size:           2
        .value_kind:     hidden_grid_dims
    .group_segment_fixed_size: 0
    .kernarg_segment_align: 8
    .kernarg_segment_size: 304
    .language:       OpenCL C
    .language_version:
      - 2
      - 0
    .max_flat_workgroup_size: 1024
    .name:           _ZN5aiter23act_and_mul_bias_kernelIDF16_DF16_afTnPFfRKT2_EXadL_ZNS_11gelu_kernelIfEEfRKT_EELi16EEEvPT0_PS8_PKT1_PS2_il
    .private_segment_fixed_size: 0
    .sgpr_count:     48
    .sgpr_spill_count: 0
    .symbol:         _ZN5aiter23act_and_mul_bias_kernelIDF16_DF16_afTnPFfRKT2_EXadL_ZNS_11gelu_kernelIfEEfRKT_EELi16EEEvPT0_PS8_PKT1_PS2_il.kd
    .uniform_work_group_size: 1
    .uses_dynamic_stack: false
    .vgpr_count:     60
    .vgpr_spill_count: 0
    .wavefront_size: 64
  - .agpr_count:     0
    .args:
      - .actual_access:  write_only
        .address_space:  global
        .offset:         0
        .size:           8
        .value_kind:     global_buffer
      - .actual_access:  read_only
        .address_space:  global
        .offset:         8
        .size:           8
        .value_kind:     global_buffer
      - .actual_access:  read_only
        .address_space:  global
        .offset:         16
        .size:           8
        .value_kind:     global_buffer
      - .actual_access:  read_only
        .address_space:  global
        .offset:         24
        .size:           8
        .value_kind:     global_buffer
      - .offset:         32
        .size:           4
        .value_kind:     by_value
      - .offset:         40
        .size:           8
        .value_kind:     by_value
      - .offset:         48
        .size:           4
        .value_kind:     hidden_block_count_x
      - .offset:         52
        .size:           4
        .value_kind:     hidden_block_count_y
      - .offset:         56
        .size:           4
        .value_kind:     hidden_block_count_z
      - .offset:         60
        .size:           2
        .value_kind:     hidden_group_size_x
      - .offset:         62
        .size:           2
        .value_kind:     hidden_group_size_y
      - .offset:         64
        .size:           2
        .value_kind:     hidden_group_size_z
      - .offset:         66
        .size:           2
        .value_kind:     hidden_remainder_x
      - .offset:         68
        .size:           2
        .value_kind:     hidden_remainder_y
      - .offset:         70
        .size:           2
        .value_kind:     hidden_remainder_z
      - .offset:         88
        .size:           8
        .value_kind:     hidden_global_offset_x
      - .offset:         96
        .size:           8
        .value_kind:     hidden_global_offset_y
      - .offset:         104
        .size:           8
        .value_kind:     hidden_global_offset_z
      - .offset:         112
        .size:           2
        .value_kind:     hidden_grid_dims
    .group_segment_fixed_size: 0
    .kernarg_segment_align: 8
    .kernarg_segment_size: 304
    .language:       OpenCL C
    .language_version:
      - 2
      - 0
    .max_flat_workgroup_size: 1024
    .name:           _ZN5aiter23act_and_mul_bias_kernelIDF16_DF16_afTnPFfRKT2_EXadL_ZNS_11gelu_kernelIfEEfRKT_EELi8EEEvPT0_PS8_PKT1_PS2_il
    .private_segment_fixed_size: 0
    .sgpr_count:     48
    .sgpr_spill_count: 0
    .symbol:         _ZN5aiter23act_and_mul_bias_kernelIDF16_DF16_afTnPFfRKT2_EXadL_ZNS_11gelu_kernelIfEEfRKT_EELi8EEEvPT0_PS8_PKT1_PS2_il.kd
    .uniform_work_group_size: 1
    .uses_dynamic_stack: false
    .vgpr_count:     36
    .vgpr_spill_count: 0
    .wavefront_size: 64
  - .agpr_count:     0
    .args:
      - .actual_access:  write_only
        .address_space:  global
        .offset:         0
        .size:           8
        .value_kind:     global_buffer
      - .actual_access:  read_only
        .address_space:  global
        .offset:         8
        .size:           8
        .value_kind:     global_buffer
      - .actual_access:  read_only
        .address_space:  global
        .offset:         16
        .size:           8
        .value_kind:     global_buffer
      - .actual_access:  read_only
        .address_space:  global
        .offset:         24
        .size:           8
        .value_kind:     global_buffer
      - .offset:         32
        .size:           4
        .value_kind:     by_value
      - .offset:         40
        .size:           8
        .value_kind:     by_value
      - .offset:         48
        .size:           4
        .value_kind:     hidden_block_count_x
      - .offset:         52
        .size:           4
        .value_kind:     hidden_block_count_y
      - .offset:         56
        .size:           4
        .value_kind:     hidden_block_count_z
      - .offset:         60
        .size:           2
        .value_kind:     hidden_group_size_x
      - .offset:         62
        .size:           2
        .value_kind:     hidden_group_size_y
      - .offset:         64
        .size:           2
        .value_kind:     hidden_group_size_z
      - .offset:         66
        .size:           2
        .value_kind:     hidden_remainder_x
      - .offset:         68
        .size:           2
        .value_kind:     hidden_remainder_y
      - .offset:         70
        .size:           2
        .value_kind:     hidden_remainder_z
      - .offset:         88
        .size:           8
        .value_kind:     hidden_global_offset_x
      - .offset:         96
        .size:           8
        .value_kind:     hidden_global_offset_y
      - .offset:         104
        .size:           8
        .value_kind:     hidden_global_offset_z
      - .offset:         112
        .size:           2
        .value_kind:     hidden_grid_dims
    .group_segment_fixed_size: 0
    .kernarg_segment_align: 8
    .kernarg_segment_size: 304
    .language:       OpenCL C
    .language_version:
      - 2
      - 0
    .max_flat_workgroup_size: 1024
    .name:           _ZN5aiter23act_and_mul_bias_kernelIDF16_DF16_afTnPFfRKT2_EXadL_ZNS_11gelu_kernelIfEEfRKT_EELi4EEEvPT0_PS8_PKT1_PS2_il
    .private_segment_fixed_size: 0
    .sgpr_count:     48
    .sgpr_spill_count: 0
    .symbol:         _ZN5aiter23act_and_mul_bias_kernelIDF16_DF16_afTnPFfRKT2_EXadL_ZNS_11gelu_kernelIfEEfRKT_EELi4EEEvPT0_PS8_PKT1_PS2_il.kd
    .uniform_work_group_size: 1
    .uses_dynamic_stack: false
    .vgpr_count:     24
    .vgpr_spill_count: 0
    .wavefront_size: 64
  - .agpr_count:     0
    .args:
      - .actual_access:  write_only
        .address_space:  global
        .offset:         0
        .size:           8
        .value_kind:     global_buffer
      - .actual_access:  read_only
        .address_space:  global
        .offset:         8
        .size:           8
        .value_kind:     global_buffer
      - .actual_access:  read_only
        .address_space:  global
        .offset:         16
        .size:           8
        .value_kind:     global_buffer
      - .actual_access:  read_only
        .address_space:  global
        .offset:         24
        .size:           8
        .value_kind:     global_buffer
      - .offset:         32
        .size:           4
        .value_kind:     by_value
      - .offset:         40
        .size:           8
        .value_kind:     by_value
      - .offset:         48
        .size:           4
        .value_kind:     hidden_block_count_x
      - .offset:         52
        .size:           4
        .value_kind:     hidden_block_count_y
      - .offset:         56
        .size:           4
        .value_kind:     hidden_block_count_z
      - .offset:         60
        .size:           2
        .value_kind:     hidden_group_size_x
      - .offset:         62
        .size:           2
        .value_kind:     hidden_group_size_y
      - .offset:         64
        .size:           2
        .value_kind:     hidden_group_size_z
      - .offset:         66
        .size:           2
        .value_kind:     hidden_remainder_x
      - .offset:         68
        .size:           2
        .value_kind:     hidden_remainder_y
      - .offset:         70
        .size:           2
        .value_kind:     hidden_remainder_z
      - .offset:         88
        .size:           8
        .value_kind:     hidden_global_offset_x
      - .offset:         96
        .size:           8
        .value_kind:     hidden_global_offset_y
      - .offset:         104
        .size:           8
        .value_kind:     hidden_global_offset_z
      - .offset:         112
        .size:           2
        .value_kind:     hidden_grid_dims
    .group_segment_fixed_size: 0
    .kernarg_segment_align: 8
    .kernarg_segment_size: 304
    .language:       OpenCL C
    .language_version:
      - 2
      - 0
    .max_flat_workgroup_size: 1024
    .name:           _ZN5aiter23act_and_mul_bias_kernelIDF16_DF16_afTnPFfRKT2_EXadL_ZNS_11gelu_kernelIfEEfRKT_EELi2EEEvPT0_PS8_PKT1_PS2_il
    .private_segment_fixed_size: 0
    .sgpr_count:     48
    .sgpr_spill_count: 0
    .symbol:         _ZN5aiter23act_and_mul_bias_kernelIDF16_DF16_afTnPFfRKT2_EXadL_ZNS_11gelu_kernelIfEEfRKT_EELi2EEEvPT0_PS8_PKT1_PS2_il.kd
    .uniform_work_group_size: 1
    .uses_dynamic_stack: false
    .vgpr_count:     20
    .vgpr_spill_count: 0
    .wavefront_size: 64
  - .agpr_count:     0
    .args:
      - .actual_access:  write_only
        .address_space:  global
        .offset:         0
        .size:           8
        .value_kind:     global_buffer
      - .actual_access:  read_only
        .address_space:  global
        .offset:         8
        .size:           8
        .value_kind:     global_buffer
      - .actual_access:  read_only
        .address_space:  global
        .offset:         16
        .size:           8
        .value_kind:     global_buffer
      - .actual_access:  read_only
        .address_space:  global
        .offset:         24
        .size:           8
        .value_kind:     global_buffer
      - .offset:         32
        .size:           4
        .value_kind:     by_value
      - .offset:         40
        .size:           8
        .value_kind:     by_value
      - .offset:         48
        .size:           4
        .value_kind:     hidden_block_count_x
      - .offset:         52
        .size:           4
        .value_kind:     hidden_block_count_y
      - .offset:         56
        .size:           4
        .value_kind:     hidden_block_count_z
      - .offset:         60
        .size:           2
        .value_kind:     hidden_group_size_x
      - .offset:         62
        .size:           2
        .value_kind:     hidden_group_size_y
      - .offset:         64
        .size:           2
        .value_kind:     hidden_group_size_z
      - .offset:         66
        .size:           2
        .value_kind:     hidden_remainder_x
      - .offset:         68
        .size:           2
        .value_kind:     hidden_remainder_y
      - .offset:         70
        .size:           2
        .value_kind:     hidden_remainder_z
      - .offset:         88
        .size:           8
        .value_kind:     hidden_global_offset_x
      - .offset:         96
        .size:           8
        .value_kind:     hidden_global_offset_y
      - .offset:         104
        .size:           8
        .value_kind:     hidden_global_offset_z
      - .offset:         112
        .size:           2
        .value_kind:     hidden_grid_dims
    .group_segment_fixed_size: 0
    .kernarg_segment_align: 8
    .kernarg_segment_size: 304
    .language:       OpenCL C
    .language_version:
      - 2
      - 0
    .max_flat_workgroup_size: 1024
    .name:           _ZN5aiter23act_and_mul_bias_kernelIDF16_DF16_afTnPFfRKT2_EXadL_ZNS_11gelu_kernelIfEEfRKT_EELi1EEEvPT0_PS8_PKT1_PS2_il
    .private_segment_fixed_size: 0
    .sgpr_count:     48
    .sgpr_spill_count: 0
    .symbol:         _ZN5aiter23act_and_mul_bias_kernelIDF16_DF16_afTnPFfRKT2_EXadL_ZNS_11gelu_kernelIfEEfRKT_EELi1EEEvPT0_PS8_PKT1_PS2_il.kd
    .uniform_work_group_size: 1
    .uses_dynamic_stack: false
    .vgpr_count:     15
    .vgpr_spill_count: 0
    .wavefront_size: 64
  - .agpr_count:     0
    .args:
      - .actual_access:  write_only
        .address_space:  global
        .offset:         0
        .size:           8
        .value_kind:     global_buffer
      - .actual_access:  read_only
        .address_space:  global
        .offset:         8
        .size:           8
        .value_kind:     global_buffer
      - .actual_access:  read_only
        .address_space:  global
        .offset:         16
        .size:           8
        .value_kind:     global_buffer
      - .actual_access:  read_only
        .address_space:  global
        .offset:         24
        .size:           8
        .value_kind:     global_buffer
      - .offset:         32
        .size:           4
        .value_kind:     by_value
      - .offset:         40
        .size:           8
        .value_kind:     by_value
      - .offset:         48
        .size:           4
        .value_kind:     hidden_block_count_x
      - .offset:         52
        .size:           4
        .value_kind:     hidden_block_count_y
      - .offset:         56
        .size:           4
        .value_kind:     hidden_block_count_z
      - .offset:         60
        .size:           2
        .value_kind:     hidden_group_size_x
      - .offset:         62
        .size:           2
        .value_kind:     hidden_group_size_y
      - .offset:         64
        .size:           2
        .value_kind:     hidden_group_size_z
      - .offset:         66
        .size:           2
        .value_kind:     hidden_remainder_x
      - .offset:         68
        .size:           2
        .value_kind:     hidden_remainder_y
      - .offset:         70
        .size:           2
        .value_kind:     hidden_remainder_z
      - .offset:         88
        .size:           8
        .value_kind:     hidden_global_offset_x
      - .offset:         96
        .size:           8
        .value_kind:     hidden_global_offset_y
      - .offset:         104
        .size:           8
        .value_kind:     hidden_global_offset_z
      - .offset:         112
        .size:           2
        .value_kind:     hidden_grid_dims
    .group_segment_fixed_size: 0
    .kernarg_segment_align: 8
    .kernarg_segment_size: 304
    .language:       OpenCL C
    .language_version:
      - 2
      - 0
    .max_flat_workgroup_size: 1024
    .name:           _ZN5aiter23act_and_mul_bias_kernelIttafTnPFfRKT2_EXadL_ZNS_11gelu_kernelIfEEfRKT_EELi32EEEvPT0_PS8_PKT1_PS2_il
    .private_segment_fixed_size: 0
    .sgpr_count:     52
    .sgpr_spill_count: 0
    .symbol:         _ZN5aiter23act_and_mul_bias_kernelIttafTnPFfRKT2_EXadL_ZNS_11gelu_kernelIfEEfRKT_EELi32EEEvPT0_PS8_PKT1_PS2_il.kd
    .uniform_work_group_size: 1
    .uses_dynamic_stack: false
    .vgpr_count:     108
    .vgpr_spill_count: 0
    .wavefront_size: 64
  - .agpr_count:     0
    .args:
      - .actual_access:  write_only
        .address_space:  global
        .offset:         0
        .size:           8
        .value_kind:     global_buffer
      - .actual_access:  read_only
        .address_space:  global
        .offset:         8
        .size:           8
        .value_kind:     global_buffer
      - .actual_access:  read_only
        .address_space:  global
        .offset:         16
        .size:           8
        .value_kind:     global_buffer
      - .actual_access:  read_only
        .address_space:  global
        .offset:         24
        .size:           8
        .value_kind:     global_buffer
      - .offset:         32
        .size:           4
        .value_kind:     by_value
      - .offset:         40
        .size:           8
        .value_kind:     by_value
      - .offset:         48
        .size:           4
        .value_kind:     hidden_block_count_x
      - .offset:         52
        .size:           4
        .value_kind:     hidden_block_count_y
      - .offset:         56
        .size:           4
        .value_kind:     hidden_block_count_z
      - .offset:         60
        .size:           2
        .value_kind:     hidden_group_size_x
      - .offset:         62
        .size:           2
        .value_kind:     hidden_group_size_y
      - .offset:         64
        .size:           2
        .value_kind:     hidden_group_size_z
      - .offset:         66
        .size:           2
        .value_kind:     hidden_remainder_x
      - .offset:         68
        .size:           2
        .value_kind:     hidden_remainder_y
      - .offset:         70
        .size:           2
        .value_kind:     hidden_remainder_z
      - .offset:         88
        .size:           8
        .value_kind:     hidden_global_offset_x
      - .offset:         96
        .size:           8
        .value_kind:     hidden_global_offset_y
      - .offset:         104
        .size:           8
        .value_kind:     hidden_global_offset_z
      - .offset:         112
        .size:           2
        .value_kind:     hidden_grid_dims
    .group_segment_fixed_size: 0
    .kernarg_segment_align: 8
    .kernarg_segment_size: 304
    .language:       OpenCL C
    .language_version:
      - 2
      - 0
    .max_flat_workgroup_size: 1024
    .name:           _ZN5aiter23act_and_mul_bias_kernelIttafTnPFfRKT2_EXadL_ZNS_11gelu_kernelIfEEfRKT_EELi16EEEvPT0_PS8_PKT1_PS2_il
    .private_segment_fixed_size: 0
    .sgpr_count:     48
    .sgpr_spill_count: 0
    .symbol:         _ZN5aiter23act_and_mul_bias_kernelIttafTnPFfRKT2_EXadL_ZNS_11gelu_kernelIfEEfRKT_EELi16EEEvPT0_PS8_PKT1_PS2_il.kd
    .uniform_work_group_size: 1
    .uses_dynamic_stack: false
    .vgpr_count:     60
    .vgpr_spill_count: 0
    .wavefront_size: 64
  - .agpr_count:     0
    .args:
      - .actual_access:  write_only
        .address_space:  global
        .offset:         0
        .size:           8
        .value_kind:     global_buffer
      - .actual_access:  read_only
        .address_space:  global
        .offset:         8
        .size:           8
        .value_kind:     global_buffer
      - .actual_access:  read_only
        .address_space:  global
        .offset:         16
        .size:           8
        .value_kind:     global_buffer
      - .actual_access:  read_only
        .address_space:  global
        .offset:         24
        .size:           8
        .value_kind:     global_buffer
      - .offset:         32
        .size:           4
        .value_kind:     by_value
      - .offset:         40
        .size:           8
        .value_kind:     by_value
      - .offset:         48
        .size:           4
        .value_kind:     hidden_block_count_x
      - .offset:         52
        .size:           4
        .value_kind:     hidden_block_count_y
      - .offset:         56
        .size:           4
        .value_kind:     hidden_block_count_z
      - .offset:         60
        .size:           2
        .value_kind:     hidden_group_size_x
      - .offset:         62
        .size:           2
        .value_kind:     hidden_group_size_y
      - .offset:         64
        .size:           2
        .value_kind:     hidden_group_size_z
      - .offset:         66
        .size:           2
        .value_kind:     hidden_remainder_x
      - .offset:         68
        .size:           2
        .value_kind:     hidden_remainder_y
      - .offset:         70
        .size:           2
        .value_kind:     hidden_remainder_z
      - .offset:         88
        .size:           8
        .value_kind:     hidden_global_offset_x
      - .offset:         96
        .size:           8
        .value_kind:     hidden_global_offset_y
      - .offset:         104
        .size:           8
        .value_kind:     hidden_global_offset_z
      - .offset:         112
        .size:           2
        .value_kind:     hidden_grid_dims
    .group_segment_fixed_size: 0
    .kernarg_segment_align: 8
    .kernarg_segment_size: 304
    .language:       OpenCL C
    .language_version:
      - 2
      - 0
    .max_flat_workgroup_size: 1024
    .name:           _ZN5aiter23act_and_mul_bias_kernelIttafTnPFfRKT2_EXadL_ZNS_11gelu_kernelIfEEfRKT_EELi8EEEvPT0_PS8_PKT1_PS2_il
    .private_segment_fixed_size: 0
    .sgpr_count:     48
    .sgpr_spill_count: 0
    .symbol:         _ZN5aiter23act_and_mul_bias_kernelIttafTnPFfRKT2_EXadL_ZNS_11gelu_kernelIfEEfRKT_EELi8EEEvPT0_PS8_PKT1_PS2_il.kd
    .uniform_work_group_size: 1
    .uses_dynamic_stack: false
    .vgpr_count:     36
    .vgpr_spill_count: 0
    .wavefront_size: 64
  - .agpr_count:     0
    .args:
      - .actual_access:  write_only
        .address_space:  global
        .offset:         0
        .size:           8
        .value_kind:     global_buffer
      - .actual_access:  read_only
        .address_space:  global
        .offset:         8
        .size:           8
        .value_kind:     global_buffer
      - .actual_access:  read_only
        .address_space:  global
        .offset:         16
        .size:           8
        .value_kind:     global_buffer
      - .actual_access:  read_only
        .address_space:  global
        .offset:         24
        .size:           8
        .value_kind:     global_buffer
      - .offset:         32
        .size:           4
        .value_kind:     by_value
      - .offset:         40
        .size:           8
        .value_kind:     by_value
      - .offset:         48
        .size:           4
        .value_kind:     hidden_block_count_x
      - .offset:         52
        .size:           4
        .value_kind:     hidden_block_count_y
      - .offset:         56
        .size:           4
        .value_kind:     hidden_block_count_z
      - .offset:         60
        .size:           2
        .value_kind:     hidden_group_size_x
      - .offset:         62
        .size:           2
        .value_kind:     hidden_group_size_y
      - .offset:         64
        .size:           2
        .value_kind:     hidden_group_size_z
      - .offset:         66
        .size:           2
        .value_kind:     hidden_remainder_x
      - .offset:         68
        .size:           2
        .value_kind:     hidden_remainder_y
      - .offset:         70
        .size:           2
        .value_kind:     hidden_remainder_z
      - .offset:         88
        .size:           8
        .value_kind:     hidden_global_offset_x
      - .offset:         96
        .size:           8
        .value_kind:     hidden_global_offset_y
      - .offset:         104
        .size:           8
        .value_kind:     hidden_global_offset_z
      - .offset:         112
        .size:           2
        .value_kind:     hidden_grid_dims
    .group_segment_fixed_size: 0
    .kernarg_segment_align: 8
    .kernarg_segment_size: 304
    .language:       OpenCL C
    .language_version:
      - 2
      - 0
    .max_flat_workgroup_size: 1024
    .name:           _ZN5aiter23act_and_mul_bias_kernelIttafTnPFfRKT2_EXadL_ZNS_11gelu_kernelIfEEfRKT_EELi4EEEvPT0_PS8_PKT1_PS2_il
    .private_segment_fixed_size: 0
    .sgpr_count:     48
    .sgpr_spill_count: 0
    .symbol:         _ZN5aiter23act_and_mul_bias_kernelIttafTnPFfRKT2_EXadL_ZNS_11gelu_kernelIfEEfRKT_EELi4EEEvPT0_PS8_PKT1_PS2_il.kd
    .uniform_work_group_size: 1
    .uses_dynamic_stack: false
    .vgpr_count:     24
    .vgpr_spill_count: 0
    .wavefront_size: 64
  - .agpr_count:     0
    .args:
      - .actual_access:  write_only
        .address_space:  global
        .offset:         0
        .size:           8
        .value_kind:     global_buffer
      - .actual_access:  read_only
        .address_space:  global
        .offset:         8
        .size:           8
        .value_kind:     global_buffer
      - .actual_access:  read_only
        .address_space:  global
        .offset:         16
        .size:           8
        .value_kind:     global_buffer
      - .actual_access:  read_only
        .address_space:  global
        .offset:         24
        .size:           8
        .value_kind:     global_buffer
      - .offset:         32
        .size:           4
        .value_kind:     by_value
      - .offset:         40
        .size:           8
        .value_kind:     by_value
      - .offset:         48
        .size:           4
        .value_kind:     hidden_block_count_x
      - .offset:         52
        .size:           4
        .value_kind:     hidden_block_count_y
      - .offset:         56
        .size:           4
        .value_kind:     hidden_block_count_z
      - .offset:         60
        .size:           2
        .value_kind:     hidden_group_size_x
      - .offset:         62
        .size:           2
        .value_kind:     hidden_group_size_y
      - .offset:         64
        .size:           2
        .value_kind:     hidden_group_size_z
      - .offset:         66
        .size:           2
        .value_kind:     hidden_remainder_x
      - .offset:         68
        .size:           2
        .value_kind:     hidden_remainder_y
      - .offset:         70
        .size:           2
        .value_kind:     hidden_remainder_z
      - .offset:         88
        .size:           8
        .value_kind:     hidden_global_offset_x
      - .offset:         96
        .size:           8
        .value_kind:     hidden_global_offset_y
      - .offset:         104
        .size:           8
        .value_kind:     hidden_global_offset_z
      - .offset:         112
        .size:           2
        .value_kind:     hidden_grid_dims
    .group_segment_fixed_size: 0
    .kernarg_segment_align: 8
    .kernarg_segment_size: 304
    .language:       OpenCL C
    .language_version:
      - 2
      - 0
    .max_flat_workgroup_size: 1024
    .name:           _ZN5aiter23act_and_mul_bias_kernelIttafTnPFfRKT2_EXadL_ZNS_11gelu_kernelIfEEfRKT_EELi2EEEvPT0_PS8_PKT1_PS2_il
    .private_segment_fixed_size: 0
    .sgpr_count:     50
    .sgpr_spill_count: 0
    .symbol:         _ZN5aiter23act_and_mul_bias_kernelIttafTnPFfRKT2_EXadL_ZNS_11gelu_kernelIfEEfRKT_EELi2EEEvPT0_PS8_PKT1_PS2_il.kd
    .uniform_work_group_size: 1
    .uses_dynamic_stack: false
    .vgpr_count:     20
    .vgpr_spill_count: 0
    .wavefront_size: 64
  - .agpr_count:     0
    .args:
      - .actual_access:  write_only
        .address_space:  global
        .offset:         0
        .size:           8
        .value_kind:     global_buffer
      - .actual_access:  read_only
        .address_space:  global
        .offset:         8
        .size:           8
        .value_kind:     global_buffer
      - .actual_access:  read_only
        .address_space:  global
        .offset:         16
        .size:           8
        .value_kind:     global_buffer
      - .actual_access:  read_only
        .address_space:  global
        .offset:         24
        .size:           8
        .value_kind:     global_buffer
      - .offset:         32
        .size:           4
        .value_kind:     by_value
      - .offset:         40
        .size:           8
        .value_kind:     by_value
      - .offset:         48
        .size:           4
        .value_kind:     hidden_block_count_x
      - .offset:         52
        .size:           4
        .value_kind:     hidden_block_count_y
      - .offset:         56
        .size:           4
        .value_kind:     hidden_block_count_z
      - .offset:         60
        .size:           2
        .value_kind:     hidden_group_size_x
      - .offset:         62
        .size:           2
        .value_kind:     hidden_group_size_y
      - .offset:         64
        .size:           2
        .value_kind:     hidden_group_size_z
      - .offset:         66
        .size:           2
        .value_kind:     hidden_remainder_x
      - .offset:         68
        .size:           2
        .value_kind:     hidden_remainder_y
      - .offset:         70
        .size:           2
        .value_kind:     hidden_remainder_z
      - .offset:         88
        .size:           8
        .value_kind:     hidden_global_offset_x
      - .offset:         96
        .size:           8
        .value_kind:     hidden_global_offset_y
      - .offset:         104
        .size:           8
        .value_kind:     hidden_global_offset_z
      - .offset:         112
        .size:           2
        .value_kind:     hidden_grid_dims
    .group_segment_fixed_size: 0
    .kernarg_segment_align: 8
    .kernarg_segment_size: 304
    .language:       OpenCL C
    .language_version:
      - 2
      - 0
    .max_flat_workgroup_size: 1024
    .name:           _ZN5aiter23act_and_mul_bias_kernelIttafTnPFfRKT2_EXadL_ZNS_11gelu_kernelIfEEfRKT_EELi1EEEvPT0_PS8_PKT1_PS2_il
    .private_segment_fixed_size: 0
    .sgpr_count:     48
    .sgpr_spill_count: 0
    .symbol:         _ZN5aiter23act_and_mul_bias_kernelIttafTnPFfRKT2_EXadL_ZNS_11gelu_kernelIfEEfRKT_EELi1EEEvPT0_PS8_PKT1_PS2_il.kd
    .uniform_work_group_size: 1
    .uses_dynamic_stack: false
    .vgpr_count:     15
    .vgpr_spill_count: 0
    .wavefront_size: 64
  - .agpr_count:     0
    .args:
      - .actual_access:  write_only
        .address_space:  global
        .offset:         0
        .size:           8
        .value_kind:     global_buffer
      - .actual_access:  read_only
        .address_space:  global
        .offset:         8
        .size:           8
        .value_kind:     global_buffer
      - .actual_access:  read_only
        .address_space:  global
        .offset:         16
        .size:           8
        .value_kind:     global_buffer
      - .actual_access:  read_only
        .address_space:  global
        .offset:         24
        .size:           8
        .value_kind:     global_buffer
      - .offset:         32
        .size:           4
        .value_kind:     by_value
      - .offset:         40
        .size:           8
        .value_kind:     by_value
      - .offset:         48
        .size:           4
        .value_kind:     hidden_block_count_x
      - .offset:         52
        .size:           4
        .value_kind:     hidden_block_count_y
      - .offset:         56
        .size:           4
        .value_kind:     hidden_block_count_z
      - .offset:         60
        .size:           2
        .value_kind:     hidden_group_size_x
      - .offset:         62
        .size:           2
        .value_kind:     hidden_group_size_y
      - .offset:         64
        .size:           2
        .value_kind:     hidden_group_size_z
      - .offset:         66
        .size:           2
        .value_kind:     hidden_remainder_x
      - .offset:         68
        .size:           2
        .value_kind:     hidden_remainder_y
      - .offset:         70
        .size:           2
        .value_kind:     hidden_remainder_z
      - .offset:         88
        .size:           8
        .value_kind:     hidden_global_offset_x
      - .offset:         96
        .size:           8
        .value_kind:     hidden_global_offset_y
      - .offset:         104
        .size:           8
        .value_kind:     hidden_global_offset_z
      - .offset:         112
        .size:           2
        .value_kind:     hidden_grid_dims
    .group_segment_fixed_size: 0
    .kernarg_segment_align: 8
    .kernarg_segment_size: 304
    .language:       OpenCL C
    .language_version:
      - 2
      - 0
    .max_flat_workgroup_size: 1024
    .name:           _ZN5aiter23act_and_mul_bias_kernelIftsfTnPFfRKT2_EXadL_ZNS_11gelu_kernelIfEEfRKT_EELi16EEEvPT0_PS8_PKT1_PS2_il
    .private_segment_fixed_size: 0
    .sgpr_count:     46
    .sgpr_spill_count: 0
    .symbol:         _ZN5aiter23act_and_mul_bias_kernelIftsfTnPFfRKT2_EXadL_ZNS_11gelu_kernelIfEEfRKT_EELi16EEEvPT0_PS8_PKT1_PS2_il.kd
    .uniform_work_group_size: 1
    .uses_dynamic_stack: false
    .vgpr_count:     74
    .vgpr_spill_count: 0
    .wavefront_size: 64
  - .agpr_count:     0
    .args:
      - .actual_access:  write_only
        .address_space:  global
        .offset:         0
        .size:           8
        .value_kind:     global_buffer
      - .actual_access:  read_only
        .address_space:  global
        .offset:         8
        .size:           8
        .value_kind:     global_buffer
      - .actual_access:  read_only
        .address_space:  global
        .offset:         16
        .size:           8
        .value_kind:     global_buffer
      - .actual_access:  read_only
        .address_space:  global
        .offset:         24
        .size:           8
        .value_kind:     global_buffer
      - .offset:         32
        .size:           4
        .value_kind:     by_value
      - .offset:         40
        .size:           8
        .value_kind:     by_value
      - .offset:         48
        .size:           4
        .value_kind:     hidden_block_count_x
      - .offset:         52
        .size:           4
        .value_kind:     hidden_block_count_y
      - .offset:         56
        .size:           4
        .value_kind:     hidden_block_count_z
      - .offset:         60
        .size:           2
        .value_kind:     hidden_group_size_x
      - .offset:         62
        .size:           2
        .value_kind:     hidden_group_size_y
      - .offset:         64
        .size:           2
        .value_kind:     hidden_group_size_z
      - .offset:         66
        .size:           2
        .value_kind:     hidden_remainder_x
      - .offset:         68
        .size:           2
        .value_kind:     hidden_remainder_y
      - .offset:         70
        .size:           2
        .value_kind:     hidden_remainder_z
      - .offset:         88
        .size:           8
        .value_kind:     hidden_global_offset_x
      - .offset:         96
        .size:           8
        .value_kind:     hidden_global_offset_y
      - .offset:         104
        .size:           8
        .value_kind:     hidden_global_offset_z
      - .offset:         112
        .size:           2
        .value_kind:     hidden_grid_dims
    .group_segment_fixed_size: 0
    .kernarg_segment_align: 8
    .kernarg_segment_size: 304
    .language:       OpenCL C
    .language_version:
      - 2
      - 0
    .max_flat_workgroup_size: 1024
    .name:           _ZN5aiter23act_and_mul_bias_kernelIftsfTnPFfRKT2_EXadL_ZNS_11gelu_kernelIfEEfRKT_EELi8EEEvPT0_PS8_PKT1_PS2_il
    .private_segment_fixed_size: 0
    .sgpr_count:     48
    .sgpr_spill_count: 0
    .symbol:         _ZN5aiter23act_and_mul_bias_kernelIftsfTnPFfRKT2_EXadL_ZNS_11gelu_kernelIfEEfRKT_EELi8EEEvPT0_PS8_PKT1_PS2_il.kd
    .uniform_work_group_size: 1
    .uses_dynamic_stack: false
    .vgpr_count:     42
    .vgpr_spill_count: 0
    .wavefront_size: 64
  - .agpr_count:     0
    .args:
      - .actual_access:  write_only
        .address_space:  global
        .offset:         0
        .size:           8
        .value_kind:     global_buffer
      - .actual_access:  read_only
        .address_space:  global
        .offset:         8
        .size:           8
        .value_kind:     global_buffer
      - .actual_access:  read_only
        .address_space:  global
        .offset:         16
        .size:           8
        .value_kind:     global_buffer
      - .actual_access:  read_only
        .address_space:  global
        .offset:         24
        .size:           8
        .value_kind:     global_buffer
      - .offset:         32
        .size:           4
        .value_kind:     by_value
      - .offset:         40
        .size:           8
        .value_kind:     by_value
      - .offset:         48
        .size:           4
        .value_kind:     hidden_block_count_x
      - .offset:         52
        .size:           4
        .value_kind:     hidden_block_count_y
      - .offset:         56
        .size:           4
        .value_kind:     hidden_block_count_z
      - .offset:         60
        .size:           2
        .value_kind:     hidden_group_size_x
      - .offset:         62
        .size:           2
        .value_kind:     hidden_group_size_y
      - .offset:         64
        .size:           2
        .value_kind:     hidden_group_size_z
      - .offset:         66
        .size:           2
        .value_kind:     hidden_remainder_x
      - .offset:         68
        .size:           2
        .value_kind:     hidden_remainder_y
      - .offset:         70
        .size:           2
        .value_kind:     hidden_remainder_z
      - .offset:         88
        .size:           8
        .value_kind:     hidden_global_offset_x
      - .offset:         96
        .size:           8
        .value_kind:     hidden_global_offset_y
      - .offset:         104
        .size:           8
        .value_kind:     hidden_global_offset_z
      - .offset:         112
        .size:           2
        .value_kind:     hidden_grid_dims
    .group_segment_fixed_size: 0
    .kernarg_segment_align: 8
    .kernarg_segment_size: 304
    .language:       OpenCL C
    .language_version:
      - 2
      - 0
    .max_flat_workgroup_size: 1024
    .name:           _ZN5aiter23act_and_mul_bias_kernelIftsfTnPFfRKT2_EXadL_ZNS_11gelu_kernelIfEEfRKT_EELi4EEEvPT0_PS8_PKT1_PS2_il
    .private_segment_fixed_size: 0
    .sgpr_count:     48
    .sgpr_spill_count: 0
    .symbol:         _ZN5aiter23act_and_mul_bias_kernelIftsfTnPFfRKT2_EXadL_ZNS_11gelu_kernelIfEEfRKT_EELi4EEEvPT0_PS8_PKT1_PS2_il.kd
    .uniform_work_group_size: 1
    .uses_dynamic_stack: false
    .vgpr_count:     26
    .vgpr_spill_count: 0
    .wavefront_size: 64
  - .agpr_count:     0
    .args:
      - .actual_access:  write_only
        .address_space:  global
        .offset:         0
        .size:           8
        .value_kind:     global_buffer
      - .actual_access:  read_only
        .address_space:  global
        .offset:         8
        .size:           8
        .value_kind:     global_buffer
      - .actual_access:  read_only
        .address_space:  global
        .offset:         16
        .size:           8
        .value_kind:     global_buffer
      - .actual_access:  read_only
        .address_space:  global
        .offset:         24
        .size:           8
        .value_kind:     global_buffer
      - .offset:         32
        .size:           4
        .value_kind:     by_value
      - .offset:         40
        .size:           8
        .value_kind:     by_value
      - .offset:         48
        .size:           4
        .value_kind:     hidden_block_count_x
      - .offset:         52
        .size:           4
        .value_kind:     hidden_block_count_y
      - .offset:         56
        .size:           4
        .value_kind:     hidden_block_count_z
      - .offset:         60
        .size:           2
        .value_kind:     hidden_group_size_x
      - .offset:         62
        .size:           2
        .value_kind:     hidden_group_size_y
      - .offset:         64
        .size:           2
        .value_kind:     hidden_group_size_z
      - .offset:         66
        .size:           2
        .value_kind:     hidden_remainder_x
      - .offset:         68
        .size:           2
        .value_kind:     hidden_remainder_y
      - .offset:         70
        .size:           2
        .value_kind:     hidden_remainder_z
      - .offset:         88
        .size:           8
        .value_kind:     hidden_global_offset_x
      - .offset:         96
        .size:           8
        .value_kind:     hidden_global_offset_y
      - .offset:         104
        .size:           8
        .value_kind:     hidden_global_offset_z
      - .offset:         112
        .size:           2
        .value_kind:     hidden_grid_dims
    .group_segment_fixed_size: 0
    .kernarg_segment_align: 8
    .kernarg_segment_size: 304
    .language:       OpenCL C
    .language_version:
      - 2
      - 0
    .max_flat_workgroup_size: 1024
    .name:           _ZN5aiter23act_and_mul_bias_kernelIftsfTnPFfRKT2_EXadL_ZNS_11gelu_kernelIfEEfRKT_EELi2EEEvPT0_PS8_PKT1_PS2_il
    .private_segment_fixed_size: 0
    .sgpr_count:     50
    .sgpr_spill_count: 0
    .symbol:         _ZN5aiter23act_and_mul_bias_kernelIftsfTnPFfRKT2_EXadL_ZNS_11gelu_kernelIfEEfRKT_EELi2EEEvPT0_PS8_PKT1_PS2_il.kd
    .uniform_work_group_size: 1
    .uses_dynamic_stack: false
    .vgpr_count:     19
    .vgpr_spill_count: 0
    .wavefront_size: 64
  - .agpr_count:     0
    .args:
      - .actual_access:  write_only
        .address_space:  global
        .offset:         0
        .size:           8
        .value_kind:     global_buffer
      - .actual_access:  read_only
        .address_space:  global
        .offset:         8
        .size:           8
        .value_kind:     global_buffer
      - .actual_access:  read_only
        .address_space:  global
        .offset:         16
        .size:           8
        .value_kind:     global_buffer
      - .actual_access:  read_only
        .address_space:  global
        .offset:         24
        .size:           8
        .value_kind:     global_buffer
      - .offset:         32
        .size:           4
        .value_kind:     by_value
      - .offset:         40
        .size:           8
        .value_kind:     by_value
      - .offset:         48
        .size:           4
        .value_kind:     hidden_block_count_x
      - .offset:         52
        .size:           4
        .value_kind:     hidden_block_count_y
      - .offset:         56
        .size:           4
        .value_kind:     hidden_block_count_z
      - .offset:         60
        .size:           2
        .value_kind:     hidden_group_size_x
      - .offset:         62
        .size:           2
        .value_kind:     hidden_group_size_y
      - .offset:         64
        .size:           2
        .value_kind:     hidden_group_size_z
      - .offset:         66
        .size:           2
        .value_kind:     hidden_remainder_x
      - .offset:         68
        .size:           2
        .value_kind:     hidden_remainder_y
      - .offset:         70
        .size:           2
        .value_kind:     hidden_remainder_z
      - .offset:         88
        .size:           8
        .value_kind:     hidden_global_offset_x
      - .offset:         96
        .size:           8
        .value_kind:     hidden_global_offset_y
      - .offset:         104
        .size:           8
        .value_kind:     hidden_global_offset_z
      - .offset:         112
        .size:           2
        .value_kind:     hidden_grid_dims
    .group_segment_fixed_size: 0
    .kernarg_segment_align: 8
    .kernarg_segment_size: 304
    .language:       OpenCL C
    .language_version:
      - 2
      - 0
    .max_flat_workgroup_size: 1024
    .name:           _ZN5aiter23act_and_mul_bias_kernelIftsfTnPFfRKT2_EXadL_ZNS_11gelu_kernelIfEEfRKT_EELi1EEEvPT0_PS8_PKT1_PS2_il
    .private_segment_fixed_size: 0
    .sgpr_count:     48
    .sgpr_spill_count: 0
    .symbol:         _ZN5aiter23act_and_mul_bias_kernelIftsfTnPFfRKT2_EXadL_ZNS_11gelu_kernelIfEEfRKT_EELi1EEEvPT0_PS8_PKT1_PS2_il.kd
    .uniform_work_group_size: 1
    .uses_dynamic_stack: false
    .vgpr_count:     15
    .vgpr_spill_count: 0
    .wavefront_size: 64
  - .agpr_count:     0
    .args:
      - .actual_access:  write_only
        .address_space:  global
        .offset:         0
        .size:           8
        .value_kind:     global_buffer
      - .actual_access:  read_only
        .address_space:  global
        .offset:         8
        .size:           8
        .value_kind:     global_buffer
      - .actual_access:  read_only
        .address_space:  global
        .offset:         16
        .size:           8
        .value_kind:     global_buffer
      - .actual_access:  read_only
        .address_space:  global
        .offset:         24
        .size:           8
        .value_kind:     global_buffer
      - .offset:         32
        .size:           4
        .value_kind:     by_value
      - .offset:         40
        .size:           8
        .value_kind:     by_value
      - .offset:         48
        .size:           4
        .value_kind:     hidden_block_count_x
      - .offset:         52
        .size:           4
        .value_kind:     hidden_block_count_y
      - .offset:         56
        .size:           4
        .value_kind:     hidden_block_count_z
      - .offset:         60
        .size:           2
        .value_kind:     hidden_group_size_x
      - .offset:         62
        .size:           2
        .value_kind:     hidden_group_size_y
      - .offset:         64
        .size:           2
        .value_kind:     hidden_group_size_z
      - .offset:         66
        .size:           2
        .value_kind:     hidden_remainder_x
      - .offset:         68
        .size:           2
        .value_kind:     hidden_remainder_y
      - .offset:         70
        .size:           2
        .value_kind:     hidden_remainder_z
      - .offset:         88
        .size:           8
        .value_kind:     hidden_global_offset_x
      - .offset:         96
        .size:           8
        .value_kind:     hidden_global_offset_y
      - .offset:         104
        .size:           8
        .value_kind:     hidden_global_offset_z
      - .offset:         112
        .size:           2
        .value_kind:     hidden_grid_dims
    .group_segment_fixed_size: 0
    .kernarg_segment_align: 8
    .kernarg_segment_size: 304
    .language:       OpenCL C
    .language_version:
      - 2
      - 0
    .max_flat_workgroup_size: 1024
    .name:           _ZN5aiter23act_and_mul_bias_kernelIfDF16_sfTnPFfRKT2_EXadL_ZNS_11gelu_kernelIfEEfRKT_EELi16EEEvPT0_PS8_PKT1_PS2_il
    .private_segment_fixed_size: 0
    .sgpr_count:     48
    .sgpr_spill_count: 0
    .symbol:         _ZN5aiter23act_and_mul_bias_kernelIfDF16_sfTnPFfRKT2_EXadL_ZNS_11gelu_kernelIfEEfRKT_EELi16EEEvPT0_PS8_PKT1_PS2_il.kd
    .uniform_work_group_size: 1
    .uses_dynamic_stack: false
    .vgpr_count:     74
    .vgpr_spill_count: 0
    .wavefront_size: 64
  - .agpr_count:     0
    .args:
      - .actual_access:  write_only
        .address_space:  global
        .offset:         0
        .size:           8
        .value_kind:     global_buffer
      - .actual_access:  read_only
        .address_space:  global
        .offset:         8
        .size:           8
        .value_kind:     global_buffer
      - .actual_access:  read_only
        .address_space:  global
        .offset:         16
        .size:           8
        .value_kind:     global_buffer
      - .actual_access:  read_only
        .address_space:  global
        .offset:         24
        .size:           8
        .value_kind:     global_buffer
      - .offset:         32
        .size:           4
        .value_kind:     by_value
      - .offset:         40
        .size:           8
        .value_kind:     by_value
      - .offset:         48
        .size:           4
        .value_kind:     hidden_block_count_x
      - .offset:         52
        .size:           4
        .value_kind:     hidden_block_count_y
      - .offset:         56
        .size:           4
        .value_kind:     hidden_block_count_z
      - .offset:         60
        .size:           2
        .value_kind:     hidden_group_size_x
      - .offset:         62
        .size:           2
        .value_kind:     hidden_group_size_y
      - .offset:         64
        .size:           2
        .value_kind:     hidden_group_size_z
      - .offset:         66
        .size:           2
        .value_kind:     hidden_remainder_x
      - .offset:         68
        .size:           2
        .value_kind:     hidden_remainder_y
      - .offset:         70
        .size:           2
        .value_kind:     hidden_remainder_z
      - .offset:         88
        .size:           8
        .value_kind:     hidden_global_offset_x
      - .offset:         96
        .size:           8
        .value_kind:     hidden_global_offset_y
      - .offset:         104
        .size:           8
        .value_kind:     hidden_global_offset_z
      - .offset:         112
        .size:           2
        .value_kind:     hidden_grid_dims
    .group_segment_fixed_size: 0
    .kernarg_segment_align: 8
    .kernarg_segment_size: 304
    .language:       OpenCL C
    .language_version:
      - 2
      - 0
    .max_flat_workgroup_size: 1024
    .name:           _ZN5aiter23act_and_mul_bias_kernelIfDF16_sfTnPFfRKT2_EXadL_ZNS_11gelu_kernelIfEEfRKT_EELi8EEEvPT0_PS8_PKT1_PS2_il
    .private_segment_fixed_size: 0
    .sgpr_count:     48
    .sgpr_spill_count: 0
    .symbol:         _ZN5aiter23act_and_mul_bias_kernelIfDF16_sfTnPFfRKT2_EXadL_ZNS_11gelu_kernelIfEEfRKT_EELi8EEEvPT0_PS8_PKT1_PS2_il.kd
    .uniform_work_group_size: 1
    .uses_dynamic_stack: false
    .vgpr_count:     42
    .vgpr_spill_count: 0
    .wavefront_size: 64
  - .agpr_count:     0
    .args:
      - .actual_access:  write_only
        .address_space:  global
        .offset:         0
        .size:           8
        .value_kind:     global_buffer
      - .actual_access:  read_only
        .address_space:  global
        .offset:         8
        .size:           8
        .value_kind:     global_buffer
      - .actual_access:  read_only
        .address_space:  global
        .offset:         16
        .size:           8
        .value_kind:     global_buffer
      - .actual_access:  read_only
        .address_space:  global
        .offset:         24
        .size:           8
        .value_kind:     global_buffer
      - .offset:         32
        .size:           4
        .value_kind:     by_value
      - .offset:         40
        .size:           8
        .value_kind:     by_value
      - .offset:         48
        .size:           4
        .value_kind:     hidden_block_count_x
      - .offset:         52
        .size:           4
        .value_kind:     hidden_block_count_y
      - .offset:         56
        .size:           4
        .value_kind:     hidden_block_count_z
      - .offset:         60
        .size:           2
        .value_kind:     hidden_group_size_x
      - .offset:         62
        .size:           2
        .value_kind:     hidden_group_size_y
      - .offset:         64
        .size:           2
        .value_kind:     hidden_group_size_z
      - .offset:         66
        .size:           2
        .value_kind:     hidden_remainder_x
      - .offset:         68
        .size:           2
        .value_kind:     hidden_remainder_y
      - .offset:         70
        .size:           2
        .value_kind:     hidden_remainder_z
      - .offset:         88
        .size:           8
        .value_kind:     hidden_global_offset_x
      - .offset:         96
        .size:           8
        .value_kind:     hidden_global_offset_y
      - .offset:         104
        .size:           8
        .value_kind:     hidden_global_offset_z
      - .offset:         112
        .size:           2
        .value_kind:     hidden_grid_dims
    .group_segment_fixed_size: 0
    .kernarg_segment_align: 8
    .kernarg_segment_size: 304
    .language:       OpenCL C
    .language_version:
      - 2
      - 0
    .max_flat_workgroup_size: 1024
    .name:           _ZN5aiter23act_and_mul_bias_kernelIfDF16_sfTnPFfRKT2_EXadL_ZNS_11gelu_kernelIfEEfRKT_EELi4EEEvPT0_PS8_PKT1_PS2_il
    .private_segment_fixed_size: 0
    .sgpr_count:     45
    .sgpr_spill_count: 0
    .symbol:         _ZN5aiter23act_and_mul_bias_kernelIfDF16_sfTnPFfRKT2_EXadL_ZNS_11gelu_kernelIfEEfRKT_EELi4EEEvPT0_PS8_PKT1_PS2_il.kd
    .uniform_work_group_size: 1
    .uses_dynamic_stack: false
    .vgpr_count:     26
    .vgpr_spill_count: 0
    .wavefront_size: 64
  - .agpr_count:     0
    .args:
      - .actual_access:  write_only
        .address_space:  global
        .offset:         0
        .size:           8
        .value_kind:     global_buffer
      - .actual_access:  read_only
        .address_space:  global
        .offset:         8
        .size:           8
        .value_kind:     global_buffer
      - .actual_access:  read_only
        .address_space:  global
        .offset:         16
        .size:           8
        .value_kind:     global_buffer
      - .actual_access:  read_only
        .address_space:  global
        .offset:         24
        .size:           8
        .value_kind:     global_buffer
      - .offset:         32
        .size:           4
        .value_kind:     by_value
      - .offset:         40
        .size:           8
        .value_kind:     by_value
      - .offset:         48
        .size:           4
        .value_kind:     hidden_block_count_x
      - .offset:         52
        .size:           4
        .value_kind:     hidden_block_count_y
      - .offset:         56
        .size:           4
        .value_kind:     hidden_block_count_z
      - .offset:         60
        .size:           2
        .value_kind:     hidden_group_size_x
      - .offset:         62
        .size:           2
        .value_kind:     hidden_group_size_y
      - .offset:         64
        .size:           2
        .value_kind:     hidden_group_size_z
      - .offset:         66
        .size:           2
        .value_kind:     hidden_remainder_x
      - .offset:         68
        .size:           2
        .value_kind:     hidden_remainder_y
      - .offset:         70
        .size:           2
        .value_kind:     hidden_remainder_z
      - .offset:         88
        .size:           8
        .value_kind:     hidden_global_offset_x
      - .offset:         96
        .size:           8
        .value_kind:     hidden_global_offset_y
      - .offset:         104
        .size:           8
        .value_kind:     hidden_global_offset_z
      - .offset:         112
        .size:           2
        .value_kind:     hidden_grid_dims
    .group_segment_fixed_size: 0
    .kernarg_segment_align: 8
    .kernarg_segment_size: 304
    .language:       OpenCL C
    .language_version:
      - 2
      - 0
    .max_flat_workgroup_size: 1024
    .name:           _ZN5aiter23act_and_mul_bias_kernelIfDF16_sfTnPFfRKT2_EXadL_ZNS_11gelu_kernelIfEEfRKT_EELi2EEEvPT0_PS8_PKT1_PS2_il
    .private_segment_fixed_size: 0
    .sgpr_count:     46
    .sgpr_spill_count: 0
    .symbol:         _ZN5aiter23act_and_mul_bias_kernelIfDF16_sfTnPFfRKT2_EXadL_ZNS_11gelu_kernelIfEEfRKT_EELi2EEEvPT0_PS8_PKT1_PS2_il.kd
    .uniform_work_group_size: 1
    .uses_dynamic_stack: false
    .vgpr_count:     19
    .vgpr_spill_count: 0
    .wavefront_size: 64
  - .agpr_count:     0
    .args:
      - .actual_access:  write_only
        .address_space:  global
        .offset:         0
        .size:           8
        .value_kind:     global_buffer
      - .actual_access:  read_only
        .address_space:  global
        .offset:         8
        .size:           8
        .value_kind:     global_buffer
      - .actual_access:  read_only
        .address_space:  global
        .offset:         16
        .size:           8
        .value_kind:     global_buffer
      - .actual_access:  read_only
        .address_space:  global
        .offset:         24
        .size:           8
        .value_kind:     global_buffer
      - .offset:         32
        .size:           4
        .value_kind:     by_value
      - .offset:         40
        .size:           8
        .value_kind:     by_value
      - .offset:         48
        .size:           4
        .value_kind:     hidden_block_count_x
      - .offset:         52
        .size:           4
        .value_kind:     hidden_block_count_y
      - .offset:         56
        .size:           4
        .value_kind:     hidden_block_count_z
      - .offset:         60
        .size:           2
        .value_kind:     hidden_group_size_x
      - .offset:         62
        .size:           2
        .value_kind:     hidden_group_size_y
      - .offset:         64
        .size:           2
        .value_kind:     hidden_group_size_z
      - .offset:         66
        .size:           2
        .value_kind:     hidden_remainder_x
      - .offset:         68
        .size:           2
        .value_kind:     hidden_remainder_y
      - .offset:         70
        .size:           2
        .value_kind:     hidden_remainder_z
      - .offset:         88
        .size:           8
        .value_kind:     hidden_global_offset_x
      - .offset:         96
        .size:           8
        .value_kind:     hidden_global_offset_y
      - .offset:         104
        .size:           8
        .value_kind:     hidden_global_offset_z
      - .offset:         112
        .size:           2
        .value_kind:     hidden_grid_dims
    .group_segment_fixed_size: 0
    .kernarg_segment_align: 8
    .kernarg_segment_size: 304
    .language:       OpenCL C
    .language_version:
      - 2
      - 0
    .max_flat_workgroup_size: 1024
    .name:           _ZN5aiter23act_and_mul_bias_kernelIfDF16_sfTnPFfRKT2_EXadL_ZNS_11gelu_kernelIfEEfRKT_EELi1EEEvPT0_PS8_PKT1_PS2_il
    .private_segment_fixed_size: 0
    .sgpr_count:     48
    .sgpr_spill_count: 0
    .symbol:         _ZN5aiter23act_and_mul_bias_kernelIfDF16_sfTnPFfRKT2_EXadL_ZNS_11gelu_kernelIfEEfRKT_EELi1EEEvPT0_PS8_PKT1_PS2_il.kd
    .uniform_work_group_size: 1
    .uses_dynamic_stack: false
    .vgpr_count:     15
    .vgpr_spill_count: 0
    .wavefront_size: 64
  - .agpr_count:     0
    .args:
      - .actual_access:  write_only
        .address_space:  global
        .offset:         0
        .size:           8
        .value_kind:     global_buffer
      - .actual_access:  read_only
        .address_space:  global
        .offset:         8
        .size:           8
        .value_kind:     global_buffer
      - .actual_access:  read_only
        .address_space:  global
        .offset:         16
        .size:           8
        .value_kind:     global_buffer
      - .actual_access:  read_only
        .address_space:  global
        .offset:         24
        .size:           8
        .value_kind:     global_buffer
      - .offset:         32
        .size:           4
        .value_kind:     by_value
      - .offset:         40
        .size:           8
        .value_kind:     by_value
      - .offset:         48
        .size:           4
        .value_kind:     hidden_block_count_x
      - .offset:         52
        .size:           4
        .value_kind:     hidden_block_count_y
      - .offset:         56
        .size:           4
        .value_kind:     hidden_block_count_z
      - .offset:         60
        .size:           2
        .value_kind:     hidden_group_size_x
      - .offset:         62
        .size:           2
        .value_kind:     hidden_group_size_y
      - .offset:         64
        .size:           2
        .value_kind:     hidden_group_size_z
      - .offset:         66
        .size:           2
        .value_kind:     hidden_remainder_x
      - .offset:         68
        .size:           2
        .value_kind:     hidden_remainder_y
      - .offset:         70
        .size:           2
        .value_kind:     hidden_remainder_z
      - .offset:         88
        .size:           8
        .value_kind:     hidden_global_offset_x
      - .offset:         96
        .size:           8
        .value_kind:     hidden_global_offset_y
      - .offset:         104
        .size:           8
        .value_kind:     hidden_global_offset_z
      - .offset:         112
        .size:           2
        .value_kind:     hidden_grid_dims
    .group_segment_fixed_size: 0
    .kernarg_segment_align: 8
    .kernarg_segment_size: 304
    .language:       OpenCL C
    .language_version:
      - 2
      - 0
    .max_flat_workgroup_size: 1024
    .name:           _ZN5aiter23act_and_mul_bias_kernelIffsfTnPFfRKT2_EXadL_ZNS_11gelu_kernelIfEEfRKT_EELi16EEEvPT0_PS8_PKT1_PS2_il
    .private_segment_fixed_size: 0
    .sgpr_count:     48
    .sgpr_spill_count: 0
    .symbol:         _ZN5aiter23act_and_mul_bias_kernelIffsfTnPFfRKT2_EXadL_ZNS_11gelu_kernelIfEEfRKT_EELi16EEEvPT0_PS8_PKT1_PS2_il.kd
    .uniform_work_group_size: 1
    .uses_dynamic_stack: false
    .vgpr_count:     75
    .vgpr_spill_count: 0
    .wavefront_size: 64
  - .agpr_count:     0
    .args:
      - .actual_access:  write_only
        .address_space:  global
        .offset:         0
        .size:           8
        .value_kind:     global_buffer
      - .actual_access:  read_only
        .address_space:  global
        .offset:         8
        .size:           8
        .value_kind:     global_buffer
      - .actual_access:  read_only
        .address_space:  global
        .offset:         16
        .size:           8
        .value_kind:     global_buffer
      - .actual_access:  read_only
        .address_space:  global
        .offset:         24
        .size:           8
        .value_kind:     global_buffer
      - .offset:         32
        .size:           4
        .value_kind:     by_value
      - .offset:         40
        .size:           8
        .value_kind:     by_value
      - .offset:         48
        .size:           4
        .value_kind:     hidden_block_count_x
      - .offset:         52
        .size:           4
        .value_kind:     hidden_block_count_y
      - .offset:         56
        .size:           4
        .value_kind:     hidden_block_count_z
      - .offset:         60
        .size:           2
        .value_kind:     hidden_group_size_x
      - .offset:         62
        .size:           2
        .value_kind:     hidden_group_size_y
      - .offset:         64
        .size:           2
        .value_kind:     hidden_group_size_z
      - .offset:         66
        .size:           2
        .value_kind:     hidden_remainder_x
      - .offset:         68
        .size:           2
        .value_kind:     hidden_remainder_y
      - .offset:         70
        .size:           2
        .value_kind:     hidden_remainder_z
      - .offset:         88
        .size:           8
        .value_kind:     hidden_global_offset_x
      - .offset:         96
        .size:           8
        .value_kind:     hidden_global_offset_y
      - .offset:         104
        .size:           8
        .value_kind:     hidden_global_offset_z
      - .offset:         112
        .size:           2
        .value_kind:     hidden_grid_dims
    .group_segment_fixed_size: 0
    .kernarg_segment_align: 8
    .kernarg_segment_size: 304
    .language:       OpenCL C
    .language_version:
      - 2
      - 0
    .max_flat_workgroup_size: 1024
    .name:           _ZN5aiter23act_and_mul_bias_kernelIffsfTnPFfRKT2_EXadL_ZNS_11gelu_kernelIfEEfRKT_EELi8EEEvPT0_PS8_PKT1_PS2_il
    .private_segment_fixed_size: 0
    .sgpr_count:     48
    .sgpr_spill_count: 0
    .symbol:         _ZN5aiter23act_and_mul_bias_kernelIffsfTnPFfRKT2_EXadL_ZNS_11gelu_kernelIfEEfRKT_EELi8EEEvPT0_PS8_PKT1_PS2_il.kd
    .uniform_work_group_size: 1
    .uses_dynamic_stack: false
    .vgpr_count:     43
    .vgpr_spill_count: 0
    .wavefront_size: 64
  - .agpr_count:     0
    .args:
      - .actual_access:  write_only
        .address_space:  global
        .offset:         0
        .size:           8
        .value_kind:     global_buffer
      - .actual_access:  read_only
        .address_space:  global
        .offset:         8
        .size:           8
        .value_kind:     global_buffer
      - .actual_access:  read_only
        .address_space:  global
        .offset:         16
        .size:           8
        .value_kind:     global_buffer
      - .actual_access:  read_only
        .address_space:  global
        .offset:         24
        .size:           8
        .value_kind:     global_buffer
      - .offset:         32
        .size:           4
        .value_kind:     by_value
      - .offset:         40
        .size:           8
        .value_kind:     by_value
      - .offset:         48
        .size:           4
        .value_kind:     hidden_block_count_x
      - .offset:         52
        .size:           4
        .value_kind:     hidden_block_count_y
      - .offset:         56
        .size:           4
        .value_kind:     hidden_block_count_z
      - .offset:         60
        .size:           2
        .value_kind:     hidden_group_size_x
      - .offset:         62
        .size:           2
        .value_kind:     hidden_group_size_y
      - .offset:         64
        .size:           2
        .value_kind:     hidden_group_size_z
      - .offset:         66
        .size:           2
        .value_kind:     hidden_remainder_x
      - .offset:         68
        .size:           2
        .value_kind:     hidden_remainder_y
      - .offset:         70
        .size:           2
        .value_kind:     hidden_remainder_z
      - .offset:         88
        .size:           8
        .value_kind:     hidden_global_offset_x
      - .offset:         96
        .size:           8
        .value_kind:     hidden_global_offset_y
      - .offset:         104
        .size:           8
        .value_kind:     hidden_global_offset_z
      - .offset:         112
        .size:           2
        .value_kind:     hidden_grid_dims
    .group_segment_fixed_size: 0
    .kernarg_segment_align: 8
    .kernarg_segment_size: 304
    .language:       OpenCL C
    .language_version:
      - 2
      - 0
    .max_flat_workgroup_size: 1024
    .name:           _ZN5aiter23act_and_mul_bias_kernelIffsfTnPFfRKT2_EXadL_ZNS_11gelu_kernelIfEEfRKT_EELi4EEEvPT0_PS8_PKT1_PS2_il
    .private_segment_fixed_size: 0
    .sgpr_count:     45
    .sgpr_spill_count: 0
    .symbol:         _ZN5aiter23act_and_mul_bias_kernelIffsfTnPFfRKT2_EXadL_ZNS_11gelu_kernelIfEEfRKT_EELi4EEEvPT0_PS8_PKT1_PS2_il.kd
    .uniform_work_group_size: 1
    .uses_dynamic_stack: false
    .vgpr_count:     27
    .vgpr_spill_count: 0
    .wavefront_size: 64
  - .agpr_count:     0
    .args:
      - .actual_access:  write_only
        .address_space:  global
        .offset:         0
        .size:           8
        .value_kind:     global_buffer
      - .actual_access:  read_only
        .address_space:  global
        .offset:         8
        .size:           8
        .value_kind:     global_buffer
      - .actual_access:  read_only
        .address_space:  global
        .offset:         16
        .size:           8
        .value_kind:     global_buffer
      - .actual_access:  read_only
        .address_space:  global
        .offset:         24
        .size:           8
        .value_kind:     global_buffer
      - .offset:         32
        .size:           4
        .value_kind:     by_value
      - .offset:         40
        .size:           8
        .value_kind:     by_value
      - .offset:         48
        .size:           4
        .value_kind:     hidden_block_count_x
      - .offset:         52
        .size:           4
        .value_kind:     hidden_block_count_y
      - .offset:         56
        .size:           4
        .value_kind:     hidden_block_count_z
      - .offset:         60
        .size:           2
        .value_kind:     hidden_group_size_x
      - .offset:         62
        .size:           2
        .value_kind:     hidden_group_size_y
      - .offset:         64
        .size:           2
        .value_kind:     hidden_group_size_z
      - .offset:         66
        .size:           2
        .value_kind:     hidden_remainder_x
      - .offset:         68
        .size:           2
        .value_kind:     hidden_remainder_y
      - .offset:         70
        .size:           2
        .value_kind:     hidden_remainder_z
      - .offset:         88
        .size:           8
        .value_kind:     hidden_global_offset_x
      - .offset:         96
        .size:           8
        .value_kind:     hidden_global_offset_y
      - .offset:         104
        .size:           8
        .value_kind:     hidden_global_offset_z
      - .offset:         112
        .size:           2
        .value_kind:     hidden_grid_dims
    .group_segment_fixed_size: 0
    .kernarg_segment_align: 8
    .kernarg_segment_size: 304
    .language:       OpenCL C
    .language_version:
      - 2
      - 0
    .max_flat_workgroup_size: 1024
    .name:           _ZN5aiter23act_and_mul_bias_kernelIffsfTnPFfRKT2_EXadL_ZNS_11gelu_kernelIfEEfRKT_EELi2EEEvPT0_PS8_PKT1_PS2_il
    .private_segment_fixed_size: 0
    .sgpr_count:     46
    .sgpr_spill_count: 0
    .symbol:         _ZN5aiter23act_and_mul_bias_kernelIffsfTnPFfRKT2_EXadL_ZNS_11gelu_kernelIfEEfRKT_EELi2EEEvPT0_PS8_PKT1_PS2_il.kd
    .uniform_work_group_size: 1
    .uses_dynamic_stack: false
    .vgpr_count:     20
    .vgpr_spill_count: 0
    .wavefront_size: 64
  - .agpr_count:     0
    .args:
      - .actual_access:  write_only
        .address_space:  global
        .offset:         0
        .size:           8
        .value_kind:     global_buffer
      - .actual_access:  read_only
        .address_space:  global
        .offset:         8
        .size:           8
        .value_kind:     global_buffer
      - .actual_access:  read_only
        .address_space:  global
        .offset:         16
        .size:           8
        .value_kind:     global_buffer
      - .actual_access:  read_only
        .address_space:  global
        .offset:         24
        .size:           8
        .value_kind:     global_buffer
      - .offset:         32
        .size:           4
        .value_kind:     by_value
      - .offset:         40
        .size:           8
        .value_kind:     by_value
      - .offset:         48
        .size:           4
        .value_kind:     hidden_block_count_x
      - .offset:         52
        .size:           4
        .value_kind:     hidden_block_count_y
      - .offset:         56
        .size:           4
        .value_kind:     hidden_block_count_z
      - .offset:         60
        .size:           2
        .value_kind:     hidden_group_size_x
      - .offset:         62
        .size:           2
        .value_kind:     hidden_group_size_y
      - .offset:         64
        .size:           2
        .value_kind:     hidden_group_size_z
      - .offset:         66
        .size:           2
        .value_kind:     hidden_remainder_x
      - .offset:         68
        .size:           2
        .value_kind:     hidden_remainder_y
      - .offset:         70
        .size:           2
        .value_kind:     hidden_remainder_z
      - .offset:         88
        .size:           8
        .value_kind:     hidden_global_offset_x
      - .offset:         96
        .size:           8
        .value_kind:     hidden_global_offset_y
      - .offset:         104
        .size:           8
        .value_kind:     hidden_global_offset_z
      - .offset:         112
        .size:           2
        .value_kind:     hidden_grid_dims
    .group_segment_fixed_size: 0
    .kernarg_segment_align: 8
    .kernarg_segment_size: 304
    .language:       OpenCL C
    .language_version:
      - 2
      - 0
    .max_flat_workgroup_size: 1024
    .name:           _ZN5aiter23act_and_mul_bias_kernelIffsfTnPFfRKT2_EXadL_ZNS_11gelu_kernelIfEEfRKT_EELi1EEEvPT0_PS8_PKT1_PS2_il
    .private_segment_fixed_size: 0
    .sgpr_count:     46
    .sgpr_spill_count: 0
    .symbol:         _ZN5aiter23act_and_mul_bias_kernelIffsfTnPFfRKT2_EXadL_ZNS_11gelu_kernelIfEEfRKT_EELi1EEEvPT0_PS8_PKT1_PS2_il.kd
    .uniform_work_group_size: 1
    .uses_dynamic_stack: false
    .vgpr_count:     14
    .vgpr_spill_count: 0
    .wavefront_size: 64
  - .agpr_count:     0
    .args:
      - .actual_access:  write_only
        .address_space:  global
        .offset:         0
        .size:           8
        .value_kind:     global_buffer
      - .actual_access:  read_only
        .address_space:  global
        .offset:         8
        .size:           8
        .value_kind:     global_buffer
      - .actual_access:  read_only
        .address_space:  global
        .offset:         16
        .size:           8
        .value_kind:     global_buffer
      - .actual_access:  read_only
        .address_space:  global
        .offset:         24
        .size:           8
        .value_kind:     global_buffer
      - .offset:         32
        .size:           4
        .value_kind:     by_value
      - .offset:         40
        .size:           8
        .value_kind:     by_value
      - .offset:         48
        .size:           4
        .value_kind:     hidden_block_count_x
      - .offset:         52
        .size:           4
        .value_kind:     hidden_block_count_y
      - .offset:         56
        .size:           4
        .value_kind:     hidden_block_count_z
      - .offset:         60
        .size:           2
        .value_kind:     hidden_group_size_x
      - .offset:         62
        .size:           2
        .value_kind:     hidden_group_size_y
      - .offset:         64
        .size:           2
        .value_kind:     hidden_group_size_z
      - .offset:         66
        .size:           2
        .value_kind:     hidden_remainder_x
      - .offset:         68
        .size:           2
        .value_kind:     hidden_remainder_y
      - .offset:         70
        .size:           2
        .value_kind:     hidden_remainder_z
      - .offset:         88
        .size:           8
        .value_kind:     hidden_global_offset_x
      - .offset:         96
        .size:           8
        .value_kind:     hidden_global_offset_y
      - .offset:         104
        .size:           8
        .value_kind:     hidden_global_offset_z
      - .offset:         112
        .size:           2
        .value_kind:     hidden_grid_dims
    .group_segment_fixed_size: 0
    .kernarg_segment_align: 8
    .kernarg_segment_size: 304
    .language:       OpenCL C
    .language_version:
      - 2
      - 0
    .max_flat_workgroup_size: 1024
    .name:           _ZN5aiter23act_and_mul_bias_kernelIDF16_DF16_sfTnPFfRKT2_EXadL_ZNS_11gelu_kernelIfEEfRKT_EELi32EEEvPT0_PS8_PKT1_PS2_il
    .private_segment_fixed_size: 0
    .sgpr_count:     50
    .sgpr_spill_count: 0
    .symbol:         _ZN5aiter23act_and_mul_bias_kernelIDF16_DF16_sfTnPFfRKT2_EXadL_ZNS_11gelu_kernelIfEEfRKT_EELi32EEEvPT0_PS8_PKT1_PS2_il.kd
    .uniform_work_group_size: 1
    .uses_dynamic_stack: false
    .vgpr_count:     108
    .vgpr_spill_count: 0
    .wavefront_size: 64
  - .agpr_count:     0
    .args:
      - .actual_access:  write_only
        .address_space:  global
        .offset:         0
        .size:           8
        .value_kind:     global_buffer
      - .actual_access:  read_only
        .address_space:  global
        .offset:         8
        .size:           8
        .value_kind:     global_buffer
      - .actual_access:  read_only
        .address_space:  global
        .offset:         16
        .size:           8
        .value_kind:     global_buffer
      - .actual_access:  read_only
        .address_space:  global
        .offset:         24
        .size:           8
        .value_kind:     global_buffer
      - .offset:         32
        .size:           4
        .value_kind:     by_value
      - .offset:         40
        .size:           8
        .value_kind:     by_value
      - .offset:         48
        .size:           4
        .value_kind:     hidden_block_count_x
      - .offset:         52
        .size:           4
        .value_kind:     hidden_block_count_y
      - .offset:         56
        .size:           4
        .value_kind:     hidden_block_count_z
      - .offset:         60
        .size:           2
        .value_kind:     hidden_group_size_x
      - .offset:         62
        .size:           2
        .value_kind:     hidden_group_size_y
      - .offset:         64
        .size:           2
        .value_kind:     hidden_group_size_z
      - .offset:         66
        .size:           2
        .value_kind:     hidden_remainder_x
      - .offset:         68
        .size:           2
        .value_kind:     hidden_remainder_y
      - .offset:         70
        .size:           2
        .value_kind:     hidden_remainder_z
      - .offset:         88
        .size:           8
        .value_kind:     hidden_global_offset_x
      - .offset:         96
        .size:           8
        .value_kind:     hidden_global_offset_y
      - .offset:         104
        .size:           8
        .value_kind:     hidden_global_offset_z
      - .offset:         112
        .size:           2
        .value_kind:     hidden_grid_dims
    .group_segment_fixed_size: 0
    .kernarg_segment_align: 8
    .kernarg_segment_size: 304
    .language:       OpenCL C
    .language_version:
      - 2
      - 0
    .max_flat_workgroup_size: 1024
    .name:           _ZN5aiter23act_and_mul_bias_kernelIDF16_DF16_sfTnPFfRKT2_EXadL_ZNS_11gelu_kernelIfEEfRKT_EELi16EEEvPT0_PS8_PKT1_PS2_il
    .private_segment_fixed_size: 0
    .sgpr_count:     48
    .sgpr_spill_count: 0
    .symbol:         _ZN5aiter23act_and_mul_bias_kernelIDF16_DF16_sfTnPFfRKT2_EXadL_ZNS_11gelu_kernelIfEEfRKT_EELi16EEEvPT0_PS8_PKT1_PS2_il.kd
    .uniform_work_group_size: 1
    .uses_dynamic_stack: false
    .vgpr_count:     60
    .vgpr_spill_count: 0
    .wavefront_size: 64
  - .agpr_count:     0
    .args:
      - .actual_access:  write_only
        .address_space:  global
        .offset:         0
        .size:           8
        .value_kind:     global_buffer
      - .actual_access:  read_only
        .address_space:  global
        .offset:         8
        .size:           8
        .value_kind:     global_buffer
      - .actual_access:  read_only
        .address_space:  global
        .offset:         16
        .size:           8
        .value_kind:     global_buffer
      - .actual_access:  read_only
        .address_space:  global
        .offset:         24
        .size:           8
        .value_kind:     global_buffer
      - .offset:         32
        .size:           4
        .value_kind:     by_value
      - .offset:         40
        .size:           8
        .value_kind:     by_value
      - .offset:         48
        .size:           4
        .value_kind:     hidden_block_count_x
      - .offset:         52
        .size:           4
        .value_kind:     hidden_block_count_y
      - .offset:         56
        .size:           4
        .value_kind:     hidden_block_count_z
      - .offset:         60
        .size:           2
        .value_kind:     hidden_group_size_x
      - .offset:         62
        .size:           2
        .value_kind:     hidden_group_size_y
      - .offset:         64
        .size:           2
        .value_kind:     hidden_group_size_z
      - .offset:         66
        .size:           2
        .value_kind:     hidden_remainder_x
      - .offset:         68
        .size:           2
        .value_kind:     hidden_remainder_y
      - .offset:         70
        .size:           2
        .value_kind:     hidden_remainder_z
      - .offset:         88
        .size:           8
        .value_kind:     hidden_global_offset_x
      - .offset:         96
        .size:           8
        .value_kind:     hidden_global_offset_y
      - .offset:         104
        .size:           8
        .value_kind:     hidden_global_offset_z
      - .offset:         112
        .size:           2
        .value_kind:     hidden_grid_dims
    .group_segment_fixed_size: 0
    .kernarg_segment_align: 8
    .kernarg_segment_size: 304
    .language:       OpenCL C
    .language_version:
      - 2
      - 0
    .max_flat_workgroup_size: 1024
    .name:           _ZN5aiter23act_and_mul_bias_kernelIDF16_DF16_sfTnPFfRKT2_EXadL_ZNS_11gelu_kernelIfEEfRKT_EELi8EEEvPT0_PS8_PKT1_PS2_il
    .private_segment_fixed_size: 0
    .sgpr_count:     48
    .sgpr_spill_count: 0
    .symbol:         _ZN5aiter23act_and_mul_bias_kernelIDF16_DF16_sfTnPFfRKT2_EXadL_ZNS_11gelu_kernelIfEEfRKT_EELi8EEEvPT0_PS8_PKT1_PS2_il.kd
    .uniform_work_group_size: 1
    .uses_dynamic_stack: false
    .vgpr_count:     36
    .vgpr_spill_count: 0
    .wavefront_size: 64
  - .agpr_count:     0
    .args:
      - .actual_access:  write_only
        .address_space:  global
        .offset:         0
        .size:           8
        .value_kind:     global_buffer
      - .actual_access:  read_only
        .address_space:  global
        .offset:         8
        .size:           8
        .value_kind:     global_buffer
      - .actual_access:  read_only
        .address_space:  global
        .offset:         16
        .size:           8
        .value_kind:     global_buffer
      - .actual_access:  read_only
        .address_space:  global
        .offset:         24
        .size:           8
        .value_kind:     global_buffer
      - .offset:         32
        .size:           4
        .value_kind:     by_value
      - .offset:         40
        .size:           8
        .value_kind:     by_value
      - .offset:         48
        .size:           4
        .value_kind:     hidden_block_count_x
      - .offset:         52
        .size:           4
        .value_kind:     hidden_block_count_y
      - .offset:         56
        .size:           4
        .value_kind:     hidden_block_count_z
      - .offset:         60
        .size:           2
        .value_kind:     hidden_group_size_x
      - .offset:         62
        .size:           2
        .value_kind:     hidden_group_size_y
      - .offset:         64
        .size:           2
        .value_kind:     hidden_group_size_z
      - .offset:         66
        .size:           2
        .value_kind:     hidden_remainder_x
      - .offset:         68
        .size:           2
        .value_kind:     hidden_remainder_y
      - .offset:         70
        .size:           2
        .value_kind:     hidden_remainder_z
      - .offset:         88
        .size:           8
        .value_kind:     hidden_global_offset_x
      - .offset:         96
        .size:           8
        .value_kind:     hidden_global_offset_y
      - .offset:         104
        .size:           8
        .value_kind:     hidden_global_offset_z
      - .offset:         112
        .size:           2
        .value_kind:     hidden_grid_dims
    .group_segment_fixed_size: 0
    .kernarg_segment_align: 8
    .kernarg_segment_size: 304
    .language:       OpenCL C
    .language_version:
      - 2
      - 0
    .max_flat_workgroup_size: 1024
    .name:           _ZN5aiter23act_and_mul_bias_kernelIDF16_DF16_sfTnPFfRKT2_EXadL_ZNS_11gelu_kernelIfEEfRKT_EELi4EEEvPT0_PS8_PKT1_PS2_il
    .private_segment_fixed_size: 0
    .sgpr_count:     48
    .sgpr_spill_count: 0
    .symbol:         _ZN5aiter23act_and_mul_bias_kernelIDF16_DF16_sfTnPFfRKT2_EXadL_ZNS_11gelu_kernelIfEEfRKT_EELi4EEEvPT0_PS8_PKT1_PS2_il.kd
    .uniform_work_group_size: 1
    .uses_dynamic_stack: false
    .vgpr_count:     24
    .vgpr_spill_count: 0
    .wavefront_size: 64
  - .agpr_count:     0
    .args:
      - .actual_access:  write_only
        .address_space:  global
        .offset:         0
        .size:           8
        .value_kind:     global_buffer
      - .actual_access:  read_only
        .address_space:  global
        .offset:         8
        .size:           8
        .value_kind:     global_buffer
      - .actual_access:  read_only
        .address_space:  global
        .offset:         16
        .size:           8
        .value_kind:     global_buffer
      - .actual_access:  read_only
        .address_space:  global
        .offset:         24
        .size:           8
        .value_kind:     global_buffer
      - .offset:         32
        .size:           4
        .value_kind:     by_value
      - .offset:         40
        .size:           8
        .value_kind:     by_value
      - .offset:         48
        .size:           4
        .value_kind:     hidden_block_count_x
      - .offset:         52
        .size:           4
        .value_kind:     hidden_block_count_y
      - .offset:         56
        .size:           4
        .value_kind:     hidden_block_count_z
      - .offset:         60
        .size:           2
        .value_kind:     hidden_group_size_x
      - .offset:         62
        .size:           2
        .value_kind:     hidden_group_size_y
      - .offset:         64
        .size:           2
        .value_kind:     hidden_group_size_z
      - .offset:         66
        .size:           2
        .value_kind:     hidden_remainder_x
      - .offset:         68
        .size:           2
        .value_kind:     hidden_remainder_y
      - .offset:         70
        .size:           2
        .value_kind:     hidden_remainder_z
      - .offset:         88
        .size:           8
        .value_kind:     hidden_global_offset_x
      - .offset:         96
        .size:           8
        .value_kind:     hidden_global_offset_y
      - .offset:         104
        .size:           8
        .value_kind:     hidden_global_offset_z
      - .offset:         112
        .size:           2
        .value_kind:     hidden_grid_dims
    .group_segment_fixed_size: 0
    .kernarg_segment_align: 8
    .kernarg_segment_size: 304
    .language:       OpenCL C
    .language_version:
      - 2
      - 0
    .max_flat_workgroup_size: 1024
    .name:           _ZN5aiter23act_and_mul_bias_kernelIDF16_DF16_sfTnPFfRKT2_EXadL_ZNS_11gelu_kernelIfEEfRKT_EELi2EEEvPT0_PS8_PKT1_PS2_il
    .private_segment_fixed_size: 0
    .sgpr_count:     48
    .sgpr_spill_count: 0
    .symbol:         _ZN5aiter23act_and_mul_bias_kernelIDF16_DF16_sfTnPFfRKT2_EXadL_ZNS_11gelu_kernelIfEEfRKT_EELi2EEEvPT0_PS8_PKT1_PS2_il.kd
    .uniform_work_group_size: 1
    .uses_dynamic_stack: false
    .vgpr_count:     20
    .vgpr_spill_count: 0
    .wavefront_size: 64
  - .agpr_count:     0
    .args:
      - .actual_access:  write_only
        .address_space:  global
        .offset:         0
        .size:           8
        .value_kind:     global_buffer
      - .actual_access:  read_only
        .address_space:  global
        .offset:         8
        .size:           8
        .value_kind:     global_buffer
      - .actual_access:  read_only
        .address_space:  global
        .offset:         16
        .size:           8
        .value_kind:     global_buffer
      - .actual_access:  read_only
        .address_space:  global
        .offset:         24
        .size:           8
        .value_kind:     global_buffer
      - .offset:         32
        .size:           4
        .value_kind:     by_value
      - .offset:         40
        .size:           8
        .value_kind:     by_value
      - .offset:         48
        .size:           4
        .value_kind:     hidden_block_count_x
      - .offset:         52
        .size:           4
        .value_kind:     hidden_block_count_y
      - .offset:         56
        .size:           4
        .value_kind:     hidden_block_count_z
      - .offset:         60
        .size:           2
        .value_kind:     hidden_group_size_x
      - .offset:         62
        .size:           2
        .value_kind:     hidden_group_size_y
      - .offset:         64
        .size:           2
        .value_kind:     hidden_group_size_z
      - .offset:         66
        .size:           2
        .value_kind:     hidden_remainder_x
      - .offset:         68
        .size:           2
        .value_kind:     hidden_remainder_y
      - .offset:         70
        .size:           2
        .value_kind:     hidden_remainder_z
      - .offset:         88
        .size:           8
        .value_kind:     hidden_global_offset_x
      - .offset:         96
        .size:           8
        .value_kind:     hidden_global_offset_y
      - .offset:         104
        .size:           8
        .value_kind:     hidden_global_offset_z
      - .offset:         112
        .size:           2
        .value_kind:     hidden_grid_dims
    .group_segment_fixed_size: 0
    .kernarg_segment_align: 8
    .kernarg_segment_size: 304
    .language:       OpenCL C
    .language_version:
      - 2
      - 0
    .max_flat_workgroup_size: 1024
    .name:           _ZN5aiter23act_and_mul_bias_kernelIDF16_DF16_sfTnPFfRKT2_EXadL_ZNS_11gelu_kernelIfEEfRKT_EELi1EEEvPT0_PS8_PKT1_PS2_il
    .private_segment_fixed_size: 0
    .sgpr_count:     48
    .sgpr_spill_count: 0
    .symbol:         _ZN5aiter23act_and_mul_bias_kernelIDF16_DF16_sfTnPFfRKT2_EXadL_ZNS_11gelu_kernelIfEEfRKT_EELi1EEEvPT0_PS8_PKT1_PS2_il.kd
    .uniform_work_group_size: 1
    .uses_dynamic_stack: false
    .vgpr_count:     15
    .vgpr_spill_count: 0
    .wavefront_size: 64
  - .agpr_count:     0
    .args:
      - .actual_access:  write_only
        .address_space:  global
        .offset:         0
        .size:           8
        .value_kind:     global_buffer
      - .actual_access:  read_only
        .address_space:  global
        .offset:         8
        .size:           8
        .value_kind:     global_buffer
      - .actual_access:  read_only
        .address_space:  global
        .offset:         16
        .size:           8
        .value_kind:     global_buffer
      - .actual_access:  read_only
        .address_space:  global
        .offset:         24
        .size:           8
        .value_kind:     global_buffer
      - .offset:         32
        .size:           4
        .value_kind:     by_value
      - .offset:         40
        .size:           8
        .value_kind:     by_value
      - .offset:         48
        .size:           4
        .value_kind:     hidden_block_count_x
      - .offset:         52
        .size:           4
        .value_kind:     hidden_block_count_y
      - .offset:         56
        .size:           4
        .value_kind:     hidden_block_count_z
      - .offset:         60
        .size:           2
        .value_kind:     hidden_group_size_x
      - .offset:         62
        .size:           2
        .value_kind:     hidden_group_size_y
      - .offset:         64
        .size:           2
        .value_kind:     hidden_group_size_z
      - .offset:         66
        .size:           2
        .value_kind:     hidden_remainder_x
      - .offset:         68
        .size:           2
        .value_kind:     hidden_remainder_y
      - .offset:         70
        .size:           2
        .value_kind:     hidden_remainder_z
      - .offset:         88
        .size:           8
        .value_kind:     hidden_global_offset_x
      - .offset:         96
        .size:           8
        .value_kind:     hidden_global_offset_y
      - .offset:         104
        .size:           8
        .value_kind:     hidden_global_offset_z
      - .offset:         112
        .size:           2
        .value_kind:     hidden_grid_dims
    .group_segment_fixed_size: 0
    .kernarg_segment_align: 8
    .kernarg_segment_size: 304
    .language:       OpenCL C
    .language_version:
      - 2
      - 0
    .max_flat_workgroup_size: 1024
    .name:           _ZN5aiter23act_and_mul_bias_kernelIttsfTnPFfRKT2_EXadL_ZNS_11gelu_kernelIfEEfRKT_EELi32EEEvPT0_PS8_PKT1_PS2_il
    .private_segment_fixed_size: 0
    .sgpr_count:     52
    .sgpr_spill_count: 0
    .symbol:         _ZN5aiter23act_and_mul_bias_kernelIttsfTnPFfRKT2_EXadL_ZNS_11gelu_kernelIfEEfRKT_EELi32EEEvPT0_PS8_PKT1_PS2_il.kd
    .uniform_work_group_size: 1
    .uses_dynamic_stack: false
    .vgpr_count:     108
    .vgpr_spill_count: 0
    .wavefront_size: 64
  - .agpr_count:     0
    .args:
      - .actual_access:  write_only
        .address_space:  global
        .offset:         0
        .size:           8
        .value_kind:     global_buffer
      - .actual_access:  read_only
        .address_space:  global
        .offset:         8
        .size:           8
        .value_kind:     global_buffer
      - .actual_access:  read_only
        .address_space:  global
        .offset:         16
        .size:           8
        .value_kind:     global_buffer
      - .actual_access:  read_only
        .address_space:  global
        .offset:         24
        .size:           8
        .value_kind:     global_buffer
      - .offset:         32
        .size:           4
        .value_kind:     by_value
      - .offset:         40
        .size:           8
        .value_kind:     by_value
      - .offset:         48
        .size:           4
        .value_kind:     hidden_block_count_x
      - .offset:         52
        .size:           4
        .value_kind:     hidden_block_count_y
      - .offset:         56
        .size:           4
        .value_kind:     hidden_block_count_z
      - .offset:         60
        .size:           2
        .value_kind:     hidden_group_size_x
      - .offset:         62
        .size:           2
        .value_kind:     hidden_group_size_y
      - .offset:         64
        .size:           2
        .value_kind:     hidden_group_size_z
      - .offset:         66
        .size:           2
        .value_kind:     hidden_remainder_x
      - .offset:         68
        .size:           2
        .value_kind:     hidden_remainder_y
      - .offset:         70
        .size:           2
        .value_kind:     hidden_remainder_z
      - .offset:         88
        .size:           8
        .value_kind:     hidden_global_offset_x
      - .offset:         96
        .size:           8
        .value_kind:     hidden_global_offset_y
      - .offset:         104
        .size:           8
        .value_kind:     hidden_global_offset_z
      - .offset:         112
        .size:           2
        .value_kind:     hidden_grid_dims
    .group_segment_fixed_size: 0
    .kernarg_segment_align: 8
    .kernarg_segment_size: 304
    .language:       OpenCL C
    .language_version:
      - 2
      - 0
    .max_flat_workgroup_size: 1024
    .name:           _ZN5aiter23act_and_mul_bias_kernelIttsfTnPFfRKT2_EXadL_ZNS_11gelu_kernelIfEEfRKT_EELi16EEEvPT0_PS8_PKT1_PS2_il
    .private_segment_fixed_size: 0
    .sgpr_count:     48
    .sgpr_spill_count: 0
    .symbol:         _ZN5aiter23act_and_mul_bias_kernelIttsfTnPFfRKT2_EXadL_ZNS_11gelu_kernelIfEEfRKT_EELi16EEEvPT0_PS8_PKT1_PS2_il.kd
    .uniform_work_group_size: 1
    .uses_dynamic_stack: false
    .vgpr_count:     60
    .vgpr_spill_count: 0
    .wavefront_size: 64
  - .agpr_count:     0
    .args:
      - .actual_access:  write_only
        .address_space:  global
        .offset:         0
        .size:           8
        .value_kind:     global_buffer
      - .actual_access:  read_only
        .address_space:  global
        .offset:         8
        .size:           8
        .value_kind:     global_buffer
      - .actual_access:  read_only
        .address_space:  global
        .offset:         16
        .size:           8
        .value_kind:     global_buffer
      - .actual_access:  read_only
        .address_space:  global
        .offset:         24
        .size:           8
        .value_kind:     global_buffer
      - .offset:         32
        .size:           4
        .value_kind:     by_value
      - .offset:         40
        .size:           8
        .value_kind:     by_value
      - .offset:         48
        .size:           4
        .value_kind:     hidden_block_count_x
      - .offset:         52
        .size:           4
        .value_kind:     hidden_block_count_y
      - .offset:         56
        .size:           4
        .value_kind:     hidden_block_count_z
      - .offset:         60
        .size:           2
        .value_kind:     hidden_group_size_x
      - .offset:         62
        .size:           2
        .value_kind:     hidden_group_size_y
      - .offset:         64
        .size:           2
        .value_kind:     hidden_group_size_z
      - .offset:         66
        .size:           2
        .value_kind:     hidden_remainder_x
      - .offset:         68
        .size:           2
        .value_kind:     hidden_remainder_y
      - .offset:         70
        .size:           2
        .value_kind:     hidden_remainder_z
      - .offset:         88
        .size:           8
        .value_kind:     hidden_global_offset_x
      - .offset:         96
        .size:           8
        .value_kind:     hidden_global_offset_y
      - .offset:         104
        .size:           8
        .value_kind:     hidden_global_offset_z
      - .offset:         112
        .size:           2
        .value_kind:     hidden_grid_dims
    .group_segment_fixed_size: 0
    .kernarg_segment_align: 8
    .kernarg_segment_size: 304
    .language:       OpenCL C
    .language_version:
      - 2
      - 0
    .max_flat_workgroup_size: 1024
    .name:           _ZN5aiter23act_and_mul_bias_kernelIttsfTnPFfRKT2_EXadL_ZNS_11gelu_kernelIfEEfRKT_EELi8EEEvPT0_PS8_PKT1_PS2_il
    .private_segment_fixed_size: 0
    .sgpr_count:     48
    .sgpr_spill_count: 0
    .symbol:         _ZN5aiter23act_and_mul_bias_kernelIttsfTnPFfRKT2_EXadL_ZNS_11gelu_kernelIfEEfRKT_EELi8EEEvPT0_PS8_PKT1_PS2_il.kd
    .uniform_work_group_size: 1
    .uses_dynamic_stack: false
    .vgpr_count:     36
    .vgpr_spill_count: 0
    .wavefront_size: 64
  - .agpr_count:     0
    .args:
      - .actual_access:  write_only
        .address_space:  global
        .offset:         0
        .size:           8
        .value_kind:     global_buffer
      - .actual_access:  read_only
        .address_space:  global
        .offset:         8
        .size:           8
        .value_kind:     global_buffer
      - .actual_access:  read_only
        .address_space:  global
        .offset:         16
        .size:           8
        .value_kind:     global_buffer
      - .actual_access:  read_only
        .address_space:  global
        .offset:         24
        .size:           8
        .value_kind:     global_buffer
      - .offset:         32
        .size:           4
        .value_kind:     by_value
      - .offset:         40
        .size:           8
        .value_kind:     by_value
      - .offset:         48
        .size:           4
        .value_kind:     hidden_block_count_x
      - .offset:         52
        .size:           4
        .value_kind:     hidden_block_count_y
      - .offset:         56
        .size:           4
        .value_kind:     hidden_block_count_z
      - .offset:         60
        .size:           2
        .value_kind:     hidden_group_size_x
      - .offset:         62
        .size:           2
        .value_kind:     hidden_group_size_y
      - .offset:         64
        .size:           2
        .value_kind:     hidden_group_size_z
      - .offset:         66
        .size:           2
        .value_kind:     hidden_remainder_x
      - .offset:         68
        .size:           2
        .value_kind:     hidden_remainder_y
      - .offset:         70
        .size:           2
        .value_kind:     hidden_remainder_z
      - .offset:         88
        .size:           8
        .value_kind:     hidden_global_offset_x
      - .offset:         96
        .size:           8
        .value_kind:     hidden_global_offset_y
      - .offset:         104
        .size:           8
        .value_kind:     hidden_global_offset_z
      - .offset:         112
        .size:           2
        .value_kind:     hidden_grid_dims
    .group_segment_fixed_size: 0
    .kernarg_segment_align: 8
    .kernarg_segment_size: 304
    .language:       OpenCL C
    .language_version:
      - 2
      - 0
    .max_flat_workgroup_size: 1024
    .name:           _ZN5aiter23act_and_mul_bias_kernelIttsfTnPFfRKT2_EXadL_ZNS_11gelu_kernelIfEEfRKT_EELi4EEEvPT0_PS8_PKT1_PS2_il
    .private_segment_fixed_size: 0
    .sgpr_count:     48
    .sgpr_spill_count: 0
    .symbol:         _ZN5aiter23act_and_mul_bias_kernelIttsfTnPFfRKT2_EXadL_ZNS_11gelu_kernelIfEEfRKT_EELi4EEEvPT0_PS8_PKT1_PS2_il.kd
    .uniform_work_group_size: 1
    .uses_dynamic_stack: false
    .vgpr_count:     24
    .vgpr_spill_count: 0
    .wavefront_size: 64
  - .agpr_count:     0
    .args:
      - .actual_access:  write_only
        .address_space:  global
        .offset:         0
        .size:           8
        .value_kind:     global_buffer
      - .actual_access:  read_only
        .address_space:  global
        .offset:         8
        .size:           8
        .value_kind:     global_buffer
      - .actual_access:  read_only
        .address_space:  global
        .offset:         16
        .size:           8
        .value_kind:     global_buffer
      - .actual_access:  read_only
        .address_space:  global
        .offset:         24
        .size:           8
        .value_kind:     global_buffer
      - .offset:         32
        .size:           4
        .value_kind:     by_value
      - .offset:         40
        .size:           8
        .value_kind:     by_value
      - .offset:         48
        .size:           4
        .value_kind:     hidden_block_count_x
      - .offset:         52
        .size:           4
        .value_kind:     hidden_block_count_y
      - .offset:         56
        .size:           4
        .value_kind:     hidden_block_count_z
      - .offset:         60
        .size:           2
        .value_kind:     hidden_group_size_x
      - .offset:         62
        .size:           2
        .value_kind:     hidden_group_size_y
      - .offset:         64
        .size:           2
        .value_kind:     hidden_group_size_z
      - .offset:         66
        .size:           2
        .value_kind:     hidden_remainder_x
      - .offset:         68
        .size:           2
        .value_kind:     hidden_remainder_y
      - .offset:         70
        .size:           2
        .value_kind:     hidden_remainder_z
      - .offset:         88
        .size:           8
        .value_kind:     hidden_global_offset_x
      - .offset:         96
        .size:           8
        .value_kind:     hidden_global_offset_y
      - .offset:         104
        .size:           8
        .value_kind:     hidden_global_offset_z
      - .offset:         112
        .size:           2
        .value_kind:     hidden_grid_dims
    .group_segment_fixed_size: 0
    .kernarg_segment_align: 8
    .kernarg_segment_size: 304
    .language:       OpenCL C
    .language_version:
      - 2
      - 0
    .max_flat_workgroup_size: 1024
    .name:           _ZN5aiter23act_and_mul_bias_kernelIttsfTnPFfRKT2_EXadL_ZNS_11gelu_kernelIfEEfRKT_EELi2EEEvPT0_PS8_PKT1_PS2_il
    .private_segment_fixed_size: 0
    .sgpr_count:     50
    .sgpr_spill_count: 0
    .symbol:         _ZN5aiter23act_and_mul_bias_kernelIttsfTnPFfRKT2_EXadL_ZNS_11gelu_kernelIfEEfRKT_EELi2EEEvPT0_PS8_PKT1_PS2_il.kd
    .uniform_work_group_size: 1
    .uses_dynamic_stack: false
    .vgpr_count:     20
    .vgpr_spill_count: 0
    .wavefront_size: 64
  - .agpr_count:     0
    .args:
      - .actual_access:  write_only
        .address_space:  global
        .offset:         0
        .size:           8
        .value_kind:     global_buffer
      - .actual_access:  read_only
        .address_space:  global
        .offset:         8
        .size:           8
        .value_kind:     global_buffer
      - .actual_access:  read_only
        .address_space:  global
        .offset:         16
        .size:           8
        .value_kind:     global_buffer
      - .actual_access:  read_only
        .address_space:  global
        .offset:         24
        .size:           8
        .value_kind:     global_buffer
      - .offset:         32
        .size:           4
        .value_kind:     by_value
      - .offset:         40
        .size:           8
        .value_kind:     by_value
      - .offset:         48
        .size:           4
        .value_kind:     hidden_block_count_x
      - .offset:         52
        .size:           4
        .value_kind:     hidden_block_count_y
      - .offset:         56
        .size:           4
        .value_kind:     hidden_block_count_z
      - .offset:         60
        .size:           2
        .value_kind:     hidden_group_size_x
      - .offset:         62
        .size:           2
        .value_kind:     hidden_group_size_y
      - .offset:         64
        .size:           2
        .value_kind:     hidden_group_size_z
      - .offset:         66
        .size:           2
        .value_kind:     hidden_remainder_x
      - .offset:         68
        .size:           2
        .value_kind:     hidden_remainder_y
      - .offset:         70
        .size:           2
        .value_kind:     hidden_remainder_z
      - .offset:         88
        .size:           8
        .value_kind:     hidden_global_offset_x
      - .offset:         96
        .size:           8
        .value_kind:     hidden_global_offset_y
      - .offset:         104
        .size:           8
        .value_kind:     hidden_global_offset_z
      - .offset:         112
        .size:           2
        .value_kind:     hidden_grid_dims
    .group_segment_fixed_size: 0
    .kernarg_segment_align: 8
    .kernarg_segment_size: 304
    .language:       OpenCL C
    .language_version:
      - 2
      - 0
    .max_flat_workgroup_size: 1024
    .name:           _ZN5aiter23act_and_mul_bias_kernelIttsfTnPFfRKT2_EXadL_ZNS_11gelu_kernelIfEEfRKT_EELi1EEEvPT0_PS8_PKT1_PS2_il
    .private_segment_fixed_size: 0
    .sgpr_count:     48
    .sgpr_spill_count: 0
    .symbol:         _ZN5aiter23act_and_mul_bias_kernelIttsfTnPFfRKT2_EXadL_ZNS_11gelu_kernelIfEEfRKT_EELi1EEEvPT0_PS8_PKT1_PS2_il.kd
    .uniform_work_group_size: 1
    .uses_dynamic_stack: false
    .vgpr_count:     15
    .vgpr_spill_count: 0
    .wavefront_size: 64
  - .agpr_count:     0
    .args:
      - .actual_access:  write_only
        .address_space:  global
        .offset:         0
        .size:           8
        .value_kind:     global_buffer
      - .actual_access:  read_only
        .address_space:  global
        .offset:         8
        .size:           8
        .value_kind:     global_buffer
      - .actual_access:  read_only
        .address_space:  global
        .offset:         16
        .size:           8
        .value_kind:     global_buffer
      - .actual_access:  read_only
        .address_space:  global
        .offset:         24
        .size:           8
        .value_kind:     global_buffer
      - .offset:         32
        .size:           4
        .value_kind:     by_value
      - .offset:         40
        .size:           8
        .value_kind:     by_value
      - .offset:         48
        .size:           4
        .value_kind:     hidden_block_count_x
      - .offset:         52
        .size:           4
        .value_kind:     hidden_block_count_y
      - .offset:         56
        .size:           4
        .value_kind:     hidden_block_count_z
      - .offset:         60
        .size:           2
        .value_kind:     hidden_group_size_x
      - .offset:         62
        .size:           2
        .value_kind:     hidden_group_size_y
      - .offset:         64
        .size:           2
        .value_kind:     hidden_group_size_z
      - .offset:         66
        .size:           2
        .value_kind:     hidden_remainder_x
      - .offset:         68
        .size:           2
        .value_kind:     hidden_remainder_y
      - .offset:         70
        .size:           2
        .value_kind:     hidden_remainder_z
      - .offset:         88
        .size:           8
        .value_kind:     hidden_global_offset_x
      - .offset:         96
        .size:           8
        .value_kind:     hidden_global_offset_y
      - .offset:         104
        .size:           8
        .value_kind:     hidden_global_offset_z
      - .offset:         112
        .size:           2
        .value_kind:     hidden_grid_dims
    .group_segment_fixed_size: 0
    .kernarg_segment_align: 8
    .kernarg_segment_size: 304
    .language:       OpenCL C
    .language_version:
      - 2
      - 0
    .max_flat_workgroup_size: 1024
    .name:           _ZN5aiter23act_and_mul_bias_kernelIftifTnPFfRKT2_EXadL_ZNS_11gelu_kernelIfEEfRKT_EELi16EEEvPT0_PS8_PKT1_PS2_il
    .private_segment_fixed_size: 0
    .sgpr_count:     46
    .sgpr_spill_count: 0
    .symbol:         _ZN5aiter23act_and_mul_bias_kernelIftifTnPFfRKT2_EXadL_ZNS_11gelu_kernelIfEEfRKT_EELi16EEEvPT0_PS8_PKT1_PS2_il.kd
    .uniform_work_group_size: 1
    .uses_dynamic_stack: false
    .vgpr_count:     74
    .vgpr_spill_count: 0
    .wavefront_size: 64
  - .agpr_count:     0
    .args:
      - .actual_access:  write_only
        .address_space:  global
        .offset:         0
        .size:           8
        .value_kind:     global_buffer
      - .actual_access:  read_only
        .address_space:  global
        .offset:         8
        .size:           8
        .value_kind:     global_buffer
      - .actual_access:  read_only
        .address_space:  global
        .offset:         16
        .size:           8
        .value_kind:     global_buffer
      - .actual_access:  read_only
        .address_space:  global
        .offset:         24
        .size:           8
        .value_kind:     global_buffer
      - .offset:         32
        .size:           4
        .value_kind:     by_value
      - .offset:         40
        .size:           8
        .value_kind:     by_value
      - .offset:         48
        .size:           4
        .value_kind:     hidden_block_count_x
      - .offset:         52
        .size:           4
        .value_kind:     hidden_block_count_y
      - .offset:         56
        .size:           4
        .value_kind:     hidden_block_count_z
      - .offset:         60
        .size:           2
        .value_kind:     hidden_group_size_x
      - .offset:         62
        .size:           2
        .value_kind:     hidden_group_size_y
      - .offset:         64
        .size:           2
        .value_kind:     hidden_group_size_z
      - .offset:         66
        .size:           2
        .value_kind:     hidden_remainder_x
      - .offset:         68
        .size:           2
        .value_kind:     hidden_remainder_y
      - .offset:         70
        .size:           2
        .value_kind:     hidden_remainder_z
      - .offset:         88
        .size:           8
        .value_kind:     hidden_global_offset_x
      - .offset:         96
        .size:           8
        .value_kind:     hidden_global_offset_y
      - .offset:         104
        .size:           8
        .value_kind:     hidden_global_offset_z
      - .offset:         112
        .size:           2
        .value_kind:     hidden_grid_dims
    .group_segment_fixed_size: 0
    .kernarg_segment_align: 8
    .kernarg_segment_size: 304
    .language:       OpenCL C
    .language_version:
      - 2
      - 0
    .max_flat_workgroup_size: 1024
    .name:           _ZN5aiter23act_and_mul_bias_kernelIftifTnPFfRKT2_EXadL_ZNS_11gelu_kernelIfEEfRKT_EELi8EEEvPT0_PS8_PKT1_PS2_il
    .private_segment_fixed_size: 0
    .sgpr_count:     48
    .sgpr_spill_count: 0
    .symbol:         _ZN5aiter23act_and_mul_bias_kernelIftifTnPFfRKT2_EXadL_ZNS_11gelu_kernelIfEEfRKT_EELi8EEEvPT0_PS8_PKT1_PS2_il.kd
    .uniform_work_group_size: 1
    .uses_dynamic_stack: false
    .vgpr_count:     42
    .vgpr_spill_count: 0
    .wavefront_size: 64
  - .agpr_count:     0
    .args:
      - .actual_access:  write_only
        .address_space:  global
        .offset:         0
        .size:           8
        .value_kind:     global_buffer
      - .actual_access:  read_only
        .address_space:  global
        .offset:         8
        .size:           8
        .value_kind:     global_buffer
      - .actual_access:  read_only
        .address_space:  global
        .offset:         16
        .size:           8
        .value_kind:     global_buffer
      - .actual_access:  read_only
        .address_space:  global
        .offset:         24
        .size:           8
        .value_kind:     global_buffer
      - .offset:         32
        .size:           4
        .value_kind:     by_value
      - .offset:         40
        .size:           8
        .value_kind:     by_value
      - .offset:         48
        .size:           4
        .value_kind:     hidden_block_count_x
      - .offset:         52
        .size:           4
        .value_kind:     hidden_block_count_y
      - .offset:         56
        .size:           4
        .value_kind:     hidden_block_count_z
      - .offset:         60
        .size:           2
        .value_kind:     hidden_group_size_x
      - .offset:         62
        .size:           2
        .value_kind:     hidden_group_size_y
      - .offset:         64
        .size:           2
        .value_kind:     hidden_group_size_z
      - .offset:         66
        .size:           2
        .value_kind:     hidden_remainder_x
      - .offset:         68
        .size:           2
        .value_kind:     hidden_remainder_y
      - .offset:         70
        .size:           2
        .value_kind:     hidden_remainder_z
      - .offset:         88
        .size:           8
        .value_kind:     hidden_global_offset_x
      - .offset:         96
        .size:           8
        .value_kind:     hidden_global_offset_y
      - .offset:         104
        .size:           8
        .value_kind:     hidden_global_offset_z
      - .offset:         112
        .size:           2
        .value_kind:     hidden_grid_dims
    .group_segment_fixed_size: 0
    .kernarg_segment_align: 8
    .kernarg_segment_size: 304
    .language:       OpenCL C
    .language_version:
      - 2
      - 0
    .max_flat_workgroup_size: 1024
    .name:           _ZN5aiter23act_and_mul_bias_kernelIftifTnPFfRKT2_EXadL_ZNS_11gelu_kernelIfEEfRKT_EELi4EEEvPT0_PS8_PKT1_PS2_il
    .private_segment_fixed_size: 0
    .sgpr_count:     48
    .sgpr_spill_count: 0
    .symbol:         _ZN5aiter23act_and_mul_bias_kernelIftifTnPFfRKT2_EXadL_ZNS_11gelu_kernelIfEEfRKT_EELi4EEEvPT0_PS8_PKT1_PS2_il.kd
    .uniform_work_group_size: 1
    .uses_dynamic_stack: false
    .vgpr_count:     26
    .vgpr_spill_count: 0
    .wavefront_size: 64
  - .agpr_count:     0
    .args:
      - .actual_access:  write_only
        .address_space:  global
        .offset:         0
        .size:           8
        .value_kind:     global_buffer
      - .actual_access:  read_only
        .address_space:  global
        .offset:         8
        .size:           8
        .value_kind:     global_buffer
      - .actual_access:  read_only
        .address_space:  global
        .offset:         16
        .size:           8
        .value_kind:     global_buffer
      - .actual_access:  read_only
        .address_space:  global
        .offset:         24
        .size:           8
        .value_kind:     global_buffer
      - .offset:         32
        .size:           4
        .value_kind:     by_value
      - .offset:         40
        .size:           8
        .value_kind:     by_value
      - .offset:         48
        .size:           4
        .value_kind:     hidden_block_count_x
      - .offset:         52
        .size:           4
        .value_kind:     hidden_block_count_y
      - .offset:         56
        .size:           4
        .value_kind:     hidden_block_count_z
      - .offset:         60
        .size:           2
        .value_kind:     hidden_group_size_x
      - .offset:         62
        .size:           2
        .value_kind:     hidden_group_size_y
      - .offset:         64
        .size:           2
        .value_kind:     hidden_group_size_z
      - .offset:         66
        .size:           2
        .value_kind:     hidden_remainder_x
      - .offset:         68
        .size:           2
        .value_kind:     hidden_remainder_y
      - .offset:         70
        .size:           2
        .value_kind:     hidden_remainder_z
      - .offset:         88
        .size:           8
        .value_kind:     hidden_global_offset_x
      - .offset:         96
        .size:           8
        .value_kind:     hidden_global_offset_y
      - .offset:         104
        .size:           8
        .value_kind:     hidden_global_offset_z
      - .offset:         112
        .size:           2
        .value_kind:     hidden_grid_dims
    .group_segment_fixed_size: 0
    .kernarg_segment_align: 8
    .kernarg_segment_size: 304
    .language:       OpenCL C
    .language_version:
      - 2
      - 0
    .max_flat_workgroup_size: 1024
    .name:           _ZN5aiter23act_and_mul_bias_kernelIftifTnPFfRKT2_EXadL_ZNS_11gelu_kernelIfEEfRKT_EELi2EEEvPT0_PS8_PKT1_PS2_il
    .private_segment_fixed_size: 0
    .sgpr_count:     50
    .sgpr_spill_count: 0
    .symbol:         _ZN5aiter23act_and_mul_bias_kernelIftifTnPFfRKT2_EXadL_ZNS_11gelu_kernelIfEEfRKT_EELi2EEEvPT0_PS8_PKT1_PS2_il.kd
    .uniform_work_group_size: 1
    .uses_dynamic_stack: false
    .vgpr_count:     19
    .vgpr_spill_count: 0
    .wavefront_size: 64
  - .agpr_count:     0
    .args:
      - .actual_access:  write_only
        .address_space:  global
        .offset:         0
        .size:           8
        .value_kind:     global_buffer
      - .actual_access:  read_only
        .address_space:  global
        .offset:         8
        .size:           8
        .value_kind:     global_buffer
      - .actual_access:  read_only
        .address_space:  global
        .offset:         16
        .size:           8
        .value_kind:     global_buffer
      - .actual_access:  read_only
        .address_space:  global
        .offset:         24
        .size:           8
        .value_kind:     global_buffer
      - .offset:         32
        .size:           4
        .value_kind:     by_value
      - .offset:         40
        .size:           8
        .value_kind:     by_value
      - .offset:         48
        .size:           4
        .value_kind:     hidden_block_count_x
      - .offset:         52
        .size:           4
        .value_kind:     hidden_block_count_y
      - .offset:         56
        .size:           4
        .value_kind:     hidden_block_count_z
      - .offset:         60
        .size:           2
        .value_kind:     hidden_group_size_x
      - .offset:         62
        .size:           2
        .value_kind:     hidden_group_size_y
      - .offset:         64
        .size:           2
        .value_kind:     hidden_group_size_z
      - .offset:         66
        .size:           2
        .value_kind:     hidden_remainder_x
      - .offset:         68
        .size:           2
        .value_kind:     hidden_remainder_y
      - .offset:         70
        .size:           2
        .value_kind:     hidden_remainder_z
      - .offset:         88
        .size:           8
        .value_kind:     hidden_global_offset_x
      - .offset:         96
        .size:           8
        .value_kind:     hidden_global_offset_y
      - .offset:         104
        .size:           8
        .value_kind:     hidden_global_offset_z
      - .offset:         112
        .size:           2
        .value_kind:     hidden_grid_dims
    .group_segment_fixed_size: 0
    .kernarg_segment_align: 8
    .kernarg_segment_size: 304
    .language:       OpenCL C
    .language_version:
      - 2
      - 0
    .max_flat_workgroup_size: 1024
    .name:           _ZN5aiter23act_and_mul_bias_kernelIftifTnPFfRKT2_EXadL_ZNS_11gelu_kernelIfEEfRKT_EELi1EEEvPT0_PS8_PKT1_PS2_il
    .private_segment_fixed_size: 0
    .sgpr_count:     48
    .sgpr_spill_count: 0
    .symbol:         _ZN5aiter23act_and_mul_bias_kernelIftifTnPFfRKT2_EXadL_ZNS_11gelu_kernelIfEEfRKT_EELi1EEEvPT0_PS8_PKT1_PS2_il.kd
    .uniform_work_group_size: 1
    .uses_dynamic_stack: false
    .vgpr_count:     15
    .vgpr_spill_count: 0
    .wavefront_size: 64
  - .agpr_count:     0
    .args:
      - .actual_access:  write_only
        .address_space:  global
        .offset:         0
        .size:           8
        .value_kind:     global_buffer
      - .actual_access:  read_only
        .address_space:  global
        .offset:         8
        .size:           8
        .value_kind:     global_buffer
      - .actual_access:  read_only
        .address_space:  global
        .offset:         16
        .size:           8
        .value_kind:     global_buffer
      - .actual_access:  read_only
        .address_space:  global
        .offset:         24
        .size:           8
        .value_kind:     global_buffer
      - .offset:         32
        .size:           4
        .value_kind:     by_value
      - .offset:         40
        .size:           8
        .value_kind:     by_value
      - .offset:         48
        .size:           4
        .value_kind:     hidden_block_count_x
      - .offset:         52
        .size:           4
        .value_kind:     hidden_block_count_y
      - .offset:         56
        .size:           4
        .value_kind:     hidden_block_count_z
      - .offset:         60
        .size:           2
        .value_kind:     hidden_group_size_x
      - .offset:         62
        .size:           2
        .value_kind:     hidden_group_size_y
      - .offset:         64
        .size:           2
        .value_kind:     hidden_group_size_z
      - .offset:         66
        .size:           2
        .value_kind:     hidden_remainder_x
      - .offset:         68
        .size:           2
        .value_kind:     hidden_remainder_y
      - .offset:         70
        .size:           2
        .value_kind:     hidden_remainder_z
      - .offset:         88
        .size:           8
        .value_kind:     hidden_global_offset_x
      - .offset:         96
        .size:           8
        .value_kind:     hidden_global_offset_y
      - .offset:         104
        .size:           8
        .value_kind:     hidden_global_offset_z
      - .offset:         112
        .size:           2
        .value_kind:     hidden_grid_dims
    .group_segment_fixed_size: 0
    .kernarg_segment_align: 8
    .kernarg_segment_size: 304
    .language:       OpenCL C
    .language_version:
      - 2
      - 0
    .max_flat_workgroup_size: 1024
    .name:           _ZN5aiter23act_and_mul_bias_kernelIfDF16_ifTnPFfRKT2_EXadL_ZNS_11gelu_kernelIfEEfRKT_EELi16EEEvPT0_PS8_PKT1_PS2_il
    .private_segment_fixed_size: 0
    .sgpr_count:     48
    .sgpr_spill_count: 0
    .symbol:         _ZN5aiter23act_and_mul_bias_kernelIfDF16_ifTnPFfRKT2_EXadL_ZNS_11gelu_kernelIfEEfRKT_EELi16EEEvPT0_PS8_PKT1_PS2_il.kd
    .uniform_work_group_size: 1
    .uses_dynamic_stack: false
    .vgpr_count:     74
    .vgpr_spill_count: 0
    .wavefront_size: 64
  - .agpr_count:     0
    .args:
      - .actual_access:  write_only
        .address_space:  global
        .offset:         0
        .size:           8
        .value_kind:     global_buffer
      - .actual_access:  read_only
        .address_space:  global
        .offset:         8
        .size:           8
        .value_kind:     global_buffer
      - .actual_access:  read_only
        .address_space:  global
        .offset:         16
        .size:           8
        .value_kind:     global_buffer
      - .actual_access:  read_only
        .address_space:  global
        .offset:         24
        .size:           8
        .value_kind:     global_buffer
      - .offset:         32
        .size:           4
        .value_kind:     by_value
      - .offset:         40
        .size:           8
        .value_kind:     by_value
      - .offset:         48
        .size:           4
        .value_kind:     hidden_block_count_x
      - .offset:         52
        .size:           4
        .value_kind:     hidden_block_count_y
      - .offset:         56
        .size:           4
        .value_kind:     hidden_block_count_z
      - .offset:         60
        .size:           2
        .value_kind:     hidden_group_size_x
      - .offset:         62
        .size:           2
        .value_kind:     hidden_group_size_y
      - .offset:         64
        .size:           2
        .value_kind:     hidden_group_size_z
      - .offset:         66
        .size:           2
        .value_kind:     hidden_remainder_x
      - .offset:         68
        .size:           2
        .value_kind:     hidden_remainder_y
      - .offset:         70
        .size:           2
        .value_kind:     hidden_remainder_z
      - .offset:         88
        .size:           8
        .value_kind:     hidden_global_offset_x
      - .offset:         96
        .size:           8
        .value_kind:     hidden_global_offset_y
      - .offset:         104
        .size:           8
        .value_kind:     hidden_global_offset_z
      - .offset:         112
        .size:           2
        .value_kind:     hidden_grid_dims
    .group_segment_fixed_size: 0
    .kernarg_segment_align: 8
    .kernarg_segment_size: 304
    .language:       OpenCL C
    .language_version:
      - 2
      - 0
    .max_flat_workgroup_size: 1024
    .name:           _ZN5aiter23act_and_mul_bias_kernelIfDF16_ifTnPFfRKT2_EXadL_ZNS_11gelu_kernelIfEEfRKT_EELi8EEEvPT0_PS8_PKT1_PS2_il
    .private_segment_fixed_size: 0
    .sgpr_count:     48
    .sgpr_spill_count: 0
    .symbol:         _ZN5aiter23act_and_mul_bias_kernelIfDF16_ifTnPFfRKT2_EXadL_ZNS_11gelu_kernelIfEEfRKT_EELi8EEEvPT0_PS8_PKT1_PS2_il.kd
    .uniform_work_group_size: 1
    .uses_dynamic_stack: false
    .vgpr_count:     42
    .vgpr_spill_count: 0
    .wavefront_size: 64
  - .agpr_count:     0
    .args:
      - .actual_access:  write_only
        .address_space:  global
        .offset:         0
        .size:           8
        .value_kind:     global_buffer
      - .actual_access:  read_only
        .address_space:  global
        .offset:         8
        .size:           8
        .value_kind:     global_buffer
      - .actual_access:  read_only
        .address_space:  global
        .offset:         16
        .size:           8
        .value_kind:     global_buffer
      - .actual_access:  read_only
        .address_space:  global
        .offset:         24
        .size:           8
        .value_kind:     global_buffer
      - .offset:         32
        .size:           4
        .value_kind:     by_value
      - .offset:         40
        .size:           8
        .value_kind:     by_value
      - .offset:         48
        .size:           4
        .value_kind:     hidden_block_count_x
      - .offset:         52
        .size:           4
        .value_kind:     hidden_block_count_y
      - .offset:         56
        .size:           4
        .value_kind:     hidden_block_count_z
      - .offset:         60
        .size:           2
        .value_kind:     hidden_group_size_x
      - .offset:         62
        .size:           2
        .value_kind:     hidden_group_size_y
      - .offset:         64
        .size:           2
        .value_kind:     hidden_group_size_z
      - .offset:         66
        .size:           2
        .value_kind:     hidden_remainder_x
      - .offset:         68
        .size:           2
        .value_kind:     hidden_remainder_y
      - .offset:         70
        .size:           2
        .value_kind:     hidden_remainder_z
      - .offset:         88
        .size:           8
        .value_kind:     hidden_global_offset_x
      - .offset:         96
        .size:           8
        .value_kind:     hidden_global_offset_y
      - .offset:         104
        .size:           8
        .value_kind:     hidden_global_offset_z
      - .offset:         112
        .size:           2
        .value_kind:     hidden_grid_dims
    .group_segment_fixed_size: 0
    .kernarg_segment_align: 8
    .kernarg_segment_size: 304
    .language:       OpenCL C
    .language_version:
      - 2
      - 0
    .max_flat_workgroup_size: 1024
    .name:           _ZN5aiter23act_and_mul_bias_kernelIfDF16_ifTnPFfRKT2_EXadL_ZNS_11gelu_kernelIfEEfRKT_EELi4EEEvPT0_PS8_PKT1_PS2_il
    .private_segment_fixed_size: 0
    .sgpr_count:     45
    .sgpr_spill_count: 0
    .symbol:         _ZN5aiter23act_and_mul_bias_kernelIfDF16_ifTnPFfRKT2_EXadL_ZNS_11gelu_kernelIfEEfRKT_EELi4EEEvPT0_PS8_PKT1_PS2_il.kd
    .uniform_work_group_size: 1
    .uses_dynamic_stack: false
    .vgpr_count:     26
    .vgpr_spill_count: 0
    .wavefront_size: 64
  - .agpr_count:     0
    .args:
      - .actual_access:  write_only
        .address_space:  global
        .offset:         0
        .size:           8
        .value_kind:     global_buffer
      - .actual_access:  read_only
        .address_space:  global
        .offset:         8
        .size:           8
        .value_kind:     global_buffer
      - .actual_access:  read_only
        .address_space:  global
        .offset:         16
        .size:           8
        .value_kind:     global_buffer
      - .actual_access:  read_only
        .address_space:  global
        .offset:         24
        .size:           8
        .value_kind:     global_buffer
      - .offset:         32
        .size:           4
        .value_kind:     by_value
      - .offset:         40
        .size:           8
        .value_kind:     by_value
      - .offset:         48
        .size:           4
        .value_kind:     hidden_block_count_x
      - .offset:         52
        .size:           4
        .value_kind:     hidden_block_count_y
      - .offset:         56
        .size:           4
        .value_kind:     hidden_block_count_z
      - .offset:         60
        .size:           2
        .value_kind:     hidden_group_size_x
      - .offset:         62
        .size:           2
        .value_kind:     hidden_group_size_y
      - .offset:         64
        .size:           2
        .value_kind:     hidden_group_size_z
      - .offset:         66
        .size:           2
        .value_kind:     hidden_remainder_x
      - .offset:         68
        .size:           2
        .value_kind:     hidden_remainder_y
      - .offset:         70
        .size:           2
        .value_kind:     hidden_remainder_z
      - .offset:         88
        .size:           8
        .value_kind:     hidden_global_offset_x
      - .offset:         96
        .size:           8
        .value_kind:     hidden_global_offset_y
      - .offset:         104
        .size:           8
        .value_kind:     hidden_global_offset_z
      - .offset:         112
        .size:           2
        .value_kind:     hidden_grid_dims
    .group_segment_fixed_size: 0
    .kernarg_segment_align: 8
    .kernarg_segment_size: 304
    .language:       OpenCL C
    .language_version:
      - 2
      - 0
    .max_flat_workgroup_size: 1024
    .name:           _ZN5aiter23act_and_mul_bias_kernelIfDF16_ifTnPFfRKT2_EXadL_ZNS_11gelu_kernelIfEEfRKT_EELi2EEEvPT0_PS8_PKT1_PS2_il
    .private_segment_fixed_size: 0
    .sgpr_count:     46
    .sgpr_spill_count: 0
    .symbol:         _ZN5aiter23act_and_mul_bias_kernelIfDF16_ifTnPFfRKT2_EXadL_ZNS_11gelu_kernelIfEEfRKT_EELi2EEEvPT0_PS8_PKT1_PS2_il.kd
    .uniform_work_group_size: 1
    .uses_dynamic_stack: false
    .vgpr_count:     19
    .vgpr_spill_count: 0
    .wavefront_size: 64
  - .agpr_count:     0
    .args:
      - .actual_access:  write_only
        .address_space:  global
        .offset:         0
        .size:           8
        .value_kind:     global_buffer
      - .actual_access:  read_only
        .address_space:  global
        .offset:         8
        .size:           8
        .value_kind:     global_buffer
      - .actual_access:  read_only
        .address_space:  global
        .offset:         16
        .size:           8
        .value_kind:     global_buffer
      - .actual_access:  read_only
        .address_space:  global
        .offset:         24
        .size:           8
        .value_kind:     global_buffer
      - .offset:         32
        .size:           4
        .value_kind:     by_value
      - .offset:         40
        .size:           8
        .value_kind:     by_value
      - .offset:         48
        .size:           4
        .value_kind:     hidden_block_count_x
      - .offset:         52
        .size:           4
        .value_kind:     hidden_block_count_y
      - .offset:         56
        .size:           4
        .value_kind:     hidden_block_count_z
      - .offset:         60
        .size:           2
        .value_kind:     hidden_group_size_x
      - .offset:         62
        .size:           2
        .value_kind:     hidden_group_size_y
      - .offset:         64
        .size:           2
        .value_kind:     hidden_group_size_z
      - .offset:         66
        .size:           2
        .value_kind:     hidden_remainder_x
      - .offset:         68
        .size:           2
        .value_kind:     hidden_remainder_y
      - .offset:         70
        .size:           2
        .value_kind:     hidden_remainder_z
      - .offset:         88
        .size:           8
        .value_kind:     hidden_global_offset_x
      - .offset:         96
        .size:           8
        .value_kind:     hidden_global_offset_y
      - .offset:         104
        .size:           8
        .value_kind:     hidden_global_offset_z
      - .offset:         112
        .size:           2
        .value_kind:     hidden_grid_dims
    .group_segment_fixed_size: 0
    .kernarg_segment_align: 8
    .kernarg_segment_size: 304
    .language:       OpenCL C
    .language_version:
      - 2
      - 0
    .max_flat_workgroup_size: 1024
    .name:           _ZN5aiter23act_and_mul_bias_kernelIfDF16_ifTnPFfRKT2_EXadL_ZNS_11gelu_kernelIfEEfRKT_EELi1EEEvPT0_PS8_PKT1_PS2_il
    .private_segment_fixed_size: 0
    .sgpr_count:     48
    .sgpr_spill_count: 0
    .symbol:         _ZN5aiter23act_and_mul_bias_kernelIfDF16_ifTnPFfRKT2_EXadL_ZNS_11gelu_kernelIfEEfRKT_EELi1EEEvPT0_PS8_PKT1_PS2_il.kd
    .uniform_work_group_size: 1
    .uses_dynamic_stack: false
    .vgpr_count:     15
    .vgpr_spill_count: 0
    .wavefront_size: 64
  - .agpr_count:     0
    .args:
      - .actual_access:  write_only
        .address_space:  global
        .offset:         0
        .size:           8
        .value_kind:     global_buffer
      - .actual_access:  read_only
        .address_space:  global
        .offset:         8
        .size:           8
        .value_kind:     global_buffer
      - .actual_access:  read_only
        .address_space:  global
        .offset:         16
        .size:           8
        .value_kind:     global_buffer
      - .actual_access:  read_only
        .address_space:  global
        .offset:         24
        .size:           8
        .value_kind:     global_buffer
      - .offset:         32
        .size:           4
        .value_kind:     by_value
      - .offset:         40
        .size:           8
        .value_kind:     by_value
      - .offset:         48
        .size:           4
        .value_kind:     hidden_block_count_x
      - .offset:         52
        .size:           4
        .value_kind:     hidden_block_count_y
      - .offset:         56
        .size:           4
        .value_kind:     hidden_block_count_z
      - .offset:         60
        .size:           2
        .value_kind:     hidden_group_size_x
      - .offset:         62
        .size:           2
        .value_kind:     hidden_group_size_y
      - .offset:         64
        .size:           2
        .value_kind:     hidden_group_size_z
      - .offset:         66
        .size:           2
        .value_kind:     hidden_remainder_x
      - .offset:         68
        .size:           2
        .value_kind:     hidden_remainder_y
      - .offset:         70
        .size:           2
        .value_kind:     hidden_remainder_z
      - .offset:         88
        .size:           8
        .value_kind:     hidden_global_offset_x
      - .offset:         96
        .size:           8
        .value_kind:     hidden_global_offset_y
      - .offset:         104
        .size:           8
        .value_kind:     hidden_global_offset_z
      - .offset:         112
        .size:           2
        .value_kind:     hidden_grid_dims
    .group_segment_fixed_size: 0
    .kernarg_segment_align: 8
    .kernarg_segment_size: 304
    .language:       OpenCL C
    .language_version:
      - 2
      - 0
    .max_flat_workgroup_size: 1024
    .name:           _ZN5aiter23act_and_mul_bias_kernelIffifTnPFfRKT2_EXadL_ZNS_11gelu_kernelIfEEfRKT_EELi16EEEvPT0_PS8_PKT1_PS2_il
    .private_segment_fixed_size: 0
    .sgpr_count:     48
    .sgpr_spill_count: 0
    .symbol:         _ZN5aiter23act_and_mul_bias_kernelIffifTnPFfRKT2_EXadL_ZNS_11gelu_kernelIfEEfRKT_EELi16EEEvPT0_PS8_PKT1_PS2_il.kd
    .uniform_work_group_size: 1
    .uses_dynamic_stack: false
    .vgpr_count:     75
    .vgpr_spill_count: 0
    .wavefront_size: 64
  - .agpr_count:     0
    .args:
      - .actual_access:  write_only
        .address_space:  global
        .offset:         0
        .size:           8
        .value_kind:     global_buffer
      - .actual_access:  read_only
        .address_space:  global
        .offset:         8
        .size:           8
        .value_kind:     global_buffer
      - .actual_access:  read_only
        .address_space:  global
        .offset:         16
        .size:           8
        .value_kind:     global_buffer
      - .actual_access:  read_only
        .address_space:  global
        .offset:         24
        .size:           8
        .value_kind:     global_buffer
      - .offset:         32
        .size:           4
        .value_kind:     by_value
      - .offset:         40
        .size:           8
        .value_kind:     by_value
      - .offset:         48
        .size:           4
        .value_kind:     hidden_block_count_x
      - .offset:         52
        .size:           4
        .value_kind:     hidden_block_count_y
      - .offset:         56
        .size:           4
        .value_kind:     hidden_block_count_z
      - .offset:         60
        .size:           2
        .value_kind:     hidden_group_size_x
      - .offset:         62
        .size:           2
        .value_kind:     hidden_group_size_y
      - .offset:         64
        .size:           2
        .value_kind:     hidden_group_size_z
      - .offset:         66
        .size:           2
        .value_kind:     hidden_remainder_x
      - .offset:         68
        .size:           2
        .value_kind:     hidden_remainder_y
      - .offset:         70
        .size:           2
        .value_kind:     hidden_remainder_z
      - .offset:         88
        .size:           8
        .value_kind:     hidden_global_offset_x
      - .offset:         96
        .size:           8
        .value_kind:     hidden_global_offset_y
      - .offset:         104
        .size:           8
        .value_kind:     hidden_global_offset_z
      - .offset:         112
        .size:           2
        .value_kind:     hidden_grid_dims
    .group_segment_fixed_size: 0
    .kernarg_segment_align: 8
    .kernarg_segment_size: 304
    .language:       OpenCL C
    .language_version:
      - 2
      - 0
    .max_flat_workgroup_size: 1024
    .name:           _ZN5aiter23act_and_mul_bias_kernelIffifTnPFfRKT2_EXadL_ZNS_11gelu_kernelIfEEfRKT_EELi8EEEvPT0_PS8_PKT1_PS2_il
    .private_segment_fixed_size: 0
    .sgpr_count:     48
    .sgpr_spill_count: 0
    .symbol:         _ZN5aiter23act_and_mul_bias_kernelIffifTnPFfRKT2_EXadL_ZNS_11gelu_kernelIfEEfRKT_EELi8EEEvPT0_PS8_PKT1_PS2_il.kd
    .uniform_work_group_size: 1
    .uses_dynamic_stack: false
    .vgpr_count:     43
    .vgpr_spill_count: 0
    .wavefront_size: 64
  - .agpr_count:     0
    .args:
      - .actual_access:  write_only
        .address_space:  global
        .offset:         0
        .size:           8
        .value_kind:     global_buffer
      - .actual_access:  read_only
        .address_space:  global
        .offset:         8
        .size:           8
        .value_kind:     global_buffer
      - .actual_access:  read_only
        .address_space:  global
        .offset:         16
        .size:           8
        .value_kind:     global_buffer
      - .actual_access:  read_only
        .address_space:  global
        .offset:         24
        .size:           8
        .value_kind:     global_buffer
      - .offset:         32
        .size:           4
        .value_kind:     by_value
      - .offset:         40
        .size:           8
        .value_kind:     by_value
      - .offset:         48
        .size:           4
        .value_kind:     hidden_block_count_x
      - .offset:         52
        .size:           4
        .value_kind:     hidden_block_count_y
      - .offset:         56
        .size:           4
        .value_kind:     hidden_block_count_z
      - .offset:         60
        .size:           2
        .value_kind:     hidden_group_size_x
      - .offset:         62
        .size:           2
        .value_kind:     hidden_group_size_y
      - .offset:         64
        .size:           2
        .value_kind:     hidden_group_size_z
      - .offset:         66
        .size:           2
        .value_kind:     hidden_remainder_x
      - .offset:         68
        .size:           2
        .value_kind:     hidden_remainder_y
      - .offset:         70
        .size:           2
        .value_kind:     hidden_remainder_z
      - .offset:         88
        .size:           8
        .value_kind:     hidden_global_offset_x
      - .offset:         96
        .size:           8
        .value_kind:     hidden_global_offset_y
      - .offset:         104
        .size:           8
        .value_kind:     hidden_global_offset_z
      - .offset:         112
        .size:           2
        .value_kind:     hidden_grid_dims
    .group_segment_fixed_size: 0
    .kernarg_segment_align: 8
    .kernarg_segment_size: 304
    .language:       OpenCL C
    .language_version:
      - 2
      - 0
    .max_flat_workgroup_size: 1024
    .name:           _ZN5aiter23act_and_mul_bias_kernelIffifTnPFfRKT2_EXadL_ZNS_11gelu_kernelIfEEfRKT_EELi4EEEvPT0_PS8_PKT1_PS2_il
    .private_segment_fixed_size: 0
    .sgpr_count:     45
    .sgpr_spill_count: 0
    .symbol:         _ZN5aiter23act_and_mul_bias_kernelIffifTnPFfRKT2_EXadL_ZNS_11gelu_kernelIfEEfRKT_EELi4EEEvPT0_PS8_PKT1_PS2_il.kd
    .uniform_work_group_size: 1
    .uses_dynamic_stack: false
    .vgpr_count:     27
    .vgpr_spill_count: 0
    .wavefront_size: 64
  - .agpr_count:     0
    .args:
      - .actual_access:  write_only
        .address_space:  global
        .offset:         0
        .size:           8
        .value_kind:     global_buffer
      - .actual_access:  read_only
        .address_space:  global
        .offset:         8
        .size:           8
        .value_kind:     global_buffer
      - .actual_access:  read_only
        .address_space:  global
        .offset:         16
        .size:           8
        .value_kind:     global_buffer
      - .actual_access:  read_only
        .address_space:  global
        .offset:         24
        .size:           8
        .value_kind:     global_buffer
      - .offset:         32
        .size:           4
        .value_kind:     by_value
      - .offset:         40
        .size:           8
        .value_kind:     by_value
      - .offset:         48
        .size:           4
        .value_kind:     hidden_block_count_x
      - .offset:         52
        .size:           4
        .value_kind:     hidden_block_count_y
      - .offset:         56
        .size:           4
        .value_kind:     hidden_block_count_z
      - .offset:         60
        .size:           2
        .value_kind:     hidden_group_size_x
      - .offset:         62
        .size:           2
        .value_kind:     hidden_group_size_y
      - .offset:         64
        .size:           2
        .value_kind:     hidden_group_size_z
      - .offset:         66
        .size:           2
        .value_kind:     hidden_remainder_x
      - .offset:         68
        .size:           2
        .value_kind:     hidden_remainder_y
      - .offset:         70
        .size:           2
        .value_kind:     hidden_remainder_z
      - .offset:         88
        .size:           8
        .value_kind:     hidden_global_offset_x
      - .offset:         96
        .size:           8
        .value_kind:     hidden_global_offset_y
      - .offset:         104
        .size:           8
        .value_kind:     hidden_global_offset_z
      - .offset:         112
        .size:           2
        .value_kind:     hidden_grid_dims
    .group_segment_fixed_size: 0
    .kernarg_segment_align: 8
    .kernarg_segment_size: 304
    .language:       OpenCL C
    .language_version:
      - 2
      - 0
    .max_flat_workgroup_size: 1024
    .name:           _ZN5aiter23act_and_mul_bias_kernelIffifTnPFfRKT2_EXadL_ZNS_11gelu_kernelIfEEfRKT_EELi2EEEvPT0_PS8_PKT1_PS2_il
    .private_segment_fixed_size: 0
    .sgpr_count:     46
    .sgpr_spill_count: 0
    .symbol:         _ZN5aiter23act_and_mul_bias_kernelIffifTnPFfRKT2_EXadL_ZNS_11gelu_kernelIfEEfRKT_EELi2EEEvPT0_PS8_PKT1_PS2_il.kd
    .uniform_work_group_size: 1
    .uses_dynamic_stack: false
    .vgpr_count:     20
    .vgpr_spill_count: 0
    .wavefront_size: 64
  - .agpr_count:     0
    .args:
      - .actual_access:  write_only
        .address_space:  global
        .offset:         0
        .size:           8
        .value_kind:     global_buffer
      - .actual_access:  read_only
        .address_space:  global
        .offset:         8
        .size:           8
        .value_kind:     global_buffer
      - .actual_access:  read_only
        .address_space:  global
        .offset:         16
        .size:           8
        .value_kind:     global_buffer
      - .actual_access:  read_only
        .address_space:  global
        .offset:         24
        .size:           8
        .value_kind:     global_buffer
      - .offset:         32
        .size:           4
        .value_kind:     by_value
      - .offset:         40
        .size:           8
        .value_kind:     by_value
      - .offset:         48
        .size:           4
        .value_kind:     hidden_block_count_x
      - .offset:         52
        .size:           4
        .value_kind:     hidden_block_count_y
      - .offset:         56
        .size:           4
        .value_kind:     hidden_block_count_z
      - .offset:         60
        .size:           2
        .value_kind:     hidden_group_size_x
      - .offset:         62
        .size:           2
        .value_kind:     hidden_group_size_y
      - .offset:         64
        .size:           2
        .value_kind:     hidden_group_size_z
      - .offset:         66
        .size:           2
        .value_kind:     hidden_remainder_x
      - .offset:         68
        .size:           2
        .value_kind:     hidden_remainder_y
      - .offset:         70
        .size:           2
        .value_kind:     hidden_remainder_z
      - .offset:         88
        .size:           8
        .value_kind:     hidden_global_offset_x
      - .offset:         96
        .size:           8
        .value_kind:     hidden_global_offset_y
      - .offset:         104
        .size:           8
        .value_kind:     hidden_global_offset_z
      - .offset:         112
        .size:           2
        .value_kind:     hidden_grid_dims
    .group_segment_fixed_size: 0
    .kernarg_segment_align: 8
    .kernarg_segment_size: 304
    .language:       OpenCL C
    .language_version:
      - 2
      - 0
    .max_flat_workgroup_size: 1024
    .name:           _ZN5aiter23act_and_mul_bias_kernelIffifTnPFfRKT2_EXadL_ZNS_11gelu_kernelIfEEfRKT_EELi1EEEvPT0_PS8_PKT1_PS2_il
    .private_segment_fixed_size: 0
    .sgpr_count:     46
    .sgpr_spill_count: 0
    .symbol:         _ZN5aiter23act_and_mul_bias_kernelIffifTnPFfRKT2_EXadL_ZNS_11gelu_kernelIfEEfRKT_EELi1EEEvPT0_PS8_PKT1_PS2_il.kd
    .uniform_work_group_size: 1
    .uses_dynamic_stack: false
    .vgpr_count:     14
    .vgpr_spill_count: 0
    .wavefront_size: 64
  - .agpr_count:     0
    .args:
      - .actual_access:  write_only
        .address_space:  global
        .offset:         0
        .size:           8
        .value_kind:     global_buffer
      - .actual_access:  read_only
        .address_space:  global
        .offset:         8
        .size:           8
        .value_kind:     global_buffer
      - .actual_access:  read_only
        .address_space:  global
        .offset:         16
        .size:           8
        .value_kind:     global_buffer
      - .actual_access:  read_only
        .address_space:  global
        .offset:         24
        .size:           8
        .value_kind:     global_buffer
      - .offset:         32
        .size:           4
        .value_kind:     by_value
      - .offset:         40
        .size:           8
        .value_kind:     by_value
      - .offset:         48
        .size:           4
        .value_kind:     hidden_block_count_x
      - .offset:         52
        .size:           4
        .value_kind:     hidden_block_count_y
      - .offset:         56
        .size:           4
        .value_kind:     hidden_block_count_z
      - .offset:         60
        .size:           2
        .value_kind:     hidden_group_size_x
      - .offset:         62
        .size:           2
        .value_kind:     hidden_group_size_y
      - .offset:         64
        .size:           2
        .value_kind:     hidden_group_size_z
      - .offset:         66
        .size:           2
        .value_kind:     hidden_remainder_x
      - .offset:         68
        .size:           2
        .value_kind:     hidden_remainder_y
      - .offset:         70
        .size:           2
        .value_kind:     hidden_remainder_z
      - .offset:         88
        .size:           8
        .value_kind:     hidden_global_offset_x
      - .offset:         96
        .size:           8
        .value_kind:     hidden_global_offset_y
      - .offset:         104
        .size:           8
        .value_kind:     hidden_global_offset_z
      - .offset:         112
        .size:           2
        .value_kind:     hidden_grid_dims
    .group_segment_fixed_size: 0
    .kernarg_segment_align: 8
    .kernarg_segment_size: 304
    .language:       OpenCL C
    .language_version:
      - 2
      - 0
    .max_flat_workgroup_size: 1024
    .name:           _ZN5aiter23act_and_mul_bias_kernelIDF16_DF16_ifTnPFfRKT2_EXadL_ZNS_11gelu_kernelIfEEfRKT_EELi32EEEvPT0_PS8_PKT1_PS2_il
    .private_segment_fixed_size: 0
    .sgpr_count:     50
    .sgpr_spill_count: 0
    .symbol:         _ZN5aiter23act_and_mul_bias_kernelIDF16_DF16_ifTnPFfRKT2_EXadL_ZNS_11gelu_kernelIfEEfRKT_EELi32EEEvPT0_PS8_PKT1_PS2_il.kd
    .uniform_work_group_size: 1
    .uses_dynamic_stack: false
    .vgpr_count:     108
    .vgpr_spill_count: 0
    .wavefront_size: 64
  - .agpr_count:     0
    .args:
      - .actual_access:  write_only
        .address_space:  global
        .offset:         0
        .size:           8
        .value_kind:     global_buffer
      - .actual_access:  read_only
        .address_space:  global
        .offset:         8
        .size:           8
        .value_kind:     global_buffer
      - .actual_access:  read_only
        .address_space:  global
        .offset:         16
        .size:           8
        .value_kind:     global_buffer
      - .actual_access:  read_only
        .address_space:  global
        .offset:         24
        .size:           8
        .value_kind:     global_buffer
      - .offset:         32
        .size:           4
        .value_kind:     by_value
      - .offset:         40
        .size:           8
        .value_kind:     by_value
      - .offset:         48
        .size:           4
        .value_kind:     hidden_block_count_x
      - .offset:         52
        .size:           4
        .value_kind:     hidden_block_count_y
      - .offset:         56
        .size:           4
        .value_kind:     hidden_block_count_z
      - .offset:         60
        .size:           2
        .value_kind:     hidden_group_size_x
      - .offset:         62
        .size:           2
        .value_kind:     hidden_group_size_y
      - .offset:         64
        .size:           2
        .value_kind:     hidden_group_size_z
      - .offset:         66
        .size:           2
        .value_kind:     hidden_remainder_x
      - .offset:         68
        .size:           2
        .value_kind:     hidden_remainder_y
      - .offset:         70
        .size:           2
        .value_kind:     hidden_remainder_z
      - .offset:         88
        .size:           8
        .value_kind:     hidden_global_offset_x
      - .offset:         96
        .size:           8
        .value_kind:     hidden_global_offset_y
      - .offset:         104
        .size:           8
        .value_kind:     hidden_global_offset_z
      - .offset:         112
        .size:           2
        .value_kind:     hidden_grid_dims
    .group_segment_fixed_size: 0
    .kernarg_segment_align: 8
    .kernarg_segment_size: 304
    .language:       OpenCL C
    .language_version:
      - 2
      - 0
    .max_flat_workgroup_size: 1024
    .name:           _ZN5aiter23act_and_mul_bias_kernelIDF16_DF16_ifTnPFfRKT2_EXadL_ZNS_11gelu_kernelIfEEfRKT_EELi16EEEvPT0_PS8_PKT1_PS2_il
    .private_segment_fixed_size: 0
    .sgpr_count:     48
    .sgpr_spill_count: 0
    .symbol:         _ZN5aiter23act_and_mul_bias_kernelIDF16_DF16_ifTnPFfRKT2_EXadL_ZNS_11gelu_kernelIfEEfRKT_EELi16EEEvPT0_PS8_PKT1_PS2_il.kd
    .uniform_work_group_size: 1
    .uses_dynamic_stack: false
    .vgpr_count:     60
    .vgpr_spill_count: 0
    .wavefront_size: 64
  - .agpr_count:     0
    .args:
      - .actual_access:  write_only
        .address_space:  global
        .offset:         0
        .size:           8
        .value_kind:     global_buffer
      - .actual_access:  read_only
        .address_space:  global
        .offset:         8
        .size:           8
        .value_kind:     global_buffer
      - .actual_access:  read_only
        .address_space:  global
        .offset:         16
        .size:           8
        .value_kind:     global_buffer
      - .actual_access:  read_only
        .address_space:  global
        .offset:         24
        .size:           8
        .value_kind:     global_buffer
      - .offset:         32
        .size:           4
        .value_kind:     by_value
      - .offset:         40
        .size:           8
        .value_kind:     by_value
      - .offset:         48
        .size:           4
        .value_kind:     hidden_block_count_x
      - .offset:         52
        .size:           4
        .value_kind:     hidden_block_count_y
      - .offset:         56
        .size:           4
        .value_kind:     hidden_block_count_z
      - .offset:         60
        .size:           2
        .value_kind:     hidden_group_size_x
      - .offset:         62
        .size:           2
        .value_kind:     hidden_group_size_y
      - .offset:         64
        .size:           2
        .value_kind:     hidden_group_size_z
      - .offset:         66
        .size:           2
        .value_kind:     hidden_remainder_x
      - .offset:         68
        .size:           2
        .value_kind:     hidden_remainder_y
      - .offset:         70
        .size:           2
        .value_kind:     hidden_remainder_z
      - .offset:         88
        .size:           8
        .value_kind:     hidden_global_offset_x
      - .offset:         96
        .size:           8
        .value_kind:     hidden_global_offset_y
      - .offset:         104
        .size:           8
        .value_kind:     hidden_global_offset_z
      - .offset:         112
        .size:           2
        .value_kind:     hidden_grid_dims
    .group_segment_fixed_size: 0
    .kernarg_segment_align: 8
    .kernarg_segment_size: 304
    .language:       OpenCL C
    .language_version:
      - 2
      - 0
    .max_flat_workgroup_size: 1024
    .name:           _ZN5aiter23act_and_mul_bias_kernelIDF16_DF16_ifTnPFfRKT2_EXadL_ZNS_11gelu_kernelIfEEfRKT_EELi8EEEvPT0_PS8_PKT1_PS2_il
    .private_segment_fixed_size: 0
    .sgpr_count:     48
    .sgpr_spill_count: 0
    .symbol:         _ZN5aiter23act_and_mul_bias_kernelIDF16_DF16_ifTnPFfRKT2_EXadL_ZNS_11gelu_kernelIfEEfRKT_EELi8EEEvPT0_PS8_PKT1_PS2_il.kd
    .uniform_work_group_size: 1
    .uses_dynamic_stack: false
    .vgpr_count:     36
    .vgpr_spill_count: 0
    .wavefront_size: 64
  - .agpr_count:     0
    .args:
      - .actual_access:  write_only
        .address_space:  global
        .offset:         0
        .size:           8
        .value_kind:     global_buffer
      - .actual_access:  read_only
        .address_space:  global
        .offset:         8
        .size:           8
        .value_kind:     global_buffer
      - .actual_access:  read_only
        .address_space:  global
        .offset:         16
        .size:           8
        .value_kind:     global_buffer
      - .actual_access:  read_only
        .address_space:  global
        .offset:         24
        .size:           8
        .value_kind:     global_buffer
      - .offset:         32
        .size:           4
        .value_kind:     by_value
      - .offset:         40
        .size:           8
        .value_kind:     by_value
      - .offset:         48
        .size:           4
        .value_kind:     hidden_block_count_x
      - .offset:         52
        .size:           4
        .value_kind:     hidden_block_count_y
      - .offset:         56
        .size:           4
        .value_kind:     hidden_block_count_z
      - .offset:         60
        .size:           2
        .value_kind:     hidden_group_size_x
      - .offset:         62
        .size:           2
        .value_kind:     hidden_group_size_y
      - .offset:         64
        .size:           2
        .value_kind:     hidden_group_size_z
      - .offset:         66
        .size:           2
        .value_kind:     hidden_remainder_x
      - .offset:         68
        .size:           2
        .value_kind:     hidden_remainder_y
      - .offset:         70
        .size:           2
        .value_kind:     hidden_remainder_z
      - .offset:         88
        .size:           8
        .value_kind:     hidden_global_offset_x
      - .offset:         96
        .size:           8
        .value_kind:     hidden_global_offset_y
      - .offset:         104
        .size:           8
        .value_kind:     hidden_global_offset_z
      - .offset:         112
        .size:           2
        .value_kind:     hidden_grid_dims
    .group_segment_fixed_size: 0
    .kernarg_segment_align: 8
    .kernarg_segment_size: 304
    .language:       OpenCL C
    .language_version:
      - 2
      - 0
    .max_flat_workgroup_size: 1024
    .name:           _ZN5aiter23act_and_mul_bias_kernelIDF16_DF16_ifTnPFfRKT2_EXadL_ZNS_11gelu_kernelIfEEfRKT_EELi4EEEvPT0_PS8_PKT1_PS2_il
    .private_segment_fixed_size: 0
    .sgpr_count:     48
    .sgpr_spill_count: 0
    .symbol:         _ZN5aiter23act_and_mul_bias_kernelIDF16_DF16_ifTnPFfRKT2_EXadL_ZNS_11gelu_kernelIfEEfRKT_EELi4EEEvPT0_PS8_PKT1_PS2_il.kd
    .uniform_work_group_size: 1
    .uses_dynamic_stack: false
    .vgpr_count:     24
    .vgpr_spill_count: 0
    .wavefront_size: 64
  - .agpr_count:     0
    .args:
      - .actual_access:  write_only
        .address_space:  global
        .offset:         0
        .size:           8
        .value_kind:     global_buffer
      - .actual_access:  read_only
        .address_space:  global
        .offset:         8
        .size:           8
        .value_kind:     global_buffer
      - .actual_access:  read_only
        .address_space:  global
        .offset:         16
        .size:           8
        .value_kind:     global_buffer
      - .actual_access:  read_only
        .address_space:  global
        .offset:         24
        .size:           8
        .value_kind:     global_buffer
      - .offset:         32
        .size:           4
        .value_kind:     by_value
      - .offset:         40
        .size:           8
        .value_kind:     by_value
      - .offset:         48
        .size:           4
        .value_kind:     hidden_block_count_x
      - .offset:         52
        .size:           4
        .value_kind:     hidden_block_count_y
      - .offset:         56
        .size:           4
        .value_kind:     hidden_block_count_z
      - .offset:         60
        .size:           2
        .value_kind:     hidden_group_size_x
      - .offset:         62
        .size:           2
        .value_kind:     hidden_group_size_y
      - .offset:         64
        .size:           2
        .value_kind:     hidden_group_size_z
      - .offset:         66
        .size:           2
        .value_kind:     hidden_remainder_x
      - .offset:         68
        .size:           2
        .value_kind:     hidden_remainder_y
      - .offset:         70
        .size:           2
        .value_kind:     hidden_remainder_z
      - .offset:         88
        .size:           8
        .value_kind:     hidden_global_offset_x
      - .offset:         96
        .size:           8
        .value_kind:     hidden_global_offset_y
      - .offset:         104
        .size:           8
        .value_kind:     hidden_global_offset_z
      - .offset:         112
        .size:           2
        .value_kind:     hidden_grid_dims
    .group_segment_fixed_size: 0
    .kernarg_segment_align: 8
    .kernarg_segment_size: 304
    .language:       OpenCL C
    .language_version:
      - 2
      - 0
    .max_flat_workgroup_size: 1024
    .name:           _ZN5aiter23act_and_mul_bias_kernelIDF16_DF16_ifTnPFfRKT2_EXadL_ZNS_11gelu_kernelIfEEfRKT_EELi2EEEvPT0_PS8_PKT1_PS2_il
    .private_segment_fixed_size: 0
    .sgpr_count:     48
    .sgpr_spill_count: 0
    .symbol:         _ZN5aiter23act_and_mul_bias_kernelIDF16_DF16_ifTnPFfRKT2_EXadL_ZNS_11gelu_kernelIfEEfRKT_EELi2EEEvPT0_PS8_PKT1_PS2_il.kd
    .uniform_work_group_size: 1
    .uses_dynamic_stack: false
    .vgpr_count:     20
    .vgpr_spill_count: 0
    .wavefront_size: 64
  - .agpr_count:     0
    .args:
      - .actual_access:  write_only
        .address_space:  global
        .offset:         0
        .size:           8
        .value_kind:     global_buffer
      - .actual_access:  read_only
        .address_space:  global
        .offset:         8
        .size:           8
        .value_kind:     global_buffer
      - .actual_access:  read_only
        .address_space:  global
        .offset:         16
        .size:           8
        .value_kind:     global_buffer
      - .actual_access:  read_only
        .address_space:  global
        .offset:         24
        .size:           8
        .value_kind:     global_buffer
      - .offset:         32
        .size:           4
        .value_kind:     by_value
      - .offset:         40
        .size:           8
        .value_kind:     by_value
      - .offset:         48
        .size:           4
        .value_kind:     hidden_block_count_x
      - .offset:         52
        .size:           4
        .value_kind:     hidden_block_count_y
      - .offset:         56
        .size:           4
        .value_kind:     hidden_block_count_z
      - .offset:         60
        .size:           2
        .value_kind:     hidden_group_size_x
      - .offset:         62
        .size:           2
        .value_kind:     hidden_group_size_y
      - .offset:         64
        .size:           2
        .value_kind:     hidden_group_size_z
      - .offset:         66
        .size:           2
        .value_kind:     hidden_remainder_x
      - .offset:         68
        .size:           2
        .value_kind:     hidden_remainder_y
      - .offset:         70
        .size:           2
        .value_kind:     hidden_remainder_z
      - .offset:         88
        .size:           8
        .value_kind:     hidden_global_offset_x
      - .offset:         96
        .size:           8
        .value_kind:     hidden_global_offset_y
      - .offset:         104
        .size:           8
        .value_kind:     hidden_global_offset_z
      - .offset:         112
        .size:           2
        .value_kind:     hidden_grid_dims
    .group_segment_fixed_size: 0
    .kernarg_segment_align: 8
    .kernarg_segment_size: 304
    .language:       OpenCL C
    .language_version:
      - 2
      - 0
    .max_flat_workgroup_size: 1024
    .name:           _ZN5aiter23act_and_mul_bias_kernelIDF16_DF16_ifTnPFfRKT2_EXadL_ZNS_11gelu_kernelIfEEfRKT_EELi1EEEvPT0_PS8_PKT1_PS2_il
    .private_segment_fixed_size: 0
    .sgpr_count:     48
    .sgpr_spill_count: 0
    .symbol:         _ZN5aiter23act_and_mul_bias_kernelIDF16_DF16_ifTnPFfRKT2_EXadL_ZNS_11gelu_kernelIfEEfRKT_EELi1EEEvPT0_PS8_PKT1_PS2_il.kd
    .uniform_work_group_size: 1
    .uses_dynamic_stack: false
    .vgpr_count:     15
    .vgpr_spill_count: 0
    .wavefront_size: 64
  - .agpr_count:     0
    .args:
      - .actual_access:  write_only
        .address_space:  global
        .offset:         0
        .size:           8
        .value_kind:     global_buffer
      - .actual_access:  read_only
        .address_space:  global
        .offset:         8
        .size:           8
        .value_kind:     global_buffer
      - .actual_access:  read_only
        .address_space:  global
        .offset:         16
        .size:           8
        .value_kind:     global_buffer
      - .actual_access:  read_only
        .address_space:  global
        .offset:         24
        .size:           8
        .value_kind:     global_buffer
      - .offset:         32
        .size:           4
        .value_kind:     by_value
      - .offset:         40
        .size:           8
        .value_kind:     by_value
      - .offset:         48
        .size:           4
        .value_kind:     hidden_block_count_x
      - .offset:         52
        .size:           4
        .value_kind:     hidden_block_count_y
      - .offset:         56
        .size:           4
        .value_kind:     hidden_block_count_z
      - .offset:         60
        .size:           2
        .value_kind:     hidden_group_size_x
      - .offset:         62
        .size:           2
        .value_kind:     hidden_group_size_y
      - .offset:         64
        .size:           2
        .value_kind:     hidden_group_size_z
      - .offset:         66
        .size:           2
        .value_kind:     hidden_remainder_x
      - .offset:         68
        .size:           2
        .value_kind:     hidden_remainder_y
      - .offset:         70
        .size:           2
        .value_kind:     hidden_remainder_z
      - .offset:         88
        .size:           8
        .value_kind:     hidden_global_offset_x
      - .offset:         96
        .size:           8
        .value_kind:     hidden_global_offset_y
      - .offset:         104
        .size:           8
        .value_kind:     hidden_global_offset_z
      - .offset:         112
        .size:           2
        .value_kind:     hidden_grid_dims
    .group_segment_fixed_size: 0
    .kernarg_segment_align: 8
    .kernarg_segment_size: 304
    .language:       OpenCL C
    .language_version:
      - 2
      - 0
    .max_flat_workgroup_size: 1024
    .name:           _ZN5aiter23act_and_mul_bias_kernelIttifTnPFfRKT2_EXadL_ZNS_11gelu_kernelIfEEfRKT_EELi32EEEvPT0_PS8_PKT1_PS2_il
    .private_segment_fixed_size: 0
    .sgpr_count:     52
    .sgpr_spill_count: 0
    .symbol:         _ZN5aiter23act_and_mul_bias_kernelIttifTnPFfRKT2_EXadL_ZNS_11gelu_kernelIfEEfRKT_EELi32EEEvPT0_PS8_PKT1_PS2_il.kd
    .uniform_work_group_size: 1
    .uses_dynamic_stack: false
    .vgpr_count:     108
    .vgpr_spill_count: 0
    .wavefront_size: 64
  - .agpr_count:     0
    .args:
      - .actual_access:  write_only
        .address_space:  global
        .offset:         0
        .size:           8
        .value_kind:     global_buffer
      - .actual_access:  read_only
        .address_space:  global
        .offset:         8
        .size:           8
        .value_kind:     global_buffer
      - .actual_access:  read_only
        .address_space:  global
        .offset:         16
        .size:           8
        .value_kind:     global_buffer
      - .actual_access:  read_only
        .address_space:  global
        .offset:         24
        .size:           8
        .value_kind:     global_buffer
      - .offset:         32
        .size:           4
        .value_kind:     by_value
      - .offset:         40
        .size:           8
        .value_kind:     by_value
      - .offset:         48
        .size:           4
        .value_kind:     hidden_block_count_x
      - .offset:         52
        .size:           4
        .value_kind:     hidden_block_count_y
      - .offset:         56
        .size:           4
        .value_kind:     hidden_block_count_z
      - .offset:         60
        .size:           2
        .value_kind:     hidden_group_size_x
      - .offset:         62
        .size:           2
        .value_kind:     hidden_group_size_y
      - .offset:         64
        .size:           2
        .value_kind:     hidden_group_size_z
      - .offset:         66
        .size:           2
        .value_kind:     hidden_remainder_x
      - .offset:         68
        .size:           2
        .value_kind:     hidden_remainder_y
      - .offset:         70
        .size:           2
        .value_kind:     hidden_remainder_z
      - .offset:         88
        .size:           8
        .value_kind:     hidden_global_offset_x
      - .offset:         96
        .size:           8
        .value_kind:     hidden_global_offset_y
      - .offset:         104
        .size:           8
        .value_kind:     hidden_global_offset_z
      - .offset:         112
        .size:           2
        .value_kind:     hidden_grid_dims
    .group_segment_fixed_size: 0
    .kernarg_segment_align: 8
    .kernarg_segment_size: 304
    .language:       OpenCL C
    .language_version:
      - 2
      - 0
    .max_flat_workgroup_size: 1024
    .name:           _ZN5aiter23act_and_mul_bias_kernelIttifTnPFfRKT2_EXadL_ZNS_11gelu_kernelIfEEfRKT_EELi16EEEvPT0_PS8_PKT1_PS2_il
    .private_segment_fixed_size: 0
    .sgpr_count:     48
    .sgpr_spill_count: 0
    .symbol:         _ZN5aiter23act_and_mul_bias_kernelIttifTnPFfRKT2_EXadL_ZNS_11gelu_kernelIfEEfRKT_EELi16EEEvPT0_PS8_PKT1_PS2_il.kd
    .uniform_work_group_size: 1
    .uses_dynamic_stack: false
    .vgpr_count:     60
    .vgpr_spill_count: 0
    .wavefront_size: 64
  - .agpr_count:     0
    .args:
      - .actual_access:  write_only
        .address_space:  global
        .offset:         0
        .size:           8
        .value_kind:     global_buffer
      - .actual_access:  read_only
        .address_space:  global
        .offset:         8
        .size:           8
        .value_kind:     global_buffer
      - .actual_access:  read_only
        .address_space:  global
        .offset:         16
        .size:           8
        .value_kind:     global_buffer
      - .actual_access:  read_only
        .address_space:  global
        .offset:         24
        .size:           8
        .value_kind:     global_buffer
      - .offset:         32
        .size:           4
        .value_kind:     by_value
      - .offset:         40
        .size:           8
        .value_kind:     by_value
      - .offset:         48
        .size:           4
        .value_kind:     hidden_block_count_x
      - .offset:         52
        .size:           4
        .value_kind:     hidden_block_count_y
      - .offset:         56
        .size:           4
        .value_kind:     hidden_block_count_z
      - .offset:         60
        .size:           2
        .value_kind:     hidden_group_size_x
      - .offset:         62
        .size:           2
        .value_kind:     hidden_group_size_y
      - .offset:         64
        .size:           2
        .value_kind:     hidden_group_size_z
      - .offset:         66
        .size:           2
        .value_kind:     hidden_remainder_x
      - .offset:         68
        .size:           2
        .value_kind:     hidden_remainder_y
      - .offset:         70
        .size:           2
        .value_kind:     hidden_remainder_z
      - .offset:         88
        .size:           8
        .value_kind:     hidden_global_offset_x
      - .offset:         96
        .size:           8
        .value_kind:     hidden_global_offset_y
      - .offset:         104
        .size:           8
        .value_kind:     hidden_global_offset_z
      - .offset:         112
        .size:           2
        .value_kind:     hidden_grid_dims
    .group_segment_fixed_size: 0
    .kernarg_segment_align: 8
    .kernarg_segment_size: 304
    .language:       OpenCL C
    .language_version:
      - 2
      - 0
    .max_flat_workgroup_size: 1024
    .name:           _ZN5aiter23act_and_mul_bias_kernelIttifTnPFfRKT2_EXadL_ZNS_11gelu_kernelIfEEfRKT_EELi8EEEvPT0_PS8_PKT1_PS2_il
    .private_segment_fixed_size: 0
    .sgpr_count:     48
    .sgpr_spill_count: 0
    .symbol:         _ZN5aiter23act_and_mul_bias_kernelIttifTnPFfRKT2_EXadL_ZNS_11gelu_kernelIfEEfRKT_EELi8EEEvPT0_PS8_PKT1_PS2_il.kd
    .uniform_work_group_size: 1
    .uses_dynamic_stack: false
    .vgpr_count:     36
    .vgpr_spill_count: 0
    .wavefront_size: 64
  - .agpr_count:     0
    .args:
      - .actual_access:  write_only
        .address_space:  global
        .offset:         0
        .size:           8
        .value_kind:     global_buffer
      - .actual_access:  read_only
        .address_space:  global
        .offset:         8
        .size:           8
        .value_kind:     global_buffer
      - .actual_access:  read_only
        .address_space:  global
        .offset:         16
        .size:           8
        .value_kind:     global_buffer
      - .actual_access:  read_only
        .address_space:  global
        .offset:         24
        .size:           8
        .value_kind:     global_buffer
      - .offset:         32
        .size:           4
        .value_kind:     by_value
      - .offset:         40
        .size:           8
        .value_kind:     by_value
      - .offset:         48
        .size:           4
        .value_kind:     hidden_block_count_x
      - .offset:         52
        .size:           4
        .value_kind:     hidden_block_count_y
      - .offset:         56
        .size:           4
        .value_kind:     hidden_block_count_z
      - .offset:         60
        .size:           2
        .value_kind:     hidden_group_size_x
      - .offset:         62
        .size:           2
        .value_kind:     hidden_group_size_y
      - .offset:         64
        .size:           2
        .value_kind:     hidden_group_size_z
      - .offset:         66
        .size:           2
        .value_kind:     hidden_remainder_x
      - .offset:         68
        .size:           2
        .value_kind:     hidden_remainder_y
      - .offset:         70
        .size:           2
        .value_kind:     hidden_remainder_z
      - .offset:         88
        .size:           8
        .value_kind:     hidden_global_offset_x
      - .offset:         96
        .size:           8
        .value_kind:     hidden_global_offset_y
      - .offset:         104
        .size:           8
        .value_kind:     hidden_global_offset_z
      - .offset:         112
        .size:           2
        .value_kind:     hidden_grid_dims
    .group_segment_fixed_size: 0
    .kernarg_segment_align: 8
    .kernarg_segment_size: 304
    .language:       OpenCL C
    .language_version:
      - 2
      - 0
    .max_flat_workgroup_size: 1024
    .name:           _ZN5aiter23act_and_mul_bias_kernelIttifTnPFfRKT2_EXadL_ZNS_11gelu_kernelIfEEfRKT_EELi4EEEvPT0_PS8_PKT1_PS2_il
    .private_segment_fixed_size: 0
    .sgpr_count:     48
    .sgpr_spill_count: 0
    .symbol:         _ZN5aiter23act_and_mul_bias_kernelIttifTnPFfRKT2_EXadL_ZNS_11gelu_kernelIfEEfRKT_EELi4EEEvPT0_PS8_PKT1_PS2_il.kd
    .uniform_work_group_size: 1
    .uses_dynamic_stack: false
    .vgpr_count:     24
    .vgpr_spill_count: 0
    .wavefront_size: 64
  - .agpr_count:     0
    .args:
      - .actual_access:  write_only
        .address_space:  global
        .offset:         0
        .size:           8
        .value_kind:     global_buffer
      - .actual_access:  read_only
        .address_space:  global
        .offset:         8
        .size:           8
        .value_kind:     global_buffer
      - .actual_access:  read_only
        .address_space:  global
        .offset:         16
        .size:           8
        .value_kind:     global_buffer
      - .actual_access:  read_only
        .address_space:  global
        .offset:         24
        .size:           8
        .value_kind:     global_buffer
      - .offset:         32
        .size:           4
        .value_kind:     by_value
      - .offset:         40
        .size:           8
        .value_kind:     by_value
      - .offset:         48
        .size:           4
        .value_kind:     hidden_block_count_x
      - .offset:         52
        .size:           4
        .value_kind:     hidden_block_count_y
      - .offset:         56
        .size:           4
        .value_kind:     hidden_block_count_z
      - .offset:         60
        .size:           2
        .value_kind:     hidden_group_size_x
      - .offset:         62
        .size:           2
        .value_kind:     hidden_group_size_y
      - .offset:         64
        .size:           2
        .value_kind:     hidden_group_size_z
      - .offset:         66
        .size:           2
        .value_kind:     hidden_remainder_x
      - .offset:         68
        .size:           2
        .value_kind:     hidden_remainder_y
      - .offset:         70
        .size:           2
        .value_kind:     hidden_remainder_z
      - .offset:         88
        .size:           8
        .value_kind:     hidden_global_offset_x
      - .offset:         96
        .size:           8
        .value_kind:     hidden_global_offset_y
      - .offset:         104
        .size:           8
        .value_kind:     hidden_global_offset_z
      - .offset:         112
        .size:           2
        .value_kind:     hidden_grid_dims
    .group_segment_fixed_size: 0
    .kernarg_segment_align: 8
    .kernarg_segment_size: 304
    .language:       OpenCL C
    .language_version:
      - 2
      - 0
    .max_flat_workgroup_size: 1024
    .name:           _ZN5aiter23act_and_mul_bias_kernelIttifTnPFfRKT2_EXadL_ZNS_11gelu_kernelIfEEfRKT_EELi2EEEvPT0_PS8_PKT1_PS2_il
    .private_segment_fixed_size: 0
    .sgpr_count:     50
    .sgpr_spill_count: 0
    .symbol:         _ZN5aiter23act_and_mul_bias_kernelIttifTnPFfRKT2_EXadL_ZNS_11gelu_kernelIfEEfRKT_EELi2EEEvPT0_PS8_PKT1_PS2_il.kd
    .uniform_work_group_size: 1
    .uses_dynamic_stack: false
    .vgpr_count:     20
    .vgpr_spill_count: 0
    .wavefront_size: 64
  - .agpr_count:     0
    .args:
      - .actual_access:  write_only
        .address_space:  global
        .offset:         0
        .size:           8
        .value_kind:     global_buffer
      - .actual_access:  read_only
        .address_space:  global
        .offset:         8
        .size:           8
        .value_kind:     global_buffer
      - .actual_access:  read_only
        .address_space:  global
        .offset:         16
        .size:           8
        .value_kind:     global_buffer
      - .actual_access:  read_only
        .address_space:  global
        .offset:         24
        .size:           8
        .value_kind:     global_buffer
      - .offset:         32
        .size:           4
        .value_kind:     by_value
      - .offset:         40
        .size:           8
        .value_kind:     by_value
      - .offset:         48
        .size:           4
        .value_kind:     hidden_block_count_x
      - .offset:         52
        .size:           4
        .value_kind:     hidden_block_count_y
      - .offset:         56
        .size:           4
        .value_kind:     hidden_block_count_z
      - .offset:         60
        .size:           2
        .value_kind:     hidden_group_size_x
      - .offset:         62
        .size:           2
        .value_kind:     hidden_group_size_y
      - .offset:         64
        .size:           2
        .value_kind:     hidden_group_size_z
      - .offset:         66
        .size:           2
        .value_kind:     hidden_remainder_x
      - .offset:         68
        .size:           2
        .value_kind:     hidden_remainder_y
      - .offset:         70
        .size:           2
        .value_kind:     hidden_remainder_z
      - .offset:         88
        .size:           8
        .value_kind:     hidden_global_offset_x
      - .offset:         96
        .size:           8
        .value_kind:     hidden_global_offset_y
      - .offset:         104
        .size:           8
        .value_kind:     hidden_global_offset_z
      - .offset:         112
        .size:           2
        .value_kind:     hidden_grid_dims
    .group_segment_fixed_size: 0
    .kernarg_segment_align: 8
    .kernarg_segment_size: 304
    .language:       OpenCL C
    .language_version:
      - 2
      - 0
    .max_flat_workgroup_size: 1024
    .name:           _ZN5aiter23act_and_mul_bias_kernelIttifTnPFfRKT2_EXadL_ZNS_11gelu_kernelIfEEfRKT_EELi1EEEvPT0_PS8_PKT1_PS2_il
    .private_segment_fixed_size: 0
    .sgpr_count:     48
    .sgpr_spill_count: 0
    .symbol:         _ZN5aiter23act_and_mul_bias_kernelIttifTnPFfRKT2_EXadL_ZNS_11gelu_kernelIfEEfRKT_EELi1EEEvPT0_PS8_PKT1_PS2_il.kd
    .uniform_work_group_size: 1
    .uses_dynamic_stack: false
    .vgpr_count:     15
    .vgpr_spill_count: 0
    .wavefront_size: 64
  - .agpr_count:     0
    .args:
      - .actual_access:  write_only
        .address_space:  global
        .offset:         0
        .size:           8
        .value_kind:     global_buffer
      - .actual_access:  read_only
        .address_space:  global
        .offset:         8
        .size:           8
        .value_kind:     global_buffer
      - .actual_access:  read_only
        .address_space:  global
        .offset:         16
        .size:           8
        .value_kind:     global_buffer
      - .actual_access:  read_only
        .address_space:  global
        .offset:         24
        .size:           8
        .value_kind:     global_buffer
      - .offset:         32
        .size:           4
        .value_kind:     by_value
      - .offset:         40
        .size:           8
        .value_kind:     by_value
      - .offset:         48
        .size:           4
        .value_kind:     hidden_block_count_x
      - .offset:         52
        .size:           4
        .value_kind:     hidden_block_count_y
      - .offset:         56
        .size:           4
        .value_kind:     hidden_block_count_z
      - .offset:         60
        .size:           2
        .value_kind:     hidden_group_size_x
      - .offset:         62
        .size:           2
        .value_kind:     hidden_group_size_y
      - .offset:         64
        .size:           2
        .value_kind:     hidden_group_size_z
      - .offset:         66
        .size:           2
        .value_kind:     hidden_remainder_x
      - .offset:         68
        .size:           2
        .value_kind:     hidden_remainder_y
      - .offset:         70
        .size:           2
        .value_kind:     hidden_remainder_z
      - .offset:         88
        .size:           8
        .value_kind:     hidden_global_offset_x
      - .offset:         96
        .size:           8
        .value_kind:     hidden_global_offset_y
      - .offset:         104
        .size:           8
        .value_kind:     hidden_global_offset_z
      - .offset:         112
        .size:           2
        .value_kind:     hidden_grid_dims
    .group_segment_fixed_size: 0
    .kernarg_segment_align: 8
    .kernarg_segment_size: 304
    .language:       OpenCL C
    .language_version:
      - 2
      - 0
    .max_flat_workgroup_size: 1024
    .name:           _ZN5aiter23act_and_mul_bias_kernelIftlfTnPFfRKT2_EXadL_ZNS_11gelu_kernelIfEEfRKT_EELi16EEEvPT0_PS8_PKT1_PS2_il
    .private_segment_fixed_size: 0
    .sgpr_count:     46
    .sgpr_spill_count: 0
    .symbol:         _ZN5aiter23act_and_mul_bias_kernelIftlfTnPFfRKT2_EXadL_ZNS_11gelu_kernelIfEEfRKT_EELi16EEEvPT0_PS8_PKT1_PS2_il.kd
    .uniform_work_group_size: 1
    .uses_dynamic_stack: false
    .vgpr_count:     74
    .vgpr_spill_count: 0
    .wavefront_size: 64
  - .agpr_count:     0
    .args:
      - .actual_access:  write_only
        .address_space:  global
        .offset:         0
        .size:           8
        .value_kind:     global_buffer
      - .actual_access:  read_only
        .address_space:  global
        .offset:         8
        .size:           8
        .value_kind:     global_buffer
      - .actual_access:  read_only
        .address_space:  global
        .offset:         16
        .size:           8
        .value_kind:     global_buffer
      - .actual_access:  read_only
        .address_space:  global
        .offset:         24
        .size:           8
        .value_kind:     global_buffer
      - .offset:         32
        .size:           4
        .value_kind:     by_value
      - .offset:         40
        .size:           8
        .value_kind:     by_value
      - .offset:         48
        .size:           4
        .value_kind:     hidden_block_count_x
      - .offset:         52
        .size:           4
        .value_kind:     hidden_block_count_y
      - .offset:         56
        .size:           4
        .value_kind:     hidden_block_count_z
      - .offset:         60
        .size:           2
        .value_kind:     hidden_group_size_x
      - .offset:         62
        .size:           2
        .value_kind:     hidden_group_size_y
      - .offset:         64
        .size:           2
        .value_kind:     hidden_group_size_z
      - .offset:         66
        .size:           2
        .value_kind:     hidden_remainder_x
      - .offset:         68
        .size:           2
        .value_kind:     hidden_remainder_y
      - .offset:         70
        .size:           2
        .value_kind:     hidden_remainder_z
      - .offset:         88
        .size:           8
        .value_kind:     hidden_global_offset_x
      - .offset:         96
        .size:           8
        .value_kind:     hidden_global_offset_y
      - .offset:         104
        .size:           8
        .value_kind:     hidden_global_offset_z
      - .offset:         112
        .size:           2
        .value_kind:     hidden_grid_dims
    .group_segment_fixed_size: 0
    .kernarg_segment_align: 8
    .kernarg_segment_size: 304
    .language:       OpenCL C
    .language_version:
      - 2
      - 0
    .max_flat_workgroup_size: 1024
    .name:           _ZN5aiter23act_and_mul_bias_kernelIftlfTnPFfRKT2_EXadL_ZNS_11gelu_kernelIfEEfRKT_EELi8EEEvPT0_PS8_PKT1_PS2_il
    .private_segment_fixed_size: 0
    .sgpr_count:     46
    .sgpr_spill_count: 0
    .symbol:         _ZN5aiter23act_and_mul_bias_kernelIftlfTnPFfRKT2_EXadL_ZNS_11gelu_kernelIfEEfRKT_EELi8EEEvPT0_PS8_PKT1_PS2_il.kd
    .uniform_work_group_size: 1
    .uses_dynamic_stack: false
    .vgpr_count:     42
    .vgpr_spill_count: 0
    .wavefront_size: 64
  - .agpr_count:     0
    .args:
      - .actual_access:  write_only
        .address_space:  global
        .offset:         0
        .size:           8
        .value_kind:     global_buffer
      - .actual_access:  read_only
        .address_space:  global
        .offset:         8
        .size:           8
        .value_kind:     global_buffer
      - .actual_access:  read_only
        .address_space:  global
        .offset:         16
        .size:           8
        .value_kind:     global_buffer
      - .actual_access:  read_only
        .address_space:  global
        .offset:         24
        .size:           8
        .value_kind:     global_buffer
      - .offset:         32
        .size:           4
        .value_kind:     by_value
      - .offset:         40
        .size:           8
        .value_kind:     by_value
      - .offset:         48
        .size:           4
        .value_kind:     hidden_block_count_x
      - .offset:         52
        .size:           4
        .value_kind:     hidden_block_count_y
      - .offset:         56
        .size:           4
        .value_kind:     hidden_block_count_z
      - .offset:         60
        .size:           2
        .value_kind:     hidden_group_size_x
      - .offset:         62
        .size:           2
        .value_kind:     hidden_group_size_y
      - .offset:         64
        .size:           2
        .value_kind:     hidden_group_size_z
      - .offset:         66
        .size:           2
        .value_kind:     hidden_remainder_x
      - .offset:         68
        .size:           2
        .value_kind:     hidden_remainder_y
      - .offset:         70
        .size:           2
        .value_kind:     hidden_remainder_z
      - .offset:         88
        .size:           8
        .value_kind:     hidden_global_offset_x
      - .offset:         96
        .size:           8
        .value_kind:     hidden_global_offset_y
      - .offset:         104
        .size:           8
        .value_kind:     hidden_global_offset_z
      - .offset:         112
        .size:           2
        .value_kind:     hidden_grid_dims
    .group_segment_fixed_size: 0
    .kernarg_segment_align: 8
    .kernarg_segment_size: 304
    .language:       OpenCL C
    .language_version:
      - 2
      - 0
    .max_flat_workgroup_size: 1024
    .name:           _ZN5aiter23act_and_mul_bias_kernelIftlfTnPFfRKT2_EXadL_ZNS_11gelu_kernelIfEEfRKT_EELi4EEEvPT0_PS8_PKT1_PS2_il
    .private_segment_fixed_size: 0
    .sgpr_count:     46
    .sgpr_spill_count: 0
    .symbol:         _ZN5aiter23act_and_mul_bias_kernelIftlfTnPFfRKT2_EXadL_ZNS_11gelu_kernelIfEEfRKT_EELi4EEEvPT0_PS8_PKT1_PS2_il.kd
    .uniform_work_group_size: 1
    .uses_dynamic_stack: false
    .vgpr_count:     26
    .vgpr_spill_count: 0
    .wavefront_size: 64
  - .agpr_count:     0
    .args:
      - .actual_access:  write_only
        .address_space:  global
        .offset:         0
        .size:           8
        .value_kind:     global_buffer
      - .actual_access:  read_only
        .address_space:  global
        .offset:         8
        .size:           8
        .value_kind:     global_buffer
      - .actual_access:  read_only
        .address_space:  global
        .offset:         16
        .size:           8
        .value_kind:     global_buffer
      - .actual_access:  read_only
        .address_space:  global
        .offset:         24
        .size:           8
        .value_kind:     global_buffer
      - .offset:         32
        .size:           4
        .value_kind:     by_value
      - .offset:         40
        .size:           8
        .value_kind:     by_value
      - .offset:         48
        .size:           4
        .value_kind:     hidden_block_count_x
      - .offset:         52
        .size:           4
        .value_kind:     hidden_block_count_y
      - .offset:         56
        .size:           4
        .value_kind:     hidden_block_count_z
      - .offset:         60
        .size:           2
        .value_kind:     hidden_group_size_x
      - .offset:         62
        .size:           2
        .value_kind:     hidden_group_size_y
      - .offset:         64
        .size:           2
        .value_kind:     hidden_group_size_z
      - .offset:         66
        .size:           2
        .value_kind:     hidden_remainder_x
      - .offset:         68
        .size:           2
        .value_kind:     hidden_remainder_y
      - .offset:         70
        .size:           2
        .value_kind:     hidden_remainder_z
      - .offset:         88
        .size:           8
        .value_kind:     hidden_global_offset_x
      - .offset:         96
        .size:           8
        .value_kind:     hidden_global_offset_y
      - .offset:         104
        .size:           8
        .value_kind:     hidden_global_offset_z
      - .offset:         112
        .size:           2
        .value_kind:     hidden_grid_dims
    .group_segment_fixed_size: 0
    .kernarg_segment_align: 8
    .kernarg_segment_size: 304
    .language:       OpenCL C
    .language_version:
      - 2
      - 0
    .max_flat_workgroup_size: 1024
    .name:           _ZN5aiter23act_and_mul_bias_kernelIftlfTnPFfRKT2_EXadL_ZNS_11gelu_kernelIfEEfRKT_EELi2EEEvPT0_PS8_PKT1_PS2_il
    .private_segment_fixed_size: 0
    .sgpr_count:     47
    .sgpr_spill_count: 0
    .symbol:         _ZN5aiter23act_and_mul_bias_kernelIftlfTnPFfRKT2_EXadL_ZNS_11gelu_kernelIfEEfRKT_EELi2EEEvPT0_PS8_PKT1_PS2_il.kd
    .uniform_work_group_size: 1
    .uses_dynamic_stack: false
    .vgpr_count:     19
    .vgpr_spill_count: 0
    .wavefront_size: 64
  - .agpr_count:     0
    .args:
      - .actual_access:  write_only
        .address_space:  global
        .offset:         0
        .size:           8
        .value_kind:     global_buffer
      - .actual_access:  read_only
        .address_space:  global
        .offset:         8
        .size:           8
        .value_kind:     global_buffer
      - .actual_access:  read_only
        .address_space:  global
        .offset:         16
        .size:           8
        .value_kind:     global_buffer
      - .actual_access:  read_only
        .address_space:  global
        .offset:         24
        .size:           8
        .value_kind:     global_buffer
      - .offset:         32
        .size:           4
        .value_kind:     by_value
      - .offset:         40
        .size:           8
        .value_kind:     by_value
      - .offset:         48
        .size:           4
        .value_kind:     hidden_block_count_x
      - .offset:         52
        .size:           4
        .value_kind:     hidden_block_count_y
      - .offset:         56
        .size:           4
        .value_kind:     hidden_block_count_z
      - .offset:         60
        .size:           2
        .value_kind:     hidden_group_size_x
      - .offset:         62
        .size:           2
        .value_kind:     hidden_group_size_y
      - .offset:         64
        .size:           2
        .value_kind:     hidden_group_size_z
      - .offset:         66
        .size:           2
        .value_kind:     hidden_remainder_x
      - .offset:         68
        .size:           2
        .value_kind:     hidden_remainder_y
      - .offset:         70
        .size:           2
        .value_kind:     hidden_remainder_z
      - .offset:         88
        .size:           8
        .value_kind:     hidden_global_offset_x
      - .offset:         96
        .size:           8
        .value_kind:     hidden_global_offset_y
      - .offset:         104
        .size:           8
        .value_kind:     hidden_global_offset_z
      - .offset:         112
        .size:           2
        .value_kind:     hidden_grid_dims
    .group_segment_fixed_size: 0
    .kernarg_segment_align: 8
    .kernarg_segment_size: 304
    .language:       OpenCL C
    .language_version:
      - 2
      - 0
    .max_flat_workgroup_size: 1024
    .name:           _ZN5aiter23act_and_mul_bias_kernelIftlfTnPFfRKT2_EXadL_ZNS_11gelu_kernelIfEEfRKT_EELi1EEEvPT0_PS8_PKT1_PS2_il
    .private_segment_fixed_size: 0
    .sgpr_count:     45
    .sgpr_spill_count: 0
    .symbol:         _ZN5aiter23act_and_mul_bias_kernelIftlfTnPFfRKT2_EXadL_ZNS_11gelu_kernelIfEEfRKT_EELi1EEEvPT0_PS8_PKT1_PS2_il.kd
    .uniform_work_group_size: 1
    .uses_dynamic_stack: false
    .vgpr_count:     15
    .vgpr_spill_count: 0
    .wavefront_size: 64
  - .agpr_count:     0
    .args:
      - .actual_access:  write_only
        .address_space:  global
        .offset:         0
        .size:           8
        .value_kind:     global_buffer
      - .actual_access:  read_only
        .address_space:  global
        .offset:         8
        .size:           8
        .value_kind:     global_buffer
      - .actual_access:  read_only
        .address_space:  global
        .offset:         16
        .size:           8
        .value_kind:     global_buffer
      - .actual_access:  read_only
        .address_space:  global
        .offset:         24
        .size:           8
        .value_kind:     global_buffer
      - .offset:         32
        .size:           4
        .value_kind:     by_value
      - .offset:         40
        .size:           8
        .value_kind:     by_value
      - .offset:         48
        .size:           4
        .value_kind:     hidden_block_count_x
      - .offset:         52
        .size:           4
        .value_kind:     hidden_block_count_y
      - .offset:         56
        .size:           4
        .value_kind:     hidden_block_count_z
      - .offset:         60
        .size:           2
        .value_kind:     hidden_group_size_x
      - .offset:         62
        .size:           2
        .value_kind:     hidden_group_size_y
      - .offset:         64
        .size:           2
        .value_kind:     hidden_group_size_z
      - .offset:         66
        .size:           2
        .value_kind:     hidden_remainder_x
      - .offset:         68
        .size:           2
        .value_kind:     hidden_remainder_y
      - .offset:         70
        .size:           2
        .value_kind:     hidden_remainder_z
      - .offset:         88
        .size:           8
        .value_kind:     hidden_global_offset_x
      - .offset:         96
        .size:           8
        .value_kind:     hidden_global_offset_y
      - .offset:         104
        .size:           8
        .value_kind:     hidden_global_offset_z
      - .offset:         112
        .size:           2
        .value_kind:     hidden_grid_dims
    .group_segment_fixed_size: 0
    .kernarg_segment_align: 8
    .kernarg_segment_size: 304
    .language:       OpenCL C
    .language_version:
      - 2
      - 0
    .max_flat_workgroup_size: 1024
    .name:           _ZN5aiter23act_and_mul_bias_kernelIfDF16_lfTnPFfRKT2_EXadL_ZNS_11gelu_kernelIfEEfRKT_EELi16EEEvPT0_PS8_PKT1_PS2_il
    .private_segment_fixed_size: 0
    .sgpr_count:     48
    .sgpr_spill_count: 0
    .symbol:         _ZN5aiter23act_and_mul_bias_kernelIfDF16_lfTnPFfRKT2_EXadL_ZNS_11gelu_kernelIfEEfRKT_EELi16EEEvPT0_PS8_PKT1_PS2_il.kd
    .uniform_work_group_size: 1
    .uses_dynamic_stack: false
    .vgpr_count:     74
    .vgpr_spill_count: 0
    .wavefront_size: 64
  - .agpr_count:     0
    .args:
      - .actual_access:  write_only
        .address_space:  global
        .offset:         0
        .size:           8
        .value_kind:     global_buffer
      - .actual_access:  read_only
        .address_space:  global
        .offset:         8
        .size:           8
        .value_kind:     global_buffer
      - .actual_access:  read_only
        .address_space:  global
        .offset:         16
        .size:           8
        .value_kind:     global_buffer
      - .actual_access:  read_only
        .address_space:  global
        .offset:         24
        .size:           8
        .value_kind:     global_buffer
      - .offset:         32
        .size:           4
        .value_kind:     by_value
      - .offset:         40
        .size:           8
        .value_kind:     by_value
      - .offset:         48
        .size:           4
        .value_kind:     hidden_block_count_x
      - .offset:         52
        .size:           4
        .value_kind:     hidden_block_count_y
      - .offset:         56
        .size:           4
        .value_kind:     hidden_block_count_z
      - .offset:         60
        .size:           2
        .value_kind:     hidden_group_size_x
      - .offset:         62
        .size:           2
        .value_kind:     hidden_group_size_y
      - .offset:         64
        .size:           2
        .value_kind:     hidden_group_size_z
      - .offset:         66
        .size:           2
        .value_kind:     hidden_remainder_x
      - .offset:         68
        .size:           2
        .value_kind:     hidden_remainder_y
      - .offset:         70
        .size:           2
        .value_kind:     hidden_remainder_z
      - .offset:         88
        .size:           8
        .value_kind:     hidden_global_offset_x
      - .offset:         96
        .size:           8
        .value_kind:     hidden_global_offset_y
      - .offset:         104
        .size:           8
        .value_kind:     hidden_global_offset_z
      - .offset:         112
        .size:           2
        .value_kind:     hidden_grid_dims
    .group_segment_fixed_size: 0
    .kernarg_segment_align: 8
    .kernarg_segment_size: 304
    .language:       OpenCL C
    .language_version:
      - 2
      - 0
    .max_flat_workgroup_size: 1024
    .name:           _ZN5aiter23act_and_mul_bias_kernelIfDF16_lfTnPFfRKT2_EXadL_ZNS_11gelu_kernelIfEEfRKT_EELi8EEEvPT0_PS8_PKT1_PS2_il
    .private_segment_fixed_size: 0
    .sgpr_count:     48
    .sgpr_spill_count: 0
    .symbol:         _ZN5aiter23act_and_mul_bias_kernelIfDF16_lfTnPFfRKT2_EXadL_ZNS_11gelu_kernelIfEEfRKT_EELi8EEEvPT0_PS8_PKT1_PS2_il.kd
    .uniform_work_group_size: 1
    .uses_dynamic_stack: false
    .vgpr_count:     42
    .vgpr_spill_count: 0
    .wavefront_size: 64
  - .agpr_count:     0
    .args:
      - .actual_access:  write_only
        .address_space:  global
        .offset:         0
        .size:           8
        .value_kind:     global_buffer
      - .actual_access:  read_only
        .address_space:  global
        .offset:         8
        .size:           8
        .value_kind:     global_buffer
      - .actual_access:  read_only
        .address_space:  global
        .offset:         16
        .size:           8
        .value_kind:     global_buffer
      - .actual_access:  read_only
        .address_space:  global
        .offset:         24
        .size:           8
        .value_kind:     global_buffer
      - .offset:         32
        .size:           4
        .value_kind:     by_value
      - .offset:         40
        .size:           8
        .value_kind:     by_value
      - .offset:         48
        .size:           4
        .value_kind:     hidden_block_count_x
      - .offset:         52
        .size:           4
        .value_kind:     hidden_block_count_y
      - .offset:         56
        .size:           4
        .value_kind:     hidden_block_count_z
      - .offset:         60
        .size:           2
        .value_kind:     hidden_group_size_x
      - .offset:         62
        .size:           2
        .value_kind:     hidden_group_size_y
      - .offset:         64
        .size:           2
        .value_kind:     hidden_group_size_z
      - .offset:         66
        .size:           2
        .value_kind:     hidden_remainder_x
      - .offset:         68
        .size:           2
        .value_kind:     hidden_remainder_y
      - .offset:         70
        .size:           2
        .value_kind:     hidden_remainder_z
      - .offset:         88
        .size:           8
        .value_kind:     hidden_global_offset_x
      - .offset:         96
        .size:           8
        .value_kind:     hidden_global_offset_y
      - .offset:         104
        .size:           8
        .value_kind:     hidden_global_offset_z
      - .offset:         112
        .size:           2
        .value_kind:     hidden_grid_dims
    .group_segment_fixed_size: 0
    .kernarg_segment_align: 8
    .kernarg_segment_size: 304
    .language:       OpenCL C
    .language_version:
      - 2
      - 0
    .max_flat_workgroup_size: 1024
    .name:           _ZN5aiter23act_and_mul_bias_kernelIfDF16_lfTnPFfRKT2_EXadL_ZNS_11gelu_kernelIfEEfRKT_EELi4EEEvPT0_PS8_PKT1_PS2_il
    .private_segment_fixed_size: 0
    .sgpr_count:     48
    .sgpr_spill_count: 0
    .symbol:         _ZN5aiter23act_and_mul_bias_kernelIfDF16_lfTnPFfRKT2_EXadL_ZNS_11gelu_kernelIfEEfRKT_EELi4EEEvPT0_PS8_PKT1_PS2_il.kd
    .uniform_work_group_size: 1
    .uses_dynamic_stack: false
    .vgpr_count:     26
    .vgpr_spill_count: 0
    .wavefront_size: 64
  - .agpr_count:     0
    .args:
      - .actual_access:  write_only
        .address_space:  global
        .offset:         0
        .size:           8
        .value_kind:     global_buffer
      - .actual_access:  read_only
        .address_space:  global
        .offset:         8
        .size:           8
        .value_kind:     global_buffer
      - .actual_access:  read_only
        .address_space:  global
        .offset:         16
        .size:           8
        .value_kind:     global_buffer
      - .actual_access:  read_only
        .address_space:  global
        .offset:         24
        .size:           8
        .value_kind:     global_buffer
      - .offset:         32
        .size:           4
        .value_kind:     by_value
      - .offset:         40
        .size:           8
        .value_kind:     by_value
      - .offset:         48
        .size:           4
        .value_kind:     hidden_block_count_x
      - .offset:         52
        .size:           4
        .value_kind:     hidden_block_count_y
      - .offset:         56
        .size:           4
        .value_kind:     hidden_block_count_z
      - .offset:         60
        .size:           2
        .value_kind:     hidden_group_size_x
      - .offset:         62
        .size:           2
        .value_kind:     hidden_group_size_y
      - .offset:         64
        .size:           2
        .value_kind:     hidden_group_size_z
      - .offset:         66
        .size:           2
        .value_kind:     hidden_remainder_x
      - .offset:         68
        .size:           2
        .value_kind:     hidden_remainder_y
      - .offset:         70
        .size:           2
        .value_kind:     hidden_remainder_z
      - .offset:         88
        .size:           8
        .value_kind:     hidden_global_offset_x
      - .offset:         96
        .size:           8
        .value_kind:     hidden_global_offset_y
      - .offset:         104
        .size:           8
        .value_kind:     hidden_global_offset_z
      - .offset:         112
        .size:           2
        .value_kind:     hidden_grid_dims
    .group_segment_fixed_size: 0
    .kernarg_segment_align: 8
    .kernarg_segment_size: 304
    .language:       OpenCL C
    .language_version:
      - 2
      - 0
    .max_flat_workgroup_size: 1024
    .name:           _ZN5aiter23act_and_mul_bias_kernelIfDF16_lfTnPFfRKT2_EXadL_ZNS_11gelu_kernelIfEEfRKT_EELi2EEEvPT0_PS8_PKT1_PS2_il
    .private_segment_fixed_size: 0
    .sgpr_count:     48
    .sgpr_spill_count: 0
    .symbol:         _ZN5aiter23act_and_mul_bias_kernelIfDF16_lfTnPFfRKT2_EXadL_ZNS_11gelu_kernelIfEEfRKT_EELi2EEEvPT0_PS8_PKT1_PS2_il.kd
    .uniform_work_group_size: 1
    .uses_dynamic_stack: false
    .vgpr_count:     19
    .vgpr_spill_count: 0
    .wavefront_size: 64
  - .agpr_count:     0
    .args:
      - .actual_access:  write_only
        .address_space:  global
        .offset:         0
        .size:           8
        .value_kind:     global_buffer
      - .actual_access:  read_only
        .address_space:  global
        .offset:         8
        .size:           8
        .value_kind:     global_buffer
      - .actual_access:  read_only
        .address_space:  global
        .offset:         16
        .size:           8
        .value_kind:     global_buffer
      - .actual_access:  read_only
        .address_space:  global
        .offset:         24
        .size:           8
        .value_kind:     global_buffer
      - .offset:         32
        .size:           4
        .value_kind:     by_value
      - .offset:         40
        .size:           8
        .value_kind:     by_value
      - .offset:         48
        .size:           4
        .value_kind:     hidden_block_count_x
      - .offset:         52
        .size:           4
        .value_kind:     hidden_block_count_y
      - .offset:         56
        .size:           4
        .value_kind:     hidden_block_count_z
      - .offset:         60
        .size:           2
        .value_kind:     hidden_group_size_x
      - .offset:         62
        .size:           2
        .value_kind:     hidden_group_size_y
      - .offset:         64
        .size:           2
        .value_kind:     hidden_group_size_z
      - .offset:         66
        .size:           2
        .value_kind:     hidden_remainder_x
      - .offset:         68
        .size:           2
        .value_kind:     hidden_remainder_y
      - .offset:         70
        .size:           2
        .value_kind:     hidden_remainder_z
      - .offset:         88
        .size:           8
        .value_kind:     hidden_global_offset_x
      - .offset:         96
        .size:           8
        .value_kind:     hidden_global_offset_y
      - .offset:         104
        .size:           8
        .value_kind:     hidden_global_offset_z
      - .offset:         112
        .size:           2
        .value_kind:     hidden_grid_dims
    .group_segment_fixed_size: 0
    .kernarg_segment_align: 8
    .kernarg_segment_size: 304
    .language:       OpenCL C
    .language_version:
      - 2
      - 0
    .max_flat_workgroup_size: 1024
    .name:           _ZN5aiter23act_and_mul_bias_kernelIfDF16_lfTnPFfRKT2_EXadL_ZNS_11gelu_kernelIfEEfRKT_EELi1EEEvPT0_PS8_PKT1_PS2_il
    .private_segment_fixed_size: 0
    .sgpr_count:     45
    .sgpr_spill_count: 0
    .symbol:         _ZN5aiter23act_and_mul_bias_kernelIfDF16_lfTnPFfRKT2_EXadL_ZNS_11gelu_kernelIfEEfRKT_EELi1EEEvPT0_PS8_PKT1_PS2_il.kd
    .uniform_work_group_size: 1
    .uses_dynamic_stack: false
    .vgpr_count:     15
    .vgpr_spill_count: 0
    .wavefront_size: 64
  - .agpr_count:     0
    .args:
      - .actual_access:  write_only
        .address_space:  global
        .offset:         0
        .size:           8
        .value_kind:     global_buffer
      - .actual_access:  read_only
        .address_space:  global
        .offset:         8
        .size:           8
        .value_kind:     global_buffer
      - .actual_access:  read_only
        .address_space:  global
        .offset:         16
        .size:           8
        .value_kind:     global_buffer
      - .actual_access:  read_only
        .address_space:  global
        .offset:         24
        .size:           8
        .value_kind:     global_buffer
      - .offset:         32
        .size:           4
        .value_kind:     by_value
      - .offset:         40
        .size:           8
        .value_kind:     by_value
      - .offset:         48
        .size:           4
        .value_kind:     hidden_block_count_x
      - .offset:         52
        .size:           4
        .value_kind:     hidden_block_count_y
      - .offset:         56
        .size:           4
        .value_kind:     hidden_block_count_z
      - .offset:         60
        .size:           2
        .value_kind:     hidden_group_size_x
      - .offset:         62
        .size:           2
        .value_kind:     hidden_group_size_y
      - .offset:         64
        .size:           2
        .value_kind:     hidden_group_size_z
      - .offset:         66
        .size:           2
        .value_kind:     hidden_remainder_x
      - .offset:         68
        .size:           2
        .value_kind:     hidden_remainder_y
      - .offset:         70
        .size:           2
        .value_kind:     hidden_remainder_z
      - .offset:         88
        .size:           8
        .value_kind:     hidden_global_offset_x
      - .offset:         96
        .size:           8
        .value_kind:     hidden_global_offset_y
      - .offset:         104
        .size:           8
        .value_kind:     hidden_global_offset_z
      - .offset:         112
        .size:           2
        .value_kind:     hidden_grid_dims
    .group_segment_fixed_size: 0
    .kernarg_segment_align: 8
    .kernarg_segment_size: 304
    .language:       OpenCL C
    .language_version:
      - 2
      - 0
    .max_flat_workgroup_size: 1024
    .name:           _ZN5aiter23act_and_mul_bias_kernelIfflfTnPFfRKT2_EXadL_ZNS_11gelu_kernelIfEEfRKT_EELi16EEEvPT0_PS8_PKT1_PS2_il
    .private_segment_fixed_size: 0
    .sgpr_count:     48
    .sgpr_spill_count: 0
    .symbol:         _ZN5aiter23act_and_mul_bias_kernelIfflfTnPFfRKT2_EXadL_ZNS_11gelu_kernelIfEEfRKT_EELi16EEEvPT0_PS8_PKT1_PS2_il.kd
    .uniform_work_group_size: 1
    .uses_dynamic_stack: false
    .vgpr_count:     75
    .vgpr_spill_count: 0
    .wavefront_size: 64
  - .agpr_count:     0
    .args:
      - .actual_access:  write_only
        .address_space:  global
        .offset:         0
        .size:           8
        .value_kind:     global_buffer
      - .actual_access:  read_only
        .address_space:  global
        .offset:         8
        .size:           8
        .value_kind:     global_buffer
      - .actual_access:  read_only
        .address_space:  global
        .offset:         16
        .size:           8
        .value_kind:     global_buffer
      - .actual_access:  read_only
        .address_space:  global
        .offset:         24
        .size:           8
        .value_kind:     global_buffer
      - .offset:         32
        .size:           4
        .value_kind:     by_value
      - .offset:         40
        .size:           8
        .value_kind:     by_value
      - .offset:         48
        .size:           4
        .value_kind:     hidden_block_count_x
      - .offset:         52
        .size:           4
        .value_kind:     hidden_block_count_y
      - .offset:         56
        .size:           4
        .value_kind:     hidden_block_count_z
      - .offset:         60
        .size:           2
        .value_kind:     hidden_group_size_x
      - .offset:         62
        .size:           2
        .value_kind:     hidden_group_size_y
      - .offset:         64
        .size:           2
        .value_kind:     hidden_group_size_z
      - .offset:         66
        .size:           2
        .value_kind:     hidden_remainder_x
      - .offset:         68
        .size:           2
        .value_kind:     hidden_remainder_y
      - .offset:         70
        .size:           2
        .value_kind:     hidden_remainder_z
      - .offset:         88
        .size:           8
        .value_kind:     hidden_global_offset_x
      - .offset:         96
        .size:           8
        .value_kind:     hidden_global_offset_y
      - .offset:         104
        .size:           8
        .value_kind:     hidden_global_offset_z
      - .offset:         112
        .size:           2
        .value_kind:     hidden_grid_dims
    .group_segment_fixed_size: 0
    .kernarg_segment_align: 8
    .kernarg_segment_size: 304
    .language:       OpenCL C
    .language_version:
      - 2
      - 0
    .max_flat_workgroup_size: 1024
    .name:           _ZN5aiter23act_and_mul_bias_kernelIfflfTnPFfRKT2_EXadL_ZNS_11gelu_kernelIfEEfRKT_EELi8EEEvPT0_PS8_PKT1_PS2_il
    .private_segment_fixed_size: 0
    .sgpr_count:     48
    .sgpr_spill_count: 0
    .symbol:         _ZN5aiter23act_and_mul_bias_kernelIfflfTnPFfRKT2_EXadL_ZNS_11gelu_kernelIfEEfRKT_EELi8EEEvPT0_PS8_PKT1_PS2_il.kd
    .uniform_work_group_size: 1
    .uses_dynamic_stack: false
    .vgpr_count:     43
    .vgpr_spill_count: 0
    .wavefront_size: 64
  - .agpr_count:     0
    .args:
      - .actual_access:  write_only
        .address_space:  global
        .offset:         0
        .size:           8
        .value_kind:     global_buffer
      - .actual_access:  read_only
        .address_space:  global
        .offset:         8
        .size:           8
        .value_kind:     global_buffer
      - .actual_access:  read_only
        .address_space:  global
        .offset:         16
        .size:           8
        .value_kind:     global_buffer
      - .actual_access:  read_only
        .address_space:  global
        .offset:         24
        .size:           8
        .value_kind:     global_buffer
      - .offset:         32
        .size:           4
        .value_kind:     by_value
      - .offset:         40
        .size:           8
        .value_kind:     by_value
      - .offset:         48
        .size:           4
        .value_kind:     hidden_block_count_x
      - .offset:         52
        .size:           4
        .value_kind:     hidden_block_count_y
      - .offset:         56
        .size:           4
        .value_kind:     hidden_block_count_z
      - .offset:         60
        .size:           2
        .value_kind:     hidden_group_size_x
      - .offset:         62
        .size:           2
        .value_kind:     hidden_group_size_y
      - .offset:         64
        .size:           2
        .value_kind:     hidden_group_size_z
      - .offset:         66
        .size:           2
        .value_kind:     hidden_remainder_x
      - .offset:         68
        .size:           2
        .value_kind:     hidden_remainder_y
      - .offset:         70
        .size:           2
        .value_kind:     hidden_remainder_z
      - .offset:         88
        .size:           8
        .value_kind:     hidden_global_offset_x
      - .offset:         96
        .size:           8
        .value_kind:     hidden_global_offset_y
      - .offset:         104
        .size:           8
        .value_kind:     hidden_global_offset_z
      - .offset:         112
        .size:           2
        .value_kind:     hidden_grid_dims
    .group_segment_fixed_size: 0
    .kernarg_segment_align: 8
    .kernarg_segment_size: 304
    .language:       OpenCL C
    .language_version:
      - 2
      - 0
    .max_flat_workgroup_size: 1024
    .name:           _ZN5aiter23act_and_mul_bias_kernelIfflfTnPFfRKT2_EXadL_ZNS_11gelu_kernelIfEEfRKT_EELi4EEEvPT0_PS8_PKT1_PS2_il
    .private_segment_fixed_size: 0
    .sgpr_count:     48
    .sgpr_spill_count: 0
    .symbol:         _ZN5aiter23act_and_mul_bias_kernelIfflfTnPFfRKT2_EXadL_ZNS_11gelu_kernelIfEEfRKT_EELi4EEEvPT0_PS8_PKT1_PS2_il.kd
    .uniform_work_group_size: 1
    .uses_dynamic_stack: false
    .vgpr_count:     27
    .vgpr_spill_count: 0
    .wavefront_size: 64
  - .agpr_count:     0
    .args:
      - .actual_access:  write_only
        .address_space:  global
        .offset:         0
        .size:           8
        .value_kind:     global_buffer
      - .actual_access:  read_only
        .address_space:  global
        .offset:         8
        .size:           8
        .value_kind:     global_buffer
      - .actual_access:  read_only
        .address_space:  global
        .offset:         16
        .size:           8
        .value_kind:     global_buffer
      - .actual_access:  read_only
        .address_space:  global
        .offset:         24
        .size:           8
        .value_kind:     global_buffer
      - .offset:         32
        .size:           4
        .value_kind:     by_value
      - .offset:         40
        .size:           8
        .value_kind:     by_value
      - .offset:         48
        .size:           4
        .value_kind:     hidden_block_count_x
      - .offset:         52
        .size:           4
        .value_kind:     hidden_block_count_y
      - .offset:         56
        .size:           4
        .value_kind:     hidden_block_count_z
      - .offset:         60
        .size:           2
        .value_kind:     hidden_group_size_x
      - .offset:         62
        .size:           2
        .value_kind:     hidden_group_size_y
      - .offset:         64
        .size:           2
        .value_kind:     hidden_group_size_z
      - .offset:         66
        .size:           2
        .value_kind:     hidden_remainder_x
      - .offset:         68
        .size:           2
        .value_kind:     hidden_remainder_y
      - .offset:         70
        .size:           2
        .value_kind:     hidden_remainder_z
      - .offset:         88
        .size:           8
        .value_kind:     hidden_global_offset_x
      - .offset:         96
        .size:           8
        .value_kind:     hidden_global_offset_y
      - .offset:         104
        .size:           8
        .value_kind:     hidden_global_offset_z
      - .offset:         112
        .size:           2
        .value_kind:     hidden_grid_dims
    .group_segment_fixed_size: 0
    .kernarg_segment_align: 8
    .kernarg_segment_size: 304
    .language:       OpenCL C
    .language_version:
      - 2
      - 0
    .max_flat_workgroup_size: 1024
    .name:           _ZN5aiter23act_and_mul_bias_kernelIfflfTnPFfRKT2_EXadL_ZNS_11gelu_kernelIfEEfRKT_EELi2EEEvPT0_PS8_PKT1_PS2_il
    .private_segment_fixed_size: 0
    .sgpr_count:     48
    .sgpr_spill_count: 0
    .symbol:         _ZN5aiter23act_and_mul_bias_kernelIfflfTnPFfRKT2_EXadL_ZNS_11gelu_kernelIfEEfRKT_EELi2EEEvPT0_PS8_PKT1_PS2_il.kd
    .uniform_work_group_size: 1
    .uses_dynamic_stack: false
    .vgpr_count:     20
    .vgpr_spill_count: 0
    .wavefront_size: 64
  - .agpr_count:     0
    .args:
      - .actual_access:  write_only
        .address_space:  global
        .offset:         0
        .size:           8
        .value_kind:     global_buffer
      - .actual_access:  read_only
        .address_space:  global
        .offset:         8
        .size:           8
        .value_kind:     global_buffer
      - .actual_access:  read_only
        .address_space:  global
        .offset:         16
        .size:           8
        .value_kind:     global_buffer
      - .actual_access:  read_only
        .address_space:  global
        .offset:         24
        .size:           8
        .value_kind:     global_buffer
      - .offset:         32
        .size:           4
        .value_kind:     by_value
      - .offset:         40
        .size:           8
        .value_kind:     by_value
      - .offset:         48
        .size:           4
        .value_kind:     hidden_block_count_x
      - .offset:         52
        .size:           4
        .value_kind:     hidden_block_count_y
      - .offset:         56
        .size:           4
        .value_kind:     hidden_block_count_z
      - .offset:         60
        .size:           2
        .value_kind:     hidden_group_size_x
      - .offset:         62
        .size:           2
        .value_kind:     hidden_group_size_y
      - .offset:         64
        .size:           2
        .value_kind:     hidden_group_size_z
      - .offset:         66
        .size:           2
        .value_kind:     hidden_remainder_x
      - .offset:         68
        .size:           2
        .value_kind:     hidden_remainder_y
      - .offset:         70
        .size:           2
        .value_kind:     hidden_remainder_z
      - .offset:         88
        .size:           8
        .value_kind:     hidden_global_offset_x
      - .offset:         96
        .size:           8
        .value_kind:     hidden_global_offset_y
      - .offset:         104
        .size:           8
        .value_kind:     hidden_global_offset_z
      - .offset:         112
        .size:           2
        .value_kind:     hidden_grid_dims
    .group_segment_fixed_size: 0
    .kernarg_segment_align: 8
    .kernarg_segment_size: 304
    .language:       OpenCL C
    .language_version:
      - 2
      - 0
    .max_flat_workgroup_size: 1024
    .name:           _ZN5aiter23act_and_mul_bias_kernelIfflfTnPFfRKT2_EXadL_ZNS_11gelu_kernelIfEEfRKT_EELi1EEEvPT0_PS8_PKT1_PS2_il
    .private_segment_fixed_size: 0
    .sgpr_count:     44
    .sgpr_spill_count: 0
    .symbol:         _ZN5aiter23act_and_mul_bias_kernelIfflfTnPFfRKT2_EXadL_ZNS_11gelu_kernelIfEEfRKT_EELi1EEEvPT0_PS8_PKT1_PS2_il.kd
    .uniform_work_group_size: 1
    .uses_dynamic_stack: false
    .vgpr_count:     14
    .vgpr_spill_count: 0
    .wavefront_size: 64
  - .agpr_count:     0
    .args:
      - .actual_access:  write_only
        .address_space:  global
        .offset:         0
        .size:           8
        .value_kind:     global_buffer
      - .actual_access:  read_only
        .address_space:  global
        .offset:         8
        .size:           8
        .value_kind:     global_buffer
      - .actual_access:  read_only
        .address_space:  global
        .offset:         16
        .size:           8
        .value_kind:     global_buffer
      - .actual_access:  read_only
        .address_space:  global
        .offset:         24
        .size:           8
        .value_kind:     global_buffer
      - .offset:         32
        .size:           4
        .value_kind:     by_value
      - .offset:         40
        .size:           8
        .value_kind:     by_value
      - .offset:         48
        .size:           4
        .value_kind:     hidden_block_count_x
      - .offset:         52
        .size:           4
        .value_kind:     hidden_block_count_y
      - .offset:         56
        .size:           4
        .value_kind:     hidden_block_count_z
      - .offset:         60
        .size:           2
        .value_kind:     hidden_group_size_x
      - .offset:         62
        .size:           2
        .value_kind:     hidden_group_size_y
      - .offset:         64
        .size:           2
        .value_kind:     hidden_group_size_z
      - .offset:         66
        .size:           2
        .value_kind:     hidden_remainder_x
      - .offset:         68
        .size:           2
        .value_kind:     hidden_remainder_y
      - .offset:         70
        .size:           2
        .value_kind:     hidden_remainder_z
      - .offset:         88
        .size:           8
        .value_kind:     hidden_global_offset_x
      - .offset:         96
        .size:           8
        .value_kind:     hidden_global_offset_y
      - .offset:         104
        .size:           8
        .value_kind:     hidden_global_offset_z
      - .offset:         112
        .size:           2
        .value_kind:     hidden_grid_dims
    .group_segment_fixed_size: 0
    .kernarg_segment_align: 8
    .kernarg_segment_size: 304
    .language:       OpenCL C
    .language_version:
      - 2
      - 0
    .max_flat_workgroup_size: 1024
    .name:           _ZN5aiter23act_and_mul_bias_kernelIDF16_DF16_lfTnPFfRKT2_EXadL_ZNS_11gelu_kernelIfEEfRKT_EELi32EEEvPT0_PS8_PKT1_PS2_il
    .private_segment_fixed_size: 0
    .sgpr_count:     50
    .sgpr_spill_count: 0
    .symbol:         _ZN5aiter23act_and_mul_bias_kernelIDF16_DF16_lfTnPFfRKT2_EXadL_ZNS_11gelu_kernelIfEEfRKT_EELi32EEEvPT0_PS8_PKT1_PS2_il.kd
    .uniform_work_group_size: 1
    .uses_dynamic_stack: false
    .vgpr_count:     108
    .vgpr_spill_count: 0
    .wavefront_size: 64
  - .agpr_count:     0
    .args:
      - .actual_access:  write_only
        .address_space:  global
        .offset:         0
        .size:           8
        .value_kind:     global_buffer
      - .actual_access:  read_only
        .address_space:  global
        .offset:         8
        .size:           8
        .value_kind:     global_buffer
      - .actual_access:  read_only
        .address_space:  global
        .offset:         16
        .size:           8
        .value_kind:     global_buffer
      - .actual_access:  read_only
        .address_space:  global
        .offset:         24
        .size:           8
        .value_kind:     global_buffer
      - .offset:         32
        .size:           4
        .value_kind:     by_value
      - .offset:         40
        .size:           8
        .value_kind:     by_value
      - .offset:         48
        .size:           4
        .value_kind:     hidden_block_count_x
      - .offset:         52
        .size:           4
        .value_kind:     hidden_block_count_y
      - .offset:         56
        .size:           4
        .value_kind:     hidden_block_count_z
      - .offset:         60
        .size:           2
        .value_kind:     hidden_group_size_x
      - .offset:         62
        .size:           2
        .value_kind:     hidden_group_size_y
      - .offset:         64
        .size:           2
        .value_kind:     hidden_group_size_z
      - .offset:         66
        .size:           2
        .value_kind:     hidden_remainder_x
      - .offset:         68
        .size:           2
        .value_kind:     hidden_remainder_y
      - .offset:         70
        .size:           2
        .value_kind:     hidden_remainder_z
      - .offset:         88
        .size:           8
        .value_kind:     hidden_global_offset_x
      - .offset:         96
        .size:           8
        .value_kind:     hidden_global_offset_y
      - .offset:         104
        .size:           8
        .value_kind:     hidden_global_offset_z
      - .offset:         112
        .size:           2
        .value_kind:     hidden_grid_dims
    .group_segment_fixed_size: 0
    .kernarg_segment_align: 8
    .kernarg_segment_size: 304
    .language:       OpenCL C
    .language_version:
      - 2
      - 0
    .max_flat_workgroup_size: 1024
    .name:           _ZN5aiter23act_and_mul_bias_kernelIDF16_DF16_lfTnPFfRKT2_EXadL_ZNS_11gelu_kernelIfEEfRKT_EELi16EEEvPT0_PS8_PKT1_PS2_il
    .private_segment_fixed_size: 0
    .sgpr_count:     48
    .sgpr_spill_count: 0
    .symbol:         _ZN5aiter23act_and_mul_bias_kernelIDF16_DF16_lfTnPFfRKT2_EXadL_ZNS_11gelu_kernelIfEEfRKT_EELi16EEEvPT0_PS8_PKT1_PS2_il.kd
    .uniform_work_group_size: 1
    .uses_dynamic_stack: false
    .vgpr_count:     60
    .vgpr_spill_count: 0
    .wavefront_size: 64
  - .agpr_count:     0
    .args:
      - .actual_access:  write_only
        .address_space:  global
        .offset:         0
        .size:           8
        .value_kind:     global_buffer
      - .actual_access:  read_only
        .address_space:  global
        .offset:         8
        .size:           8
        .value_kind:     global_buffer
      - .actual_access:  read_only
        .address_space:  global
        .offset:         16
        .size:           8
        .value_kind:     global_buffer
      - .actual_access:  read_only
        .address_space:  global
        .offset:         24
        .size:           8
        .value_kind:     global_buffer
      - .offset:         32
        .size:           4
        .value_kind:     by_value
      - .offset:         40
        .size:           8
        .value_kind:     by_value
      - .offset:         48
        .size:           4
        .value_kind:     hidden_block_count_x
      - .offset:         52
        .size:           4
        .value_kind:     hidden_block_count_y
      - .offset:         56
        .size:           4
        .value_kind:     hidden_block_count_z
      - .offset:         60
        .size:           2
        .value_kind:     hidden_group_size_x
      - .offset:         62
        .size:           2
        .value_kind:     hidden_group_size_y
      - .offset:         64
        .size:           2
        .value_kind:     hidden_group_size_z
      - .offset:         66
        .size:           2
        .value_kind:     hidden_remainder_x
      - .offset:         68
        .size:           2
        .value_kind:     hidden_remainder_y
      - .offset:         70
        .size:           2
        .value_kind:     hidden_remainder_z
      - .offset:         88
        .size:           8
        .value_kind:     hidden_global_offset_x
      - .offset:         96
        .size:           8
        .value_kind:     hidden_global_offset_y
      - .offset:         104
        .size:           8
        .value_kind:     hidden_global_offset_z
      - .offset:         112
        .size:           2
        .value_kind:     hidden_grid_dims
    .group_segment_fixed_size: 0
    .kernarg_segment_align: 8
    .kernarg_segment_size: 304
    .language:       OpenCL C
    .language_version:
      - 2
      - 0
    .max_flat_workgroup_size: 1024
    .name:           _ZN5aiter23act_and_mul_bias_kernelIDF16_DF16_lfTnPFfRKT2_EXadL_ZNS_11gelu_kernelIfEEfRKT_EELi8EEEvPT0_PS8_PKT1_PS2_il
    .private_segment_fixed_size: 0
    .sgpr_count:     48
    .sgpr_spill_count: 0
    .symbol:         _ZN5aiter23act_and_mul_bias_kernelIDF16_DF16_lfTnPFfRKT2_EXadL_ZNS_11gelu_kernelIfEEfRKT_EELi8EEEvPT0_PS8_PKT1_PS2_il.kd
    .uniform_work_group_size: 1
    .uses_dynamic_stack: false
    .vgpr_count:     36
    .vgpr_spill_count: 0
    .wavefront_size: 64
  - .agpr_count:     0
    .args:
      - .actual_access:  write_only
        .address_space:  global
        .offset:         0
        .size:           8
        .value_kind:     global_buffer
      - .actual_access:  read_only
        .address_space:  global
        .offset:         8
        .size:           8
        .value_kind:     global_buffer
      - .actual_access:  read_only
        .address_space:  global
        .offset:         16
        .size:           8
        .value_kind:     global_buffer
      - .actual_access:  read_only
        .address_space:  global
        .offset:         24
        .size:           8
        .value_kind:     global_buffer
      - .offset:         32
        .size:           4
        .value_kind:     by_value
      - .offset:         40
        .size:           8
        .value_kind:     by_value
      - .offset:         48
        .size:           4
        .value_kind:     hidden_block_count_x
      - .offset:         52
        .size:           4
        .value_kind:     hidden_block_count_y
      - .offset:         56
        .size:           4
        .value_kind:     hidden_block_count_z
      - .offset:         60
        .size:           2
        .value_kind:     hidden_group_size_x
      - .offset:         62
        .size:           2
        .value_kind:     hidden_group_size_y
      - .offset:         64
        .size:           2
        .value_kind:     hidden_group_size_z
      - .offset:         66
        .size:           2
        .value_kind:     hidden_remainder_x
      - .offset:         68
        .size:           2
        .value_kind:     hidden_remainder_y
      - .offset:         70
        .size:           2
        .value_kind:     hidden_remainder_z
      - .offset:         88
        .size:           8
        .value_kind:     hidden_global_offset_x
      - .offset:         96
        .size:           8
        .value_kind:     hidden_global_offset_y
      - .offset:         104
        .size:           8
        .value_kind:     hidden_global_offset_z
      - .offset:         112
        .size:           2
        .value_kind:     hidden_grid_dims
    .group_segment_fixed_size: 0
    .kernarg_segment_align: 8
    .kernarg_segment_size: 304
    .language:       OpenCL C
    .language_version:
      - 2
      - 0
    .max_flat_workgroup_size: 1024
    .name:           _ZN5aiter23act_and_mul_bias_kernelIDF16_DF16_lfTnPFfRKT2_EXadL_ZNS_11gelu_kernelIfEEfRKT_EELi4EEEvPT0_PS8_PKT1_PS2_il
    .private_segment_fixed_size: 0
    .sgpr_count:     48
    .sgpr_spill_count: 0
    .symbol:         _ZN5aiter23act_and_mul_bias_kernelIDF16_DF16_lfTnPFfRKT2_EXadL_ZNS_11gelu_kernelIfEEfRKT_EELi4EEEvPT0_PS8_PKT1_PS2_il.kd
    .uniform_work_group_size: 1
    .uses_dynamic_stack: false
    .vgpr_count:     24
    .vgpr_spill_count: 0
    .wavefront_size: 64
  - .agpr_count:     0
    .args:
      - .actual_access:  write_only
        .address_space:  global
        .offset:         0
        .size:           8
        .value_kind:     global_buffer
      - .actual_access:  read_only
        .address_space:  global
        .offset:         8
        .size:           8
        .value_kind:     global_buffer
      - .actual_access:  read_only
        .address_space:  global
        .offset:         16
        .size:           8
        .value_kind:     global_buffer
      - .actual_access:  read_only
        .address_space:  global
        .offset:         24
        .size:           8
        .value_kind:     global_buffer
      - .offset:         32
        .size:           4
        .value_kind:     by_value
      - .offset:         40
        .size:           8
        .value_kind:     by_value
      - .offset:         48
        .size:           4
        .value_kind:     hidden_block_count_x
      - .offset:         52
        .size:           4
        .value_kind:     hidden_block_count_y
      - .offset:         56
        .size:           4
        .value_kind:     hidden_block_count_z
      - .offset:         60
        .size:           2
        .value_kind:     hidden_group_size_x
      - .offset:         62
        .size:           2
        .value_kind:     hidden_group_size_y
      - .offset:         64
        .size:           2
        .value_kind:     hidden_group_size_z
      - .offset:         66
        .size:           2
        .value_kind:     hidden_remainder_x
      - .offset:         68
        .size:           2
        .value_kind:     hidden_remainder_y
      - .offset:         70
        .size:           2
        .value_kind:     hidden_remainder_z
      - .offset:         88
        .size:           8
        .value_kind:     hidden_global_offset_x
      - .offset:         96
        .size:           8
        .value_kind:     hidden_global_offset_y
      - .offset:         104
        .size:           8
        .value_kind:     hidden_global_offset_z
      - .offset:         112
        .size:           2
        .value_kind:     hidden_grid_dims
    .group_segment_fixed_size: 0
    .kernarg_segment_align: 8
    .kernarg_segment_size: 304
    .language:       OpenCL C
    .language_version:
      - 2
      - 0
    .max_flat_workgroup_size: 1024
    .name:           _ZN5aiter23act_and_mul_bias_kernelIDF16_DF16_lfTnPFfRKT2_EXadL_ZNS_11gelu_kernelIfEEfRKT_EELi2EEEvPT0_PS8_PKT1_PS2_il
    .private_segment_fixed_size: 0
    .sgpr_count:     48
    .sgpr_spill_count: 0
    .symbol:         _ZN5aiter23act_and_mul_bias_kernelIDF16_DF16_lfTnPFfRKT2_EXadL_ZNS_11gelu_kernelIfEEfRKT_EELi2EEEvPT0_PS8_PKT1_PS2_il.kd
    .uniform_work_group_size: 1
    .uses_dynamic_stack: false
    .vgpr_count:     20
    .vgpr_spill_count: 0
    .wavefront_size: 64
  - .agpr_count:     0
    .args:
      - .actual_access:  write_only
        .address_space:  global
        .offset:         0
        .size:           8
        .value_kind:     global_buffer
      - .actual_access:  read_only
        .address_space:  global
        .offset:         8
        .size:           8
        .value_kind:     global_buffer
      - .actual_access:  read_only
        .address_space:  global
        .offset:         16
        .size:           8
        .value_kind:     global_buffer
      - .actual_access:  read_only
        .address_space:  global
        .offset:         24
        .size:           8
        .value_kind:     global_buffer
      - .offset:         32
        .size:           4
        .value_kind:     by_value
      - .offset:         40
        .size:           8
        .value_kind:     by_value
      - .offset:         48
        .size:           4
        .value_kind:     hidden_block_count_x
      - .offset:         52
        .size:           4
        .value_kind:     hidden_block_count_y
      - .offset:         56
        .size:           4
        .value_kind:     hidden_block_count_z
      - .offset:         60
        .size:           2
        .value_kind:     hidden_group_size_x
      - .offset:         62
        .size:           2
        .value_kind:     hidden_group_size_y
      - .offset:         64
        .size:           2
        .value_kind:     hidden_group_size_z
      - .offset:         66
        .size:           2
        .value_kind:     hidden_remainder_x
      - .offset:         68
        .size:           2
        .value_kind:     hidden_remainder_y
      - .offset:         70
        .size:           2
        .value_kind:     hidden_remainder_z
      - .offset:         88
        .size:           8
        .value_kind:     hidden_global_offset_x
      - .offset:         96
        .size:           8
        .value_kind:     hidden_global_offset_y
      - .offset:         104
        .size:           8
        .value_kind:     hidden_global_offset_z
      - .offset:         112
        .size:           2
        .value_kind:     hidden_grid_dims
    .group_segment_fixed_size: 0
    .kernarg_segment_align: 8
    .kernarg_segment_size: 304
    .language:       OpenCL C
    .language_version:
      - 2
      - 0
    .max_flat_workgroup_size: 1024
    .name:           _ZN5aiter23act_and_mul_bias_kernelIDF16_DF16_lfTnPFfRKT2_EXadL_ZNS_11gelu_kernelIfEEfRKT_EELi1EEEvPT0_PS8_PKT1_PS2_il
    .private_segment_fixed_size: 0
    .sgpr_count:     48
    .sgpr_spill_count: 0
    .symbol:         _ZN5aiter23act_and_mul_bias_kernelIDF16_DF16_lfTnPFfRKT2_EXadL_ZNS_11gelu_kernelIfEEfRKT_EELi1EEEvPT0_PS8_PKT1_PS2_il.kd
    .uniform_work_group_size: 1
    .uses_dynamic_stack: false
    .vgpr_count:     15
    .vgpr_spill_count: 0
    .wavefront_size: 64
  - .agpr_count:     0
    .args:
      - .actual_access:  write_only
        .address_space:  global
        .offset:         0
        .size:           8
        .value_kind:     global_buffer
      - .actual_access:  read_only
        .address_space:  global
        .offset:         8
        .size:           8
        .value_kind:     global_buffer
      - .actual_access:  read_only
        .address_space:  global
        .offset:         16
        .size:           8
        .value_kind:     global_buffer
      - .actual_access:  read_only
        .address_space:  global
        .offset:         24
        .size:           8
        .value_kind:     global_buffer
      - .offset:         32
        .size:           4
        .value_kind:     by_value
      - .offset:         40
        .size:           8
        .value_kind:     by_value
      - .offset:         48
        .size:           4
        .value_kind:     hidden_block_count_x
      - .offset:         52
        .size:           4
        .value_kind:     hidden_block_count_y
      - .offset:         56
        .size:           4
        .value_kind:     hidden_block_count_z
      - .offset:         60
        .size:           2
        .value_kind:     hidden_group_size_x
      - .offset:         62
        .size:           2
        .value_kind:     hidden_group_size_y
      - .offset:         64
        .size:           2
        .value_kind:     hidden_group_size_z
      - .offset:         66
        .size:           2
        .value_kind:     hidden_remainder_x
      - .offset:         68
        .size:           2
        .value_kind:     hidden_remainder_y
      - .offset:         70
        .size:           2
        .value_kind:     hidden_remainder_z
      - .offset:         88
        .size:           8
        .value_kind:     hidden_global_offset_x
      - .offset:         96
        .size:           8
        .value_kind:     hidden_global_offset_y
      - .offset:         104
        .size:           8
        .value_kind:     hidden_global_offset_z
      - .offset:         112
        .size:           2
        .value_kind:     hidden_grid_dims
    .group_segment_fixed_size: 0
    .kernarg_segment_align: 8
    .kernarg_segment_size: 304
    .language:       OpenCL C
    .language_version:
      - 2
      - 0
    .max_flat_workgroup_size: 1024
    .name:           _ZN5aiter23act_and_mul_bias_kernelIttlfTnPFfRKT2_EXadL_ZNS_11gelu_kernelIfEEfRKT_EELi32EEEvPT0_PS8_PKT1_PS2_il
    .private_segment_fixed_size: 0
    .sgpr_count:     52
    .sgpr_spill_count: 0
    .symbol:         _ZN5aiter23act_and_mul_bias_kernelIttlfTnPFfRKT2_EXadL_ZNS_11gelu_kernelIfEEfRKT_EELi32EEEvPT0_PS8_PKT1_PS2_il.kd
    .uniform_work_group_size: 1
    .uses_dynamic_stack: false
    .vgpr_count:     108
    .vgpr_spill_count: 0
    .wavefront_size: 64
  - .agpr_count:     0
    .args:
      - .actual_access:  write_only
        .address_space:  global
        .offset:         0
        .size:           8
        .value_kind:     global_buffer
      - .actual_access:  read_only
        .address_space:  global
        .offset:         8
        .size:           8
        .value_kind:     global_buffer
      - .actual_access:  read_only
        .address_space:  global
        .offset:         16
        .size:           8
        .value_kind:     global_buffer
      - .actual_access:  read_only
        .address_space:  global
        .offset:         24
        .size:           8
        .value_kind:     global_buffer
      - .offset:         32
        .size:           4
        .value_kind:     by_value
      - .offset:         40
        .size:           8
        .value_kind:     by_value
      - .offset:         48
        .size:           4
        .value_kind:     hidden_block_count_x
      - .offset:         52
        .size:           4
        .value_kind:     hidden_block_count_y
      - .offset:         56
        .size:           4
        .value_kind:     hidden_block_count_z
      - .offset:         60
        .size:           2
        .value_kind:     hidden_group_size_x
      - .offset:         62
        .size:           2
        .value_kind:     hidden_group_size_y
      - .offset:         64
        .size:           2
        .value_kind:     hidden_group_size_z
      - .offset:         66
        .size:           2
        .value_kind:     hidden_remainder_x
      - .offset:         68
        .size:           2
        .value_kind:     hidden_remainder_y
      - .offset:         70
        .size:           2
        .value_kind:     hidden_remainder_z
      - .offset:         88
        .size:           8
        .value_kind:     hidden_global_offset_x
      - .offset:         96
        .size:           8
        .value_kind:     hidden_global_offset_y
      - .offset:         104
        .size:           8
        .value_kind:     hidden_global_offset_z
      - .offset:         112
        .size:           2
        .value_kind:     hidden_grid_dims
    .group_segment_fixed_size: 0
    .kernarg_segment_align: 8
    .kernarg_segment_size: 304
    .language:       OpenCL C
    .language_version:
      - 2
      - 0
    .max_flat_workgroup_size: 1024
    .name:           _ZN5aiter23act_and_mul_bias_kernelIttlfTnPFfRKT2_EXadL_ZNS_11gelu_kernelIfEEfRKT_EELi16EEEvPT0_PS8_PKT1_PS2_il
    .private_segment_fixed_size: 0
    .sgpr_count:     48
    .sgpr_spill_count: 0
    .symbol:         _ZN5aiter23act_and_mul_bias_kernelIttlfTnPFfRKT2_EXadL_ZNS_11gelu_kernelIfEEfRKT_EELi16EEEvPT0_PS8_PKT1_PS2_il.kd
    .uniform_work_group_size: 1
    .uses_dynamic_stack: false
    .vgpr_count:     60
    .vgpr_spill_count: 0
    .wavefront_size: 64
  - .agpr_count:     0
    .args:
      - .actual_access:  write_only
        .address_space:  global
        .offset:         0
        .size:           8
        .value_kind:     global_buffer
      - .actual_access:  read_only
        .address_space:  global
        .offset:         8
        .size:           8
        .value_kind:     global_buffer
      - .actual_access:  read_only
        .address_space:  global
        .offset:         16
        .size:           8
        .value_kind:     global_buffer
      - .actual_access:  read_only
        .address_space:  global
        .offset:         24
        .size:           8
        .value_kind:     global_buffer
      - .offset:         32
        .size:           4
        .value_kind:     by_value
      - .offset:         40
        .size:           8
        .value_kind:     by_value
      - .offset:         48
        .size:           4
        .value_kind:     hidden_block_count_x
      - .offset:         52
        .size:           4
        .value_kind:     hidden_block_count_y
      - .offset:         56
        .size:           4
        .value_kind:     hidden_block_count_z
      - .offset:         60
        .size:           2
        .value_kind:     hidden_group_size_x
      - .offset:         62
        .size:           2
        .value_kind:     hidden_group_size_y
      - .offset:         64
        .size:           2
        .value_kind:     hidden_group_size_z
      - .offset:         66
        .size:           2
        .value_kind:     hidden_remainder_x
      - .offset:         68
        .size:           2
        .value_kind:     hidden_remainder_y
      - .offset:         70
        .size:           2
        .value_kind:     hidden_remainder_z
      - .offset:         88
        .size:           8
        .value_kind:     hidden_global_offset_x
      - .offset:         96
        .size:           8
        .value_kind:     hidden_global_offset_y
      - .offset:         104
        .size:           8
        .value_kind:     hidden_global_offset_z
      - .offset:         112
        .size:           2
        .value_kind:     hidden_grid_dims
    .group_segment_fixed_size: 0
    .kernarg_segment_align: 8
    .kernarg_segment_size: 304
    .language:       OpenCL C
    .language_version:
      - 2
      - 0
    .max_flat_workgroup_size: 1024
    .name:           _ZN5aiter23act_and_mul_bias_kernelIttlfTnPFfRKT2_EXadL_ZNS_11gelu_kernelIfEEfRKT_EELi8EEEvPT0_PS8_PKT1_PS2_il
    .private_segment_fixed_size: 0
    .sgpr_count:     48
    .sgpr_spill_count: 0
    .symbol:         _ZN5aiter23act_and_mul_bias_kernelIttlfTnPFfRKT2_EXadL_ZNS_11gelu_kernelIfEEfRKT_EELi8EEEvPT0_PS8_PKT1_PS2_il.kd
    .uniform_work_group_size: 1
    .uses_dynamic_stack: false
    .vgpr_count:     36
    .vgpr_spill_count: 0
    .wavefront_size: 64
  - .agpr_count:     0
    .args:
      - .actual_access:  write_only
        .address_space:  global
        .offset:         0
        .size:           8
        .value_kind:     global_buffer
      - .actual_access:  read_only
        .address_space:  global
        .offset:         8
        .size:           8
        .value_kind:     global_buffer
      - .actual_access:  read_only
        .address_space:  global
        .offset:         16
        .size:           8
        .value_kind:     global_buffer
      - .actual_access:  read_only
        .address_space:  global
        .offset:         24
        .size:           8
        .value_kind:     global_buffer
      - .offset:         32
        .size:           4
        .value_kind:     by_value
      - .offset:         40
        .size:           8
        .value_kind:     by_value
      - .offset:         48
        .size:           4
        .value_kind:     hidden_block_count_x
      - .offset:         52
        .size:           4
        .value_kind:     hidden_block_count_y
      - .offset:         56
        .size:           4
        .value_kind:     hidden_block_count_z
      - .offset:         60
        .size:           2
        .value_kind:     hidden_group_size_x
      - .offset:         62
        .size:           2
        .value_kind:     hidden_group_size_y
      - .offset:         64
        .size:           2
        .value_kind:     hidden_group_size_z
      - .offset:         66
        .size:           2
        .value_kind:     hidden_remainder_x
      - .offset:         68
        .size:           2
        .value_kind:     hidden_remainder_y
      - .offset:         70
        .size:           2
        .value_kind:     hidden_remainder_z
      - .offset:         88
        .size:           8
        .value_kind:     hidden_global_offset_x
      - .offset:         96
        .size:           8
        .value_kind:     hidden_global_offset_y
      - .offset:         104
        .size:           8
        .value_kind:     hidden_global_offset_z
      - .offset:         112
        .size:           2
        .value_kind:     hidden_grid_dims
    .group_segment_fixed_size: 0
    .kernarg_segment_align: 8
    .kernarg_segment_size: 304
    .language:       OpenCL C
    .language_version:
      - 2
      - 0
    .max_flat_workgroup_size: 1024
    .name:           _ZN5aiter23act_and_mul_bias_kernelIttlfTnPFfRKT2_EXadL_ZNS_11gelu_kernelIfEEfRKT_EELi4EEEvPT0_PS8_PKT1_PS2_il
    .private_segment_fixed_size: 0
    .sgpr_count:     48
    .sgpr_spill_count: 0
    .symbol:         _ZN5aiter23act_and_mul_bias_kernelIttlfTnPFfRKT2_EXadL_ZNS_11gelu_kernelIfEEfRKT_EELi4EEEvPT0_PS8_PKT1_PS2_il.kd
    .uniform_work_group_size: 1
    .uses_dynamic_stack: false
    .vgpr_count:     24
    .vgpr_spill_count: 0
    .wavefront_size: 64
  - .agpr_count:     0
    .args:
      - .actual_access:  write_only
        .address_space:  global
        .offset:         0
        .size:           8
        .value_kind:     global_buffer
      - .actual_access:  read_only
        .address_space:  global
        .offset:         8
        .size:           8
        .value_kind:     global_buffer
      - .actual_access:  read_only
        .address_space:  global
        .offset:         16
        .size:           8
        .value_kind:     global_buffer
      - .actual_access:  read_only
        .address_space:  global
        .offset:         24
        .size:           8
        .value_kind:     global_buffer
      - .offset:         32
        .size:           4
        .value_kind:     by_value
      - .offset:         40
        .size:           8
        .value_kind:     by_value
      - .offset:         48
        .size:           4
        .value_kind:     hidden_block_count_x
      - .offset:         52
        .size:           4
        .value_kind:     hidden_block_count_y
      - .offset:         56
        .size:           4
        .value_kind:     hidden_block_count_z
      - .offset:         60
        .size:           2
        .value_kind:     hidden_group_size_x
      - .offset:         62
        .size:           2
        .value_kind:     hidden_group_size_y
      - .offset:         64
        .size:           2
        .value_kind:     hidden_group_size_z
      - .offset:         66
        .size:           2
        .value_kind:     hidden_remainder_x
      - .offset:         68
        .size:           2
        .value_kind:     hidden_remainder_y
      - .offset:         70
        .size:           2
        .value_kind:     hidden_remainder_z
      - .offset:         88
        .size:           8
        .value_kind:     hidden_global_offset_x
      - .offset:         96
        .size:           8
        .value_kind:     hidden_global_offset_y
      - .offset:         104
        .size:           8
        .value_kind:     hidden_global_offset_z
      - .offset:         112
        .size:           2
        .value_kind:     hidden_grid_dims
    .group_segment_fixed_size: 0
    .kernarg_segment_align: 8
    .kernarg_segment_size: 304
    .language:       OpenCL C
    .language_version:
      - 2
      - 0
    .max_flat_workgroup_size: 1024
    .name:           _ZN5aiter23act_and_mul_bias_kernelIttlfTnPFfRKT2_EXadL_ZNS_11gelu_kernelIfEEfRKT_EELi2EEEvPT0_PS8_PKT1_PS2_il
    .private_segment_fixed_size: 0
    .sgpr_count:     50
    .sgpr_spill_count: 0
    .symbol:         _ZN5aiter23act_and_mul_bias_kernelIttlfTnPFfRKT2_EXadL_ZNS_11gelu_kernelIfEEfRKT_EELi2EEEvPT0_PS8_PKT1_PS2_il.kd
    .uniform_work_group_size: 1
    .uses_dynamic_stack: false
    .vgpr_count:     20
    .vgpr_spill_count: 0
    .wavefront_size: 64
  - .agpr_count:     0
    .args:
      - .actual_access:  write_only
        .address_space:  global
        .offset:         0
        .size:           8
        .value_kind:     global_buffer
      - .actual_access:  read_only
        .address_space:  global
        .offset:         8
        .size:           8
        .value_kind:     global_buffer
      - .actual_access:  read_only
        .address_space:  global
        .offset:         16
        .size:           8
        .value_kind:     global_buffer
      - .actual_access:  read_only
        .address_space:  global
        .offset:         24
        .size:           8
        .value_kind:     global_buffer
      - .offset:         32
        .size:           4
        .value_kind:     by_value
      - .offset:         40
        .size:           8
        .value_kind:     by_value
      - .offset:         48
        .size:           4
        .value_kind:     hidden_block_count_x
      - .offset:         52
        .size:           4
        .value_kind:     hidden_block_count_y
      - .offset:         56
        .size:           4
        .value_kind:     hidden_block_count_z
      - .offset:         60
        .size:           2
        .value_kind:     hidden_group_size_x
      - .offset:         62
        .size:           2
        .value_kind:     hidden_group_size_y
      - .offset:         64
        .size:           2
        .value_kind:     hidden_group_size_z
      - .offset:         66
        .size:           2
        .value_kind:     hidden_remainder_x
      - .offset:         68
        .size:           2
        .value_kind:     hidden_remainder_y
      - .offset:         70
        .size:           2
        .value_kind:     hidden_remainder_z
      - .offset:         88
        .size:           8
        .value_kind:     hidden_global_offset_x
      - .offset:         96
        .size:           8
        .value_kind:     hidden_global_offset_y
      - .offset:         104
        .size:           8
        .value_kind:     hidden_global_offset_z
      - .offset:         112
        .size:           2
        .value_kind:     hidden_grid_dims
    .group_segment_fixed_size: 0
    .kernarg_segment_align: 8
    .kernarg_segment_size: 304
    .language:       OpenCL C
    .language_version:
      - 2
      - 0
    .max_flat_workgroup_size: 1024
    .name:           _ZN5aiter23act_and_mul_bias_kernelIttlfTnPFfRKT2_EXadL_ZNS_11gelu_kernelIfEEfRKT_EELi1EEEvPT0_PS8_PKT1_PS2_il
    .private_segment_fixed_size: 0
    .sgpr_count:     48
    .sgpr_spill_count: 0
    .symbol:         _ZN5aiter23act_and_mul_bias_kernelIttlfTnPFfRKT2_EXadL_ZNS_11gelu_kernelIfEEfRKT_EELi1EEEvPT0_PS8_PKT1_PS2_il.kd
    .uniform_work_group_size: 1
    .uses_dynamic_stack: false
    .vgpr_count:     15
    .vgpr_spill_count: 0
    .wavefront_size: 64
  - .agpr_count:     0
    .args:
      - .actual_access:  write_only
        .address_space:  global
        .offset:         0
        .size:           8
        .value_kind:     global_buffer
      - .actual_access:  read_only
        .address_space:  global
        .offset:         8
        .size:           8
        .value_kind:     global_buffer
      - .offset:         16
        .size:           4
        .value_kind:     by_value
      - .offset:         20
        .size:           4
        .value_kind:     by_value
      - .offset:         24
        .size:           4
        .value_kind:     hidden_block_count_x
      - .offset:         28
        .size:           4
        .value_kind:     hidden_block_count_y
      - .offset:         32
        .size:           4
        .value_kind:     hidden_block_count_z
      - .offset:         36
        .size:           2
        .value_kind:     hidden_group_size_x
      - .offset:         38
        .size:           2
        .value_kind:     hidden_group_size_y
      - .offset:         40
        .size:           2
        .value_kind:     hidden_group_size_z
      - .offset:         42
        .size:           2
        .value_kind:     hidden_remainder_x
      - .offset:         44
        .size:           2
        .value_kind:     hidden_remainder_y
      - .offset:         46
        .size:           2
        .value_kind:     hidden_remainder_z
      - .offset:         64
        .size:           8
        .value_kind:     hidden_global_offset_x
      - .offset:         72
        .size:           8
        .value_kind:     hidden_global_offset_y
      - .offset:         80
        .size:           8
        .value_kind:     hidden_global_offset_z
      - .offset:         88
        .size:           2
        .value_kind:     hidden_grid_dims
    .group_segment_fixed_size: 0
    .kernarg_segment_align: 8
    .kernarg_segment_size: 280
    .language:       OpenCL C
    .language_version:
      - 2
      - 0
    .max_flat_workgroup_size: 1024
    .name:           _ZN5aiter25scaled_act_and_mul_kernelIfDB8_TnPFfRKT_EXadL_ZNS_11silu_kernelIfEEfS4_EELi16EEEvPT0_PS3_if
    .private_segment_fixed_size: 0
    .sgpr_count:     60
    .sgpr_spill_count: 0
    .symbol:         _ZN5aiter25scaled_act_and_mul_kernelIfDB8_TnPFfRKT_EXadL_ZNS_11silu_kernelIfEEfS4_EELi16EEEvPT0_PS3_if.kd
    .uniform_work_group_size: 1
    .uses_dynamic_stack: false
    .vgpr_count:     64
    .vgpr_spill_count: 0
    .wavefront_size: 64
  - .agpr_count:     0
    .args:
      - .actual_access:  write_only
        .address_space:  global
        .offset:         0
        .size:           8
        .value_kind:     global_buffer
      - .actual_access:  read_only
        .address_space:  global
        .offset:         8
        .size:           8
        .value_kind:     global_buffer
      - .offset:         16
        .size:           4
        .value_kind:     by_value
      - .offset:         20
        .size:           4
        .value_kind:     by_value
      - .offset:         24
        .size:           4
        .value_kind:     hidden_block_count_x
      - .offset:         28
        .size:           4
        .value_kind:     hidden_block_count_y
      - .offset:         32
        .size:           4
        .value_kind:     hidden_block_count_z
      - .offset:         36
        .size:           2
        .value_kind:     hidden_group_size_x
      - .offset:         38
        .size:           2
        .value_kind:     hidden_group_size_y
      - .offset:         40
        .size:           2
        .value_kind:     hidden_group_size_z
      - .offset:         42
        .size:           2
        .value_kind:     hidden_remainder_x
      - .offset:         44
        .size:           2
        .value_kind:     hidden_remainder_y
      - .offset:         46
        .size:           2
        .value_kind:     hidden_remainder_z
      - .offset:         64
        .size:           8
        .value_kind:     hidden_global_offset_x
      - .offset:         72
        .size:           8
        .value_kind:     hidden_global_offset_y
      - .offset:         80
        .size:           8
        .value_kind:     hidden_global_offset_z
      - .offset:         88
        .size:           2
        .value_kind:     hidden_grid_dims
    .group_segment_fixed_size: 0
    .kernarg_segment_align: 8
    .kernarg_segment_size: 280
    .language:       OpenCL C
    .language_version:
      - 2
      - 0
    .max_flat_workgroup_size: 1024
    .name:           _ZN5aiter25scaled_act_and_mul_kernelIfDB8_TnPFfRKT_EXadL_ZNS_11silu_kernelIfEEfS4_EELi8EEEvPT0_PS3_if
    .private_segment_fixed_size: 0
    .sgpr_count:     44
    .sgpr_spill_count: 0
    .symbol:         _ZN5aiter25scaled_act_and_mul_kernelIfDB8_TnPFfRKT_EXadL_ZNS_11silu_kernelIfEEfS4_EELi8EEEvPT0_PS3_if.kd
    .uniform_work_group_size: 1
    .uses_dynamic_stack: false
    .vgpr_count:     45
    .vgpr_spill_count: 0
    .wavefront_size: 64
  - .agpr_count:     0
    .args:
      - .actual_access:  write_only
        .address_space:  global
        .offset:         0
        .size:           8
        .value_kind:     global_buffer
      - .actual_access:  read_only
        .address_space:  global
        .offset:         8
        .size:           8
        .value_kind:     global_buffer
      - .offset:         16
        .size:           4
        .value_kind:     by_value
      - .offset:         20
        .size:           4
        .value_kind:     by_value
      - .offset:         24
        .size:           4
        .value_kind:     hidden_block_count_x
      - .offset:         28
        .size:           4
        .value_kind:     hidden_block_count_y
      - .offset:         32
        .size:           4
        .value_kind:     hidden_block_count_z
      - .offset:         36
        .size:           2
        .value_kind:     hidden_group_size_x
      - .offset:         38
        .size:           2
        .value_kind:     hidden_group_size_y
      - .offset:         40
        .size:           2
        .value_kind:     hidden_group_size_z
      - .offset:         42
        .size:           2
        .value_kind:     hidden_remainder_x
      - .offset:         44
        .size:           2
        .value_kind:     hidden_remainder_y
      - .offset:         46
        .size:           2
        .value_kind:     hidden_remainder_z
      - .offset:         64
        .size:           8
        .value_kind:     hidden_global_offset_x
      - .offset:         72
        .size:           8
        .value_kind:     hidden_global_offset_y
      - .offset:         80
        .size:           8
        .value_kind:     hidden_global_offset_z
      - .offset:         88
        .size:           2
        .value_kind:     hidden_grid_dims
    .group_segment_fixed_size: 0
    .kernarg_segment_align: 8
    .kernarg_segment_size: 280
    .language:       OpenCL C
    .language_version:
      - 2
      - 0
    .max_flat_workgroup_size: 1024
    .name:           _ZN5aiter25scaled_act_and_mul_kernelIfDB8_TnPFfRKT_EXadL_ZNS_11silu_kernelIfEEfS4_EELi4EEEvPT0_PS3_if
    .private_segment_fixed_size: 0
    .sgpr_count:     35
    .sgpr_spill_count: 0
    .symbol:         _ZN5aiter25scaled_act_and_mul_kernelIfDB8_TnPFfRKT_EXadL_ZNS_11silu_kernelIfEEfS4_EELi4EEEvPT0_PS3_if.kd
    .uniform_work_group_size: 1
    .uses_dynamic_stack: false
    .vgpr_count:     25
    .vgpr_spill_count: 0
    .wavefront_size: 64
  - .agpr_count:     0
    .args:
      - .actual_access:  write_only
        .address_space:  global
        .offset:         0
        .size:           8
        .value_kind:     global_buffer
      - .actual_access:  read_only
        .address_space:  global
        .offset:         8
        .size:           8
        .value_kind:     global_buffer
      - .offset:         16
        .size:           4
        .value_kind:     by_value
      - .offset:         20
        .size:           4
        .value_kind:     by_value
      - .offset:         24
        .size:           4
        .value_kind:     hidden_block_count_x
      - .offset:         28
        .size:           4
        .value_kind:     hidden_block_count_y
      - .offset:         32
        .size:           4
        .value_kind:     hidden_block_count_z
      - .offset:         36
        .size:           2
        .value_kind:     hidden_group_size_x
      - .offset:         38
        .size:           2
        .value_kind:     hidden_group_size_y
      - .offset:         40
        .size:           2
        .value_kind:     hidden_group_size_z
      - .offset:         42
        .size:           2
        .value_kind:     hidden_remainder_x
      - .offset:         44
        .size:           2
        .value_kind:     hidden_remainder_y
      - .offset:         46
        .size:           2
        .value_kind:     hidden_remainder_z
      - .offset:         64
        .size:           8
        .value_kind:     hidden_global_offset_x
      - .offset:         72
        .size:           8
        .value_kind:     hidden_global_offset_y
      - .offset:         80
        .size:           8
        .value_kind:     hidden_global_offset_z
      - .offset:         88
        .size:           2
        .value_kind:     hidden_grid_dims
    .group_segment_fixed_size: 0
    .kernarg_segment_align: 8
    .kernarg_segment_size: 280
    .language:       OpenCL C
    .language_version:
      - 2
      - 0
    .max_flat_workgroup_size: 1024
    .name:           _ZN5aiter25scaled_act_and_mul_kernelIfDB8_TnPFfRKT_EXadL_ZNS_11silu_kernelIfEEfS4_EELi2EEEvPT0_PS3_if
    .private_segment_fixed_size: 0
    .sgpr_count:     31
    .sgpr_spill_count: 0
    .symbol:         _ZN5aiter25scaled_act_and_mul_kernelIfDB8_TnPFfRKT_EXadL_ZNS_11silu_kernelIfEEfS4_EELi2EEEvPT0_PS3_if.kd
    .uniform_work_group_size: 1
    .uses_dynamic_stack: false
    .vgpr_count:     15
    .vgpr_spill_count: 0
    .wavefront_size: 64
  - .agpr_count:     0
    .args:
      - .actual_access:  write_only
        .address_space:  global
        .offset:         0
        .size:           8
        .value_kind:     global_buffer
      - .actual_access:  read_only
        .address_space:  global
        .offset:         8
        .size:           8
        .value_kind:     global_buffer
      - .offset:         16
        .size:           4
        .value_kind:     by_value
      - .offset:         20
        .size:           4
        .value_kind:     by_value
      - .offset:         24
        .size:           4
        .value_kind:     hidden_block_count_x
      - .offset:         28
        .size:           4
        .value_kind:     hidden_block_count_y
      - .offset:         32
        .size:           4
        .value_kind:     hidden_block_count_z
      - .offset:         36
        .size:           2
        .value_kind:     hidden_group_size_x
      - .offset:         38
        .size:           2
        .value_kind:     hidden_group_size_y
      - .offset:         40
        .size:           2
        .value_kind:     hidden_group_size_z
      - .offset:         42
        .size:           2
        .value_kind:     hidden_remainder_x
      - .offset:         44
        .size:           2
        .value_kind:     hidden_remainder_y
      - .offset:         46
        .size:           2
        .value_kind:     hidden_remainder_z
      - .offset:         64
        .size:           8
        .value_kind:     hidden_global_offset_x
      - .offset:         72
        .size:           8
        .value_kind:     hidden_global_offset_y
      - .offset:         80
        .size:           8
        .value_kind:     hidden_global_offset_z
      - .offset:         88
        .size:           2
        .value_kind:     hidden_grid_dims
    .group_segment_fixed_size: 0
    .kernarg_segment_align: 8
    .kernarg_segment_size: 280
    .language:       OpenCL C
    .language_version:
      - 2
      - 0
    .max_flat_workgroup_size: 1024
    .name:           _ZN5aiter25scaled_act_and_mul_kernelIfDB8_TnPFfRKT_EXadL_ZNS_11silu_kernelIfEEfS4_EELi1EEEvPT0_PS3_if
    .private_segment_fixed_size: 0
    .sgpr_count:     29
    .sgpr_spill_count: 0
    .symbol:         _ZN5aiter25scaled_act_and_mul_kernelIfDB8_TnPFfRKT_EXadL_ZNS_11silu_kernelIfEEfS4_EELi1EEEvPT0_PS3_if.kd
    .uniform_work_group_size: 1
    .uses_dynamic_stack: false
    .vgpr_count:     9
    .vgpr_spill_count: 0
    .wavefront_size: 64
  - .agpr_count:     0
    .args:
      - .actual_access:  write_only
        .address_space:  global
        .offset:         0
        .size:           8
        .value_kind:     global_buffer
      - .actual_access:  read_only
        .address_space:  global
        .offset:         8
        .size:           8
        .value_kind:     global_buffer
      - .offset:         16
        .size:           4
        .value_kind:     by_value
      - .offset:         20
        .size:           4
        .value_kind:     by_value
      - .offset:         24
        .size:           4
        .value_kind:     hidden_block_count_x
      - .offset:         28
        .size:           4
        .value_kind:     hidden_block_count_y
      - .offset:         32
        .size:           4
        .value_kind:     hidden_block_count_z
      - .offset:         36
        .size:           2
        .value_kind:     hidden_group_size_x
      - .offset:         38
        .size:           2
        .value_kind:     hidden_group_size_y
      - .offset:         40
        .size:           2
        .value_kind:     hidden_group_size_z
      - .offset:         42
        .size:           2
        .value_kind:     hidden_remainder_x
      - .offset:         44
        .size:           2
        .value_kind:     hidden_remainder_y
      - .offset:         46
        .size:           2
        .value_kind:     hidden_remainder_z
      - .offset:         64
        .size:           8
        .value_kind:     hidden_global_offset_x
      - .offset:         72
        .size:           8
        .value_kind:     hidden_global_offset_y
      - .offset:         80
        .size:           8
        .value_kind:     hidden_global_offset_z
      - .offset:         88
        .size:           2
        .value_kind:     hidden_grid_dims
    .group_segment_fixed_size: 0
    .kernarg_segment_align: 8
    .kernarg_segment_size: 280
    .language:       OpenCL C
    .language_version:
      - 2
      - 0
    .max_flat_workgroup_size: 1024
    .name:           _ZN5aiter25scaled_act_and_mul_kernelIfaTnPFfRKT_EXadL_ZNS_11silu_kernelIfEEfS3_EELi16EEEvPT0_PS2_if
    .private_segment_fixed_size: 0
    .sgpr_count:     60
    .sgpr_spill_count: 0
    .symbol:         _ZN5aiter25scaled_act_and_mul_kernelIfaTnPFfRKT_EXadL_ZNS_11silu_kernelIfEEfS3_EELi16EEEvPT0_PS2_if.kd
    .uniform_work_group_size: 1
    .uses_dynamic_stack: false
    .vgpr_count:     64
    .vgpr_spill_count: 0
    .wavefront_size: 64
  - .agpr_count:     0
    .args:
      - .actual_access:  write_only
        .address_space:  global
        .offset:         0
        .size:           8
        .value_kind:     global_buffer
      - .actual_access:  read_only
        .address_space:  global
        .offset:         8
        .size:           8
        .value_kind:     global_buffer
      - .offset:         16
        .size:           4
        .value_kind:     by_value
      - .offset:         20
        .size:           4
        .value_kind:     by_value
      - .offset:         24
        .size:           4
        .value_kind:     hidden_block_count_x
      - .offset:         28
        .size:           4
        .value_kind:     hidden_block_count_y
      - .offset:         32
        .size:           4
        .value_kind:     hidden_block_count_z
      - .offset:         36
        .size:           2
        .value_kind:     hidden_group_size_x
      - .offset:         38
        .size:           2
        .value_kind:     hidden_group_size_y
      - .offset:         40
        .size:           2
        .value_kind:     hidden_group_size_z
      - .offset:         42
        .size:           2
        .value_kind:     hidden_remainder_x
      - .offset:         44
        .size:           2
        .value_kind:     hidden_remainder_y
      - .offset:         46
        .size:           2
        .value_kind:     hidden_remainder_z
      - .offset:         64
        .size:           8
        .value_kind:     hidden_global_offset_x
      - .offset:         72
        .size:           8
        .value_kind:     hidden_global_offset_y
      - .offset:         80
        .size:           8
        .value_kind:     hidden_global_offset_z
      - .offset:         88
        .size:           2
        .value_kind:     hidden_grid_dims
    .group_segment_fixed_size: 0
    .kernarg_segment_align: 8
    .kernarg_segment_size: 280
    .language:       OpenCL C
    .language_version:
      - 2
      - 0
    .max_flat_workgroup_size: 1024
    .name:           _ZN5aiter25scaled_act_and_mul_kernelIfaTnPFfRKT_EXadL_ZNS_11silu_kernelIfEEfS3_EELi8EEEvPT0_PS2_if
    .private_segment_fixed_size: 0
    .sgpr_count:     44
    .sgpr_spill_count: 0
    .symbol:         _ZN5aiter25scaled_act_and_mul_kernelIfaTnPFfRKT_EXadL_ZNS_11silu_kernelIfEEfS3_EELi8EEEvPT0_PS2_if.kd
    .uniform_work_group_size: 1
    .uses_dynamic_stack: false
    .vgpr_count:     45
    .vgpr_spill_count: 0
    .wavefront_size: 64
  - .agpr_count:     0
    .args:
      - .actual_access:  write_only
        .address_space:  global
        .offset:         0
        .size:           8
        .value_kind:     global_buffer
      - .actual_access:  read_only
        .address_space:  global
        .offset:         8
        .size:           8
        .value_kind:     global_buffer
      - .offset:         16
        .size:           4
        .value_kind:     by_value
      - .offset:         20
        .size:           4
        .value_kind:     by_value
      - .offset:         24
        .size:           4
        .value_kind:     hidden_block_count_x
      - .offset:         28
        .size:           4
        .value_kind:     hidden_block_count_y
      - .offset:         32
        .size:           4
        .value_kind:     hidden_block_count_z
      - .offset:         36
        .size:           2
        .value_kind:     hidden_group_size_x
      - .offset:         38
        .size:           2
        .value_kind:     hidden_group_size_y
      - .offset:         40
        .size:           2
        .value_kind:     hidden_group_size_z
      - .offset:         42
        .size:           2
        .value_kind:     hidden_remainder_x
      - .offset:         44
        .size:           2
        .value_kind:     hidden_remainder_y
      - .offset:         46
        .size:           2
        .value_kind:     hidden_remainder_z
      - .offset:         64
        .size:           8
        .value_kind:     hidden_global_offset_x
      - .offset:         72
        .size:           8
        .value_kind:     hidden_global_offset_y
      - .offset:         80
        .size:           8
        .value_kind:     hidden_global_offset_z
      - .offset:         88
        .size:           2
        .value_kind:     hidden_grid_dims
    .group_segment_fixed_size: 0
    .kernarg_segment_align: 8
    .kernarg_segment_size: 280
    .language:       OpenCL C
    .language_version:
      - 2
      - 0
    .max_flat_workgroup_size: 1024
    .name:           _ZN5aiter25scaled_act_and_mul_kernelIfaTnPFfRKT_EXadL_ZNS_11silu_kernelIfEEfS3_EELi4EEEvPT0_PS2_if
    .private_segment_fixed_size: 0
    .sgpr_count:     35
    .sgpr_spill_count: 0
    .symbol:         _ZN5aiter25scaled_act_and_mul_kernelIfaTnPFfRKT_EXadL_ZNS_11silu_kernelIfEEfS3_EELi4EEEvPT0_PS2_if.kd
    .uniform_work_group_size: 1
    .uses_dynamic_stack: false
    .vgpr_count:     25
    .vgpr_spill_count: 0
    .wavefront_size: 64
  - .agpr_count:     0
    .args:
      - .actual_access:  write_only
        .address_space:  global
        .offset:         0
        .size:           8
        .value_kind:     global_buffer
      - .actual_access:  read_only
        .address_space:  global
        .offset:         8
        .size:           8
        .value_kind:     global_buffer
      - .offset:         16
        .size:           4
        .value_kind:     by_value
      - .offset:         20
        .size:           4
        .value_kind:     by_value
      - .offset:         24
        .size:           4
        .value_kind:     hidden_block_count_x
      - .offset:         28
        .size:           4
        .value_kind:     hidden_block_count_y
      - .offset:         32
        .size:           4
        .value_kind:     hidden_block_count_z
      - .offset:         36
        .size:           2
        .value_kind:     hidden_group_size_x
      - .offset:         38
        .size:           2
        .value_kind:     hidden_group_size_y
      - .offset:         40
        .size:           2
        .value_kind:     hidden_group_size_z
      - .offset:         42
        .size:           2
        .value_kind:     hidden_remainder_x
      - .offset:         44
        .size:           2
        .value_kind:     hidden_remainder_y
      - .offset:         46
        .size:           2
        .value_kind:     hidden_remainder_z
      - .offset:         64
        .size:           8
        .value_kind:     hidden_global_offset_x
      - .offset:         72
        .size:           8
        .value_kind:     hidden_global_offset_y
      - .offset:         80
        .size:           8
        .value_kind:     hidden_global_offset_z
      - .offset:         88
        .size:           2
        .value_kind:     hidden_grid_dims
    .group_segment_fixed_size: 0
    .kernarg_segment_align: 8
    .kernarg_segment_size: 280
    .language:       OpenCL C
    .language_version:
      - 2
      - 0
    .max_flat_workgroup_size: 1024
    .name:           _ZN5aiter25scaled_act_and_mul_kernelIfaTnPFfRKT_EXadL_ZNS_11silu_kernelIfEEfS3_EELi2EEEvPT0_PS2_if
    .private_segment_fixed_size: 0
    .sgpr_count:     31
    .sgpr_spill_count: 0
    .symbol:         _ZN5aiter25scaled_act_and_mul_kernelIfaTnPFfRKT_EXadL_ZNS_11silu_kernelIfEEfS3_EELi2EEEvPT0_PS2_if.kd
    .uniform_work_group_size: 1
    .uses_dynamic_stack: false
    .vgpr_count:     15
    .vgpr_spill_count: 0
    .wavefront_size: 64
  - .agpr_count:     0
    .args:
      - .actual_access:  write_only
        .address_space:  global
        .offset:         0
        .size:           8
        .value_kind:     global_buffer
      - .actual_access:  read_only
        .address_space:  global
        .offset:         8
        .size:           8
        .value_kind:     global_buffer
      - .offset:         16
        .size:           4
        .value_kind:     by_value
      - .offset:         20
        .size:           4
        .value_kind:     by_value
      - .offset:         24
        .size:           4
        .value_kind:     hidden_block_count_x
      - .offset:         28
        .size:           4
        .value_kind:     hidden_block_count_y
      - .offset:         32
        .size:           4
        .value_kind:     hidden_block_count_z
      - .offset:         36
        .size:           2
        .value_kind:     hidden_group_size_x
      - .offset:         38
        .size:           2
        .value_kind:     hidden_group_size_y
      - .offset:         40
        .size:           2
        .value_kind:     hidden_group_size_z
      - .offset:         42
        .size:           2
        .value_kind:     hidden_remainder_x
      - .offset:         44
        .size:           2
        .value_kind:     hidden_remainder_y
      - .offset:         46
        .size:           2
        .value_kind:     hidden_remainder_z
      - .offset:         64
        .size:           8
        .value_kind:     hidden_global_offset_x
      - .offset:         72
        .size:           8
        .value_kind:     hidden_global_offset_y
      - .offset:         80
        .size:           8
        .value_kind:     hidden_global_offset_z
      - .offset:         88
        .size:           2
        .value_kind:     hidden_grid_dims
    .group_segment_fixed_size: 0
    .kernarg_segment_align: 8
    .kernarg_segment_size: 280
    .language:       OpenCL C
    .language_version:
      - 2
      - 0
    .max_flat_workgroup_size: 1024
    .name:           _ZN5aiter25scaled_act_and_mul_kernelIfaTnPFfRKT_EXadL_ZNS_11silu_kernelIfEEfS3_EELi1EEEvPT0_PS2_if
    .private_segment_fixed_size: 0
    .sgpr_count:     29
    .sgpr_spill_count: 0
    .symbol:         _ZN5aiter25scaled_act_and_mul_kernelIfaTnPFfRKT_EXadL_ZNS_11silu_kernelIfEEfS3_EELi1EEEvPT0_PS2_if.kd
    .uniform_work_group_size: 1
    .uses_dynamic_stack: false
    .vgpr_count:     9
    .vgpr_spill_count: 0
    .wavefront_size: 64
  - .agpr_count:     0
    .args:
      - .actual_access:  write_only
        .address_space:  global
        .offset:         0
        .size:           8
        .value_kind:     global_buffer
      - .actual_access:  read_only
        .address_space:  global
        .offset:         8
        .size:           8
        .value_kind:     global_buffer
      - .offset:         16
        .size:           4
        .value_kind:     by_value
      - .offset:         20
        .size:           4
        .value_kind:     by_value
      - .offset:         24
        .size:           4
        .value_kind:     hidden_block_count_x
      - .offset:         28
        .size:           4
        .value_kind:     hidden_block_count_y
      - .offset:         32
        .size:           4
        .value_kind:     hidden_block_count_z
      - .offset:         36
        .size:           2
        .value_kind:     hidden_group_size_x
      - .offset:         38
        .size:           2
        .value_kind:     hidden_group_size_y
      - .offset:         40
        .size:           2
        .value_kind:     hidden_group_size_z
      - .offset:         42
        .size:           2
        .value_kind:     hidden_remainder_x
      - .offset:         44
        .size:           2
        .value_kind:     hidden_remainder_y
      - .offset:         46
        .size:           2
        .value_kind:     hidden_remainder_z
      - .offset:         64
        .size:           8
        .value_kind:     hidden_global_offset_x
      - .offset:         72
        .size:           8
        .value_kind:     hidden_global_offset_y
      - .offset:         80
        .size:           8
        .value_kind:     hidden_global_offset_z
      - .offset:         88
        .size:           2
        .value_kind:     hidden_grid_dims
    .group_segment_fixed_size: 0
    .kernarg_segment_align: 8
    .kernarg_segment_size: 280
    .language:       OpenCL C
    .language_version:
      - 2
      - 0
    .max_flat_workgroup_size: 1024
    .name:           _ZN5aiter25scaled_act_and_mul_kernelIDF16_DB8_TnPFfRKT_EXadL_ZNS_11silu_kernelIDF16_EEfS4_EELi16EEEvPT0_PS3_if
    .private_segment_fixed_size: 0
    .sgpr_count:     30
    .sgpr_spill_count: 0
    .symbol:         _ZN5aiter25scaled_act_and_mul_kernelIDF16_DB8_TnPFfRKT_EXadL_ZNS_11silu_kernelIDF16_EEfS4_EELi16EEEvPT0_PS3_if.kd
    .uniform_work_group_size: 1
    .uses_dynamic_stack: false
    .vgpr_count:     26
    .vgpr_spill_count: 0
    .wavefront_size: 64
  - .agpr_count:     0
    .args:
      - .actual_access:  write_only
        .address_space:  global
        .offset:         0
        .size:           8
        .value_kind:     global_buffer
      - .actual_access:  read_only
        .address_space:  global
        .offset:         8
        .size:           8
        .value_kind:     global_buffer
      - .offset:         16
        .size:           4
        .value_kind:     by_value
      - .offset:         20
        .size:           4
        .value_kind:     by_value
      - .offset:         24
        .size:           4
        .value_kind:     hidden_block_count_x
      - .offset:         28
        .size:           4
        .value_kind:     hidden_block_count_y
      - .offset:         32
        .size:           4
        .value_kind:     hidden_block_count_z
      - .offset:         36
        .size:           2
        .value_kind:     hidden_group_size_x
      - .offset:         38
        .size:           2
        .value_kind:     hidden_group_size_y
      - .offset:         40
        .size:           2
        .value_kind:     hidden_group_size_z
      - .offset:         42
        .size:           2
        .value_kind:     hidden_remainder_x
      - .offset:         44
        .size:           2
        .value_kind:     hidden_remainder_y
      - .offset:         46
        .size:           2
        .value_kind:     hidden_remainder_z
      - .offset:         64
        .size:           8
        .value_kind:     hidden_global_offset_x
      - .offset:         72
        .size:           8
        .value_kind:     hidden_global_offset_y
      - .offset:         80
        .size:           8
        .value_kind:     hidden_global_offset_z
      - .offset:         88
        .size:           2
        .value_kind:     hidden_grid_dims
    .group_segment_fixed_size: 0
    .kernarg_segment_align: 8
    .kernarg_segment_size: 280
    .language:       OpenCL C
    .language_version:
      - 2
      - 0
    .max_flat_workgroup_size: 1024
    .name:           _ZN5aiter25scaled_act_and_mul_kernelIDF16_DB8_TnPFfRKT_EXadL_ZNS_11silu_kernelIDF16_EEfS4_EELi8EEEvPT0_PS3_if
    .private_segment_fixed_size: 0
    .sgpr_count:     45
    .sgpr_spill_count: 0
    .symbol:         _ZN5aiter25scaled_act_and_mul_kernelIDF16_DB8_TnPFfRKT_EXadL_ZNS_11silu_kernelIDF16_EEfS4_EELi8EEEvPT0_PS3_if.kd
    .uniform_work_group_size: 1
    .uses_dynamic_stack: false
    .vgpr_count:     49
    .vgpr_spill_count: 0
    .wavefront_size: 64
  - .agpr_count:     0
    .args:
      - .actual_access:  write_only
        .address_space:  global
        .offset:         0
        .size:           8
        .value_kind:     global_buffer
      - .actual_access:  read_only
        .address_space:  global
        .offset:         8
        .size:           8
        .value_kind:     global_buffer
      - .offset:         16
        .size:           4
        .value_kind:     by_value
      - .offset:         20
        .size:           4
        .value_kind:     by_value
      - .offset:         24
        .size:           4
        .value_kind:     hidden_block_count_x
      - .offset:         28
        .size:           4
        .value_kind:     hidden_block_count_y
      - .offset:         32
        .size:           4
        .value_kind:     hidden_block_count_z
      - .offset:         36
        .size:           2
        .value_kind:     hidden_group_size_x
      - .offset:         38
        .size:           2
        .value_kind:     hidden_group_size_y
      - .offset:         40
        .size:           2
        .value_kind:     hidden_group_size_z
      - .offset:         42
        .size:           2
        .value_kind:     hidden_remainder_x
      - .offset:         44
        .size:           2
        .value_kind:     hidden_remainder_y
      - .offset:         46
        .size:           2
        .value_kind:     hidden_remainder_z
      - .offset:         64
        .size:           8
        .value_kind:     hidden_global_offset_x
      - .offset:         72
        .size:           8
        .value_kind:     hidden_global_offset_y
      - .offset:         80
        .size:           8
        .value_kind:     hidden_global_offset_z
      - .offset:         88
        .size:           2
        .value_kind:     hidden_grid_dims
    .group_segment_fixed_size: 0
    .kernarg_segment_align: 8
    .kernarg_segment_size: 280
    .language:       OpenCL C
    .language_version:
      - 2
      - 0
    .max_flat_workgroup_size: 1024
    .name:           _ZN5aiter25scaled_act_and_mul_kernelIDF16_DB8_TnPFfRKT_EXadL_ZNS_11silu_kernelIDF16_EEfS4_EELi4EEEvPT0_PS3_if
    .private_segment_fixed_size: 0
    .sgpr_count:     36
    .sgpr_spill_count: 0
    .symbol:         _ZN5aiter25scaled_act_and_mul_kernelIDF16_DB8_TnPFfRKT_EXadL_ZNS_11silu_kernelIDF16_EEfS4_EELi4EEEvPT0_PS3_if.kd
    .uniform_work_group_size: 1
    .uses_dynamic_stack: false
    .vgpr_count:     27
    .vgpr_spill_count: 0
    .wavefront_size: 64
  - .agpr_count:     0
    .args:
      - .actual_access:  write_only
        .address_space:  global
        .offset:         0
        .size:           8
        .value_kind:     global_buffer
      - .actual_access:  read_only
        .address_space:  global
        .offset:         8
        .size:           8
        .value_kind:     global_buffer
      - .offset:         16
        .size:           4
        .value_kind:     by_value
      - .offset:         20
        .size:           4
        .value_kind:     by_value
      - .offset:         24
        .size:           4
        .value_kind:     hidden_block_count_x
      - .offset:         28
        .size:           4
        .value_kind:     hidden_block_count_y
      - .offset:         32
        .size:           4
        .value_kind:     hidden_block_count_z
      - .offset:         36
        .size:           2
        .value_kind:     hidden_group_size_x
      - .offset:         38
        .size:           2
        .value_kind:     hidden_group_size_y
      - .offset:         40
        .size:           2
        .value_kind:     hidden_group_size_z
      - .offset:         42
        .size:           2
        .value_kind:     hidden_remainder_x
      - .offset:         44
        .size:           2
        .value_kind:     hidden_remainder_y
      - .offset:         46
        .size:           2
        .value_kind:     hidden_remainder_z
      - .offset:         64
        .size:           8
        .value_kind:     hidden_global_offset_x
      - .offset:         72
        .size:           8
        .value_kind:     hidden_global_offset_y
      - .offset:         80
        .size:           8
        .value_kind:     hidden_global_offset_z
      - .offset:         88
        .size:           2
        .value_kind:     hidden_grid_dims
    .group_segment_fixed_size: 0
    .kernarg_segment_align: 8
    .kernarg_segment_size: 280
    .language:       OpenCL C
    .language_version:
      - 2
      - 0
    .max_flat_workgroup_size: 1024
    .name:           _ZN5aiter25scaled_act_and_mul_kernelIDF16_DB8_TnPFfRKT_EXadL_ZNS_11silu_kernelIDF16_EEfS4_EELi2EEEvPT0_PS3_if
    .private_segment_fixed_size: 0
    .sgpr_count:     32
    .sgpr_spill_count: 0
    .symbol:         _ZN5aiter25scaled_act_and_mul_kernelIDF16_DB8_TnPFfRKT_EXadL_ZNS_11silu_kernelIDF16_EEfS4_EELi2EEEvPT0_PS3_if.kd
    .uniform_work_group_size: 1
    .uses_dynamic_stack: false
    .vgpr_count:     16
    .vgpr_spill_count: 0
    .wavefront_size: 64
  - .agpr_count:     0
    .args:
      - .actual_access:  write_only
        .address_space:  global
        .offset:         0
        .size:           8
        .value_kind:     global_buffer
      - .actual_access:  read_only
        .address_space:  global
        .offset:         8
        .size:           8
        .value_kind:     global_buffer
      - .offset:         16
        .size:           4
        .value_kind:     by_value
      - .offset:         20
        .size:           4
        .value_kind:     by_value
      - .offset:         24
        .size:           4
        .value_kind:     hidden_block_count_x
      - .offset:         28
        .size:           4
        .value_kind:     hidden_block_count_y
      - .offset:         32
        .size:           4
        .value_kind:     hidden_block_count_z
      - .offset:         36
        .size:           2
        .value_kind:     hidden_group_size_x
      - .offset:         38
        .size:           2
        .value_kind:     hidden_group_size_y
      - .offset:         40
        .size:           2
        .value_kind:     hidden_group_size_z
      - .offset:         42
        .size:           2
        .value_kind:     hidden_remainder_x
      - .offset:         44
        .size:           2
        .value_kind:     hidden_remainder_y
      - .offset:         46
        .size:           2
        .value_kind:     hidden_remainder_z
      - .offset:         64
        .size:           8
        .value_kind:     hidden_global_offset_x
      - .offset:         72
        .size:           8
        .value_kind:     hidden_global_offset_y
      - .offset:         80
        .size:           8
        .value_kind:     hidden_global_offset_z
      - .offset:         88
        .size:           2
        .value_kind:     hidden_grid_dims
    .group_segment_fixed_size: 0
    .kernarg_segment_align: 8
    .kernarg_segment_size: 280
    .language:       OpenCL C
    .language_version:
      - 2
      - 0
    .max_flat_workgroup_size: 1024
    .name:           _ZN5aiter25scaled_act_and_mul_kernelIDF16_DB8_TnPFfRKT_EXadL_ZNS_11silu_kernelIDF16_EEfS4_EELi1EEEvPT0_PS3_if
    .private_segment_fixed_size: 0
    .sgpr_count:     30
    .sgpr_spill_count: 0
    .symbol:         _ZN5aiter25scaled_act_and_mul_kernelIDF16_DB8_TnPFfRKT_EXadL_ZNS_11silu_kernelIDF16_EEfS4_EELi1EEEvPT0_PS3_if.kd
    .uniform_work_group_size: 1
    .uses_dynamic_stack: false
    .vgpr_count:     10
    .vgpr_spill_count: 0
    .wavefront_size: 64
  - .agpr_count:     0
    .args:
      - .actual_access:  write_only
        .address_space:  global
        .offset:         0
        .size:           8
        .value_kind:     global_buffer
      - .actual_access:  read_only
        .address_space:  global
        .offset:         8
        .size:           8
        .value_kind:     global_buffer
      - .offset:         16
        .size:           4
        .value_kind:     by_value
      - .offset:         20
        .size:           4
        .value_kind:     by_value
      - .offset:         24
        .size:           4
        .value_kind:     hidden_block_count_x
      - .offset:         28
        .size:           4
        .value_kind:     hidden_block_count_y
      - .offset:         32
        .size:           4
        .value_kind:     hidden_block_count_z
      - .offset:         36
        .size:           2
        .value_kind:     hidden_group_size_x
      - .offset:         38
        .size:           2
        .value_kind:     hidden_group_size_y
      - .offset:         40
        .size:           2
        .value_kind:     hidden_group_size_z
      - .offset:         42
        .size:           2
        .value_kind:     hidden_remainder_x
      - .offset:         44
        .size:           2
        .value_kind:     hidden_remainder_y
      - .offset:         46
        .size:           2
        .value_kind:     hidden_remainder_z
      - .offset:         64
        .size:           8
        .value_kind:     hidden_global_offset_x
      - .offset:         72
        .size:           8
        .value_kind:     hidden_global_offset_y
      - .offset:         80
        .size:           8
        .value_kind:     hidden_global_offset_z
      - .offset:         88
        .size:           2
        .value_kind:     hidden_grid_dims
    .group_segment_fixed_size: 0
    .kernarg_segment_align: 8
    .kernarg_segment_size: 280
    .language:       OpenCL C
    .language_version:
      - 2
      - 0
    .max_flat_workgroup_size: 1024
    .name:           _ZN5aiter25scaled_act_and_mul_kernelIDF16_aTnPFfRKT_EXadL_ZNS_11silu_kernelIDF16_EEfS3_EELi16EEEvPT0_PS2_if
    .private_segment_fixed_size: 0
    .sgpr_count:     30
    .sgpr_spill_count: 0
    .symbol:         _ZN5aiter25scaled_act_and_mul_kernelIDF16_aTnPFfRKT_EXadL_ZNS_11silu_kernelIDF16_EEfS3_EELi16EEEvPT0_PS2_if.kd
    .uniform_work_group_size: 1
    .uses_dynamic_stack: false
    .vgpr_count:     26
    .vgpr_spill_count: 0
    .wavefront_size: 64
  - .agpr_count:     0
    .args:
      - .actual_access:  write_only
        .address_space:  global
        .offset:         0
        .size:           8
        .value_kind:     global_buffer
      - .actual_access:  read_only
        .address_space:  global
        .offset:         8
        .size:           8
        .value_kind:     global_buffer
      - .offset:         16
        .size:           4
        .value_kind:     by_value
      - .offset:         20
        .size:           4
        .value_kind:     by_value
      - .offset:         24
        .size:           4
        .value_kind:     hidden_block_count_x
      - .offset:         28
        .size:           4
        .value_kind:     hidden_block_count_y
      - .offset:         32
        .size:           4
        .value_kind:     hidden_block_count_z
      - .offset:         36
        .size:           2
        .value_kind:     hidden_group_size_x
      - .offset:         38
        .size:           2
        .value_kind:     hidden_group_size_y
      - .offset:         40
        .size:           2
        .value_kind:     hidden_group_size_z
      - .offset:         42
        .size:           2
        .value_kind:     hidden_remainder_x
      - .offset:         44
        .size:           2
        .value_kind:     hidden_remainder_y
      - .offset:         46
        .size:           2
        .value_kind:     hidden_remainder_z
      - .offset:         64
        .size:           8
        .value_kind:     hidden_global_offset_x
      - .offset:         72
        .size:           8
        .value_kind:     hidden_global_offset_y
      - .offset:         80
        .size:           8
        .value_kind:     hidden_global_offset_z
      - .offset:         88
        .size:           2
        .value_kind:     hidden_grid_dims
    .group_segment_fixed_size: 0
    .kernarg_segment_align: 8
    .kernarg_segment_size: 280
    .language:       OpenCL C
    .language_version:
      - 2
      - 0
    .max_flat_workgroup_size: 1024
    .name:           _ZN5aiter25scaled_act_and_mul_kernelIDF16_aTnPFfRKT_EXadL_ZNS_11silu_kernelIDF16_EEfS3_EELi8EEEvPT0_PS2_if
    .private_segment_fixed_size: 0
    .sgpr_count:     45
    .sgpr_spill_count: 0
    .symbol:         _ZN5aiter25scaled_act_and_mul_kernelIDF16_aTnPFfRKT_EXadL_ZNS_11silu_kernelIDF16_EEfS3_EELi8EEEvPT0_PS2_if.kd
    .uniform_work_group_size: 1
    .uses_dynamic_stack: false
    .vgpr_count:     49
    .vgpr_spill_count: 0
    .wavefront_size: 64
  - .agpr_count:     0
    .args:
      - .actual_access:  write_only
        .address_space:  global
        .offset:         0
        .size:           8
        .value_kind:     global_buffer
      - .actual_access:  read_only
        .address_space:  global
        .offset:         8
        .size:           8
        .value_kind:     global_buffer
      - .offset:         16
        .size:           4
        .value_kind:     by_value
      - .offset:         20
        .size:           4
        .value_kind:     by_value
      - .offset:         24
        .size:           4
        .value_kind:     hidden_block_count_x
      - .offset:         28
        .size:           4
        .value_kind:     hidden_block_count_y
      - .offset:         32
        .size:           4
        .value_kind:     hidden_block_count_z
      - .offset:         36
        .size:           2
        .value_kind:     hidden_group_size_x
      - .offset:         38
        .size:           2
        .value_kind:     hidden_group_size_y
      - .offset:         40
        .size:           2
        .value_kind:     hidden_group_size_z
      - .offset:         42
        .size:           2
        .value_kind:     hidden_remainder_x
      - .offset:         44
        .size:           2
        .value_kind:     hidden_remainder_y
      - .offset:         46
        .size:           2
        .value_kind:     hidden_remainder_z
      - .offset:         64
        .size:           8
        .value_kind:     hidden_global_offset_x
      - .offset:         72
        .size:           8
        .value_kind:     hidden_global_offset_y
      - .offset:         80
        .size:           8
        .value_kind:     hidden_global_offset_z
      - .offset:         88
        .size:           2
        .value_kind:     hidden_grid_dims
    .group_segment_fixed_size: 0
    .kernarg_segment_align: 8
    .kernarg_segment_size: 280
    .language:       OpenCL C
    .language_version:
      - 2
      - 0
    .max_flat_workgroup_size: 1024
    .name:           _ZN5aiter25scaled_act_and_mul_kernelIDF16_aTnPFfRKT_EXadL_ZNS_11silu_kernelIDF16_EEfS3_EELi4EEEvPT0_PS2_if
    .private_segment_fixed_size: 0
    .sgpr_count:     36
    .sgpr_spill_count: 0
    .symbol:         _ZN5aiter25scaled_act_and_mul_kernelIDF16_aTnPFfRKT_EXadL_ZNS_11silu_kernelIDF16_EEfS3_EELi4EEEvPT0_PS2_if.kd
    .uniform_work_group_size: 1
    .uses_dynamic_stack: false
    .vgpr_count:     27
    .vgpr_spill_count: 0
    .wavefront_size: 64
  - .agpr_count:     0
    .args:
      - .actual_access:  write_only
        .address_space:  global
        .offset:         0
        .size:           8
        .value_kind:     global_buffer
      - .actual_access:  read_only
        .address_space:  global
        .offset:         8
        .size:           8
        .value_kind:     global_buffer
      - .offset:         16
        .size:           4
        .value_kind:     by_value
      - .offset:         20
        .size:           4
        .value_kind:     by_value
      - .offset:         24
        .size:           4
        .value_kind:     hidden_block_count_x
      - .offset:         28
        .size:           4
        .value_kind:     hidden_block_count_y
      - .offset:         32
        .size:           4
        .value_kind:     hidden_block_count_z
      - .offset:         36
        .size:           2
        .value_kind:     hidden_group_size_x
      - .offset:         38
        .size:           2
        .value_kind:     hidden_group_size_y
      - .offset:         40
        .size:           2
        .value_kind:     hidden_group_size_z
      - .offset:         42
        .size:           2
        .value_kind:     hidden_remainder_x
      - .offset:         44
        .size:           2
        .value_kind:     hidden_remainder_y
      - .offset:         46
        .size:           2
        .value_kind:     hidden_remainder_z
      - .offset:         64
        .size:           8
        .value_kind:     hidden_global_offset_x
      - .offset:         72
        .size:           8
        .value_kind:     hidden_global_offset_y
      - .offset:         80
        .size:           8
        .value_kind:     hidden_global_offset_z
      - .offset:         88
        .size:           2
        .value_kind:     hidden_grid_dims
    .group_segment_fixed_size: 0
    .kernarg_segment_align: 8
    .kernarg_segment_size: 280
    .language:       OpenCL C
    .language_version:
      - 2
      - 0
    .max_flat_workgroup_size: 1024
    .name:           _ZN5aiter25scaled_act_and_mul_kernelIDF16_aTnPFfRKT_EXadL_ZNS_11silu_kernelIDF16_EEfS3_EELi2EEEvPT0_PS2_if
    .private_segment_fixed_size: 0
    .sgpr_count:     32
    .sgpr_spill_count: 0
    .symbol:         _ZN5aiter25scaled_act_and_mul_kernelIDF16_aTnPFfRKT_EXadL_ZNS_11silu_kernelIDF16_EEfS3_EELi2EEEvPT0_PS2_if.kd
    .uniform_work_group_size: 1
    .uses_dynamic_stack: false
    .vgpr_count:     16
    .vgpr_spill_count: 0
    .wavefront_size: 64
  - .agpr_count:     0
    .args:
      - .actual_access:  write_only
        .address_space:  global
        .offset:         0
        .size:           8
        .value_kind:     global_buffer
      - .actual_access:  read_only
        .address_space:  global
        .offset:         8
        .size:           8
        .value_kind:     global_buffer
      - .offset:         16
        .size:           4
        .value_kind:     by_value
      - .offset:         20
        .size:           4
        .value_kind:     by_value
      - .offset:         24
        .size:           4
        .value_kind:     hidden_block_count_x
      - .offset:         28
        .size:           4
        .value_kind:     hidden_block_count_y
      - .offset:         32
        .size:           4
        .value_kind:     hidden_block_count_z
      - .offset:         36
        .size:           2
        .value_kind:     hidden_group_size_x
      - .offset:         38
        .size:           2
        .value_kind:     hidden_group_size_y
      - .offset:         40
        .size:           2
        .value_kind:     hidden_group_size_z
      - .offset:         42
        .size:           2
        .value_kind:     hidden_remainder_x
      - .offset:         44
        .size:           2
        .value_kind:     hidden_remainder_y
      - .offset:         46
        .size:           2
        .value_kind:     hidden_remainder_z
      - .offset:         64
        .size:           8
        .value_kind:     hidden_global_offset_x
      - .offset:         72
        .size:           8
        .value_kind:     hidden_global_offset_y
      - .offset:         80
        .size:           8
        .value_kind:     hidden_global_offset_z
      - .offset:         88
        .size:           2
        .value_kind:     hidden_grid_dims
    .group_segment_fixed_size: 0
    .kernarg_segment_align: 8
    .kernarg_segment_size: 280
    .language:       OpenCL C
    .language_version:
      - 2
      - 0
    .max_flat_workgroup_size: 1024
    .name:           _ZN5aiter25scaled_act_and_mul_kernelIDF16_aTnPFfRKT_EXadL_ZNS_11silu_kernelIDF16_EEfS3_EELi1EEEvPT0_PS2_if
    .private_segment_fixed_size: 0
    .sgpr_count:     30
    .sgpr_spill_count: 0
    .symbol:         _ZN5aiter25scaled_act_and_mul_kernelIDF16_aTnPFfRKT_EXadL_ZNS_11silu_kernelIDF16_EEfS3_EELi1EEEvPT0_PS2_if.kd
    .uniform_work_group_size: 1
    .uses_dynamic_stack: false
    .vgpr_count:     10
    .vgpr_spill_count: 0
    .wavefront_size: 64
  - .agpr_count:     0
    .args:
      - .actual_access:  write_only
        .address_space:  global
        .offset:         0
        .size:           8
        .value_kind:     global_buffer
      - .actual_access:  read_only
        .address_space:  global
        .offset:         8
        .size:           8
        .value_kind:     global_buffer
      - .offset:         16
        .size:           4
        .value_kind:     by_value
      - .offset:         20
        .size:           4
        .value_kind:     by_value
      - .offset:         24
        .size:           4
        .value_kind:     hidden_block_count_x
      - .offset:         28
        .size:           4
        .value_kind:     hidden_block_count_y
      - .offset:         32
        .size:           4
        .value_kind:     hidden_block_count_z
      - .offset:         36
        .size:           2
        .value_kind:     hidden_group_size_x
      - .offset:         38
        .size:           2
        .value_kind:     hidden_group_size_y
      - .offset:         40
        .size:           2
        .value_kind:     hidden_group_size_z
      - .offset:         42
        .size:           2
        .value_kind:     hidden_remainder_x
      - .offset:         44
        .size:           2
        .value_kind:     hidden_remainder_y
      - .offset:         46
        .size:           2
        .value_kind:     hidden_remainder_z
      - .offset:         64
        .size:           8
        .value_kind:     hidden_global_offset_x
      - .offset:         72
        .size:           8
        .value_kind:     hidden_global_offset_y
      - .offset:         80
        .size:           8
        .value_kind:     hidden_global_offset_z
      - .offset:         88
        .size:           2
        .value_kind:     hidden_grid_dims
    .group_segment_fixed_size: 0
    .kernarg_segment_align: 8
    .kernarg_segment_size: 280
    .language:       OpenCL C
    .language_version:
      - 2
      - 0
    .max_flat_workgroup_size: 1024
    .name:           _ZN5aiter25scaled_act_and_mul_kernelItDB8_TnPFfRKT_EXadL_ZNS_11silu_kernelItEEfS4_EELi16EEEvPT0_PS3_if
    .private_segment_fixed_size: 0
    .sgpr_count:     29
    .sgpr_spill_count: 0
    .symbol:         _ZN5aiter25scaled_act_and_mul_kernelItDB8_TnPFfRKT_EXadL_ZNS_11silu_kernelItEEfS4_EELi16EEEvPT0_PS3_if.kd
    .uniform_work_group_size: 1
    .uses_dynamic_stack: false
    .vgpr_count:     26
    .vgpr_spill_count: 0
    .wavefront_size: 64
  - .agpr_count:     0
    .args:
      - .actual_access:  write_only
        .address_space:  global
        .offset:         0
        .size:           8
        .value_kind:     global_buffer
      - .actual_access:  read_only
        .address_space:  global
        .offset:         8
        .size:           8
        .value_kind:     global_buffer
      - .offset:         16
        .size:           4
        .value_kind:     by_value
      - .offset:         20
        .size:           4
        .value_kind:     by_value
      - .offset:         24
        .size:           4
        .value_kind:     hidden_block_count_x
      - .offset:         28
        .size:           4
        .value_kind:     hidden_block_count_y
      - .offset:         32
        .size:           4
        .value_kind:     hidden_block_count_z
      - .offset:         36
        .size:           2
        .value_kind:     hidden_group_size_x
      - .offset:         38
        .size:           2
        .value_kind:     hidden_group_size_y
      - .offset:         40
        .size:           2
        .value_kind:     hidden_group_size_z
      - .offset:         42
        .size:           2
        .value_kind:     hidden_remainder_x
      - .offset:         44
        .size:           2
        .value_kind:     hidden_remainder_y
      - .offset:         46
        .size:           2
        .value_kind:     hidden_remainder_z
      - .offset:         64
        .size:           8
        .value_kind:     hidden_global_offset_x
      - .offset:         72
        .size:           8
        .value_kind:     hidden_global_offset_y
      - .offset:         80
        .size:           8
        .value_kind:     hidden_global_offset_z
      - .offset:         88
        .size:           2
        .value_kind:     hidden_grid_dims
    .group_segment_fixed_size: 0
    .kernarg_segment_align: 8
    .kernarg_segment_size: 280
    .language:       OpenCL C
    .language_version:
      - 2
      - 0
    .max_flat_workgroup_size: 1024
    .name:           _ZN5aiter25scaled_act_and_mul_kernelItDB8_TnPFfRKT_EXadL_ZNS_11silu_kernelItEEfS4_EELi8EEEvPT0_PS3_if
    .private_segment_fixed_size: 0
    .sgpr_count:     44
    .sgpr_spill_count: 0
    .symbol:         _ZN5aiter25scaled_act_and_mul_kernelItDB8_TnPFfRKT_EXadL_ZNS_11silu_kernelItEEfS4_EELi8EEEvPT0_PS3_if.kd
    .uniform_work_group_size: 1
    .uses_dynamic_stack: false
    .vgpr_count:     45
    .vgpr_spill_count: 0
    .wavefront_size: 64
  - .agpr_count:     0
    .args:
      - .actual_access:  write_only
        .address_space:  global
        .offset:         0
        .size:           8
        .value_kind:     global_buffer
      - .actual_access:  read_only
        .address_space:  global
        .offset:         8
        .size:           8
        .value_kind:     global_buffer
      - .offset:         16
        .size:           4
        .value_kind:     by_value
      - .offset:         20
        .size:           4
        .value_kind:     by_value
      - .offset:         24
        .size:           4
        .value_kind:     hidden_block_count_x
      - .offset:         28
        .size:           4
        .value_kind:     hidden_block_count_y
      - .offset:         32
        .size:           4
        .value_kind:     hidden_block_count_z
      - .offset:         36
        .size:           2
        .value_kind:     hidden_group_size_x
      - .offset:         38
        .size:           2
        .value_kind:     hidden_group_size_y
      - .offset:         40
        .size:           2
        .value_kind:     hidden_group_size_z
      - .offset:         42
        .size:           2
        .value_kind:     hidden_remainder_x
      - .offset:         44
        .size:           2
        .value_kind:     hidden_remainder_y
      - .offset:         46
        .size:           2
        .value_kind:     hidden_remainder_z
      - .offset:         64
        .size:           8
        .value_kind:     hidden_global_offset_x
      - .offset:         72
        .size:           8
        .value_kind:     hidden_global_offset_y
      - .offset:         80
        .size:           8
        .value_kind:     hidden_global_offset_z
      - .offset:         88
        .size:           2
        .value_kind:     hidden_grid_dims
    .group_segment_fixed_size: 0
    .kernarg_segment_align: 8
    .kernarg_segment_size: 280
    .language:       OpenCL C
    .language_version:
      - 2
      - 0
    .max_flat_workgroup_size: 1024
    .name:           _ZN5aiter25scaled_act_and_mul_kernelItDB8_TnPFfRKT_EXadL_ZNS_11silu_kernelItEEfS4_EELi4EEEvPT0_PS3_if
    .private_segment_fixed_size: 0
    .sgpr_count:     35
    .sgpr_spill_count: 0
    .symbol:         _ZN5aiter25scaled_act_and_mul_kernelItDB8_TnPFfRKT_EXadL_ZNS_11silu_kernelItEEfS4_EELi4EEEvPT0_PS3_if.kd
    .uniform_work_group_size: 1
    .uses_dynamic_stack: false
    .vgpr_count:     25
    .vgpr_spill_count: 0
    .wavefront_size: 64
  - .agpr_count:     0
    .args:
      - .actual_access:  write_only
        .address_space:  global
        .offset:         0
        .size:           8
        .value_kind:     global_buffer
      - .actual_access:  read_only
        .address_space:  global
        .offset:         8
        .size:           8
        .value_kind:     global_buffer
      - .offset:         16
        .size:           4
        .value_kind:     by_value
      - .offset:         20
        .size:           4
        .value_kind:     by_value
      - .offset:         24
        .size:           4
        .value_kind:     hidden_block_count_x
      - .offset:         28
        .size:           4
        .value_kind:     hidden_block_count_y
      - .offset:         32
        .size:           4
        .value_kind:     hidden_block_count_z
      - .offset:         36
        .size:           2
        .value_kind:     hidden_group_size_x
      - .offset:         38
        .size:           2
        .value_kind:     hidden_group_size_y
      - .offset:         40
        .size:           2
        .value_kind:     hidden_group_size_z
      - .offset:         42
        .size:           2
        .value_kind:     hidden_remainder_x
      - .offset:         44
        .size:           2
        .value_kind:     hidden_remainder_y
      - .offset:         46
        .size:           2
        .value_kind:     hidden_remainder_z
      - .offset:         64
        .size:           8
        .value_kind:     hidden_global_offset_x
      - .offset:         72
        .size:           8
        .value_kind:     hidden_global_offset_y
      - .offset:         80
        .size:           8
        .value_kind:     hidden_global_offset_z
      - .offset:         88
        .size:           2
        .value_kind:     hidden_grid_dims
    .group_segment_fixed_size: 0
    .kernarg_segment_align: 8
    .kernarg_segment_size: 280
    .language:       OpenCL C
    .language_version:
      - 2
      - 0
    .max_flat_workgroup_size: 1024
    .name:           _ZN5aiter25scaled_act_and_mul_kernelItDB8_TnPFfRKT_EXadL_ZNS_11silu_kernelItEEfS4_EELi2EEEvPT0_PS3_if
    .private_segment_fixed_size: 0
    .sgpr_count:     31
    .sgpr_spill_count: 0
    .symbol:         _ZN5aiter25scaled_act_and_mul_kernelItDB8_TnPFfRKT_EXadL_ZNS_11silu_kernelItEEfS4_EELi2EEEvPT0_PS3_if.kd
    .uniform_work_group_size: 1
    .uses_dynamic_stack: false
    .vgpr_count:     15
    .vgpr_spill_count: 0
    .wavefront_size: 64
  - .agpr_count:     0
    .args:
      - .actual_access:  write_only
        .address_space:  global
        .offset:         0
        .size:           8
        .value_kind:     global_buffer
      - .actual_access:  read_only
        .address_space:  global
        .offset:         8
        .size:           8
        .value_kind:     global_buffer
      - .offset:         16
        .size:           4
        .value_kind:     by_value
      - .offset:         20
        .size:           4
        .value_kind:     by_value
      - .offset:         24
        .size:           4
        .value_kind:     hidden_block_count_x
      - .offset:         28
        .size:           4
        .value_kind:     hidden_block_count_y
      - .offset:         32
        .size:           4
        .value_kind:     hidden_block_count_z
      - .offset:         36
        .size:           2
        .value_kind:     hidden_group_size_x
      - .offset:         38
        .size:           2
        .value_kind:     hidden_group_size_y
      - .offset:         40
        .size:           2
        .value_kind:     hidden_group_size_z
      - .offset:         42
        .size:           2
        .value_kind:     hidden_remainder_x
      - .offset:         44
        .size:           2
        .value_kind:     hidden_remainder_y
      - .offset:         46
        .size:           2
        .value_kind:     hidden_remainder_z
      - .offset:         64
        .size:           8
        .value_kind:     hidden_global_offset_x
      - .offset:         72
        .size:           8
        .value_kind:     hidden_global_offset_y
      - .offset:         80
        .size:           8
        .value_kind:     hidden_global_offset_z
      - .offset:         88
        .size:           2
        .value_kind:     hidden_grid_dims
    .group_segment_fixed_size: 0
    .kernarg_segment_align: 8
    .kernarg_segment_size: 280
    .language:       OpenCL C
    .language_version:
      - 2
      - 0
    .max_flat_workgroup_size: 1024
    .name:           _ZN5aiter25scaled_act_and_mul_kernelItDB8_TnPFfRKT_EXadL_ZNS_11silu_kernelItEEfS4_EELi1EEEvPT0_PS3_if
    .private_segment_fixed_size: 0
    .sgpr_count:     29
    .sgpr_spill_count: 0
    .symbol:         _ZN5aiter25scaled_act_and_mul_kernelItDB8_TnPFfRKT_EXadL_ZNS_11silu_kernelItEEfS4_EELi1EEEvPT0_PS3_if.kd
    .uniform_work_group_size: 1
    .uses_dynamic_stack: false
    .vgpr_count:     9
    .vgpr_spill_count: 0
    .wavefront_size: 64
  - .agpr_count:     0
    .args:
      - .actual_access:  write_only
        .address_space:  global
        .offset:         0
        .size:           8
        .value_kind:     global_buffer
      - .actual_access:  read_only
        .address_space:  global
        .offset:         8
        .size:           8
        .value_kind:     global_buffer
      - .offset:         16
        .size:           4
        .value_kind:     by_value
      - .offset:         20
        .size:           4
        .value_kind:     by_value
      - .offset:         24
        .size:           4
        .value_kind:     hidden_block_count_x
      - .offset:         28
        .size:           4
        .value_kind:     hidden_block_count_y
      - .offset:         32
        .size:           4
        .value_kind:     hidden_block_count_z
      - .offset:         36
        .size:           2
        .value_kind:     hidden_group_size_x
      - .offset:         38
        .size:           2
        .value_kind:     hidden_group_size_y
      - .offset:         40
        .size:           2
        .value_kind:     hidden_group_size_z
      - .offset:         42
        .size:           2
        .value_kind:     hidden_remainder_x
      - .offset:         44
        .size:           2
        .value_kind:     hidden_remainder_y
      - .offset:         46
        .size:           2
        .value_kind:     hidden_remainder_z
      - .offset:         64
        .size:           8
        .value_kind:     hidden_global_offset_x
      - .offset:         72
        .size:           8
        .value_kind:     hidden_global_offset_y
      - .offset:         80
        .size:           8
        .value_kind:     hidden_global_offset_z
      - .offset:         88
        .size:           2
        .value_kind:     hidden_grid_dims
    .group_segment_fixed_size: 0
    .kernarg_segment_align: 8
    .kernarg_segment_size: 280
    .language:       OpenCL C
    .language_version:
      - 2
      - 0
    .max_flat_workgroup_size: 1024
    .name:           _ZN5aiter25scaled_act_and_mul_kernelItaTnPFfRKT_EXadL_ZNS_11silu_kernelItEEfS3_EELi16EEEvPT0_PS2_if
    .private_segment_fixed_size: 0
    .sgpr_count:     29
    .sgpr_spill_count: 0
    .symbol:         _ZN5aiter25scaled_act_and_mul_kernelItaTnPFfRKT_EXadL_ZNS_11silu_kernelItEEfS3_EELi16EEEvPT0_PS2_if.kd
    .uniform_work_group_size: 1
    .uses_dynamic_stack: false
    .vgpr_count:     26
    .vgpr_spill_count: 0
    .wavefront_size: 64
  - .agpr_count:     0
    .args:
      - .actual_access:  write_only
        .address_space:  global
        .offset:         0
        .size:           8
        .value_kind:     global_buffer
      - .actual_access:  read_only
        .address_space:  global
        .offset:         8
        .size:           8
        .value_kind:     global_buffer
      - .offset:         16
        .size:           4
        .value_kind:     by_value
      - .offset:         20
        .size:           4
        .value_kind:     by_value
      - .offset:         24
        .size:           4
        .value_kind:     hidden_block_count_x
      - .offset:         28
        .size:           4
        .value_kind:     hidden_block_count_y
      - .offset:         32
        .size:           4
        .value_kind:     hidden_block_count_z
      - .offset:         36
        .size:           2
        .value_kind:     hidden_group_size_x
      - .offset:         38
        .size:           2
        .value_kind:     hidden_group_size_y
      - .offset:         40
        .size:           2
        .value_kind:     hidden_group_size_z
      - .offset:         42
        .size:           2
        .value_kind:     hidden_remainder_x
      - .offset:         44
        .size:           2
        .value_kind:     hidden_remainder_y
      - .offset:         46
        .size:           2
        .value_kind:     hidden_remainder_z
      - .offset:         64
        .size:           8
        .value_kind:     hidden_global_offset_x
      - .offset:         72
        .size:           8
        .value_kind:     hidden_global_offset_y
      - .offset:         80
        .size:           8
        .value_kind:     hidden_global_offset_z
      - .offset:         88
        .size:           2
        .value_kind:     hidden_grid_dims
    .group_segment_fixed_size: 0
    .kernarg_segment_align: 8
    .kernarg_segment_size: 280
    .language:       OpenCL C
    .language_version:
      - 2
      - 0
    .max_flat_workgroup_size: 1024
    .name:           _ZN5aiter25scaled_act_and_mul_kernelItaTnPFfRKT_EXadL_ZNS_11silu_kernelItEEfS3_EELi8EEEvPT0_PS2_if
    .private_segment_fixed_size: 0
    .sgpr_count:     44
    .sgpr_spill_count: 0
    .symbol:         _ZN5aiter25scaled_act_and_mul_kernelItaTnPFfRKT_EXadL_ZNS_11silu_kernelItEEfS3_EELi8EEEvPT0_PS2_if.kd
    .uniform_work_group_size: 1
    .uses_dynamic_stack: false
    .vgpr_count:     45
    .vgpr_spill_count: 0
    .wavefront_size: 64
  - .agpr_count:     0
    .args:
      - .actual_access:  write_only
        .address_space:  global
        .offset:         0
        .size:           8
        .value_kind:     global_buffer
      - .actual_access:  read_only
        .address_space:  global
        .offset:         8
        .size:           8
        .value_kind:     global_buffer
      - .offset:         16
        .size:           4
        .value_kind:     by_value
      - .offset:         20
        .size:           4
        .value_kind:     by_value
      - .offset:         24
        .size:           4
        .value_kind:     hidden_block_count_x
      - .offset:         28
        .size:           4
        .value_kind:     hidden_block_count_y
      - .offset:         32
        .size:           4
        .value_kind:     hidden_block_count_z
      - .offset:         36
        .size:           2
        .value_kind:     hidden_group_size_x
      - .offset:         38
        .size:           2
        .value_kind:     hidden_group_size_y
      - .offset:         40
        .size:           2
        .value_kind:     hidden_group_size_z
      - .offset:         42
        .size:           2
        .value_kind:     hidden_remainder_x
      - .offset:         44
        .size:           2
        .value_kind:     hidden_remainder_y
      - .offset:         46
        .size:           2
        .value_kind:     hidden_remainder_z
      - .offset:         64
        .size:           8
        .value_kind:     hidden_global_offset_x
      - .offset:         72
        .size:           8
        .value_kind:     hidden_global_offset_y
      - .offset:         80
        .size:           8
        .value_kind:     hidden_global_offset_z
      - .offset:         88
        .size:           2
        .value_kind:     hidden_grid_dims
    .group_segment_fixed_size: 0
    .kernarg_segment_align: 8
    .kernarg_segment_size: 280
    .language:       OpenCL C
    .language_version:
      - 2
      - 0
    .max_flat_workgroup_size: 1024
    .name:           _ZN5aiter25scaled_act_and_mul_kernelItaTnPFfRKT_EXadL_ZNS_11silu_kernelItEEfS3_EELi4EEEvPT0_PS2_if
    .private_segment_fixed_size: 0
    .sgpr_count:     35
    .sgpr_spill_count: 0
    .symbol:         _ZN5aiter25scaled_act_and_mul_kernelItaTnPFfRKT_EXadL_ZNS_11silu_kernelItEEfS3_EELi4EEEvPT0_PS2_if.kd
    .uniform_work_group_size: 1
    .uses_dynamic_stack: false
    .vgpr_count:     25
    .vgpr_spill_count: 0
    .wavefront_size: 64
  - .agpr_count:     0
    .args:
      - .actual_access:  write_only
        .address_space:  global
        .offset:         0
        .size:           8
        .value_kind:     global_buffer
      - .actual_access:  read_only
        .address_space:  global
        .offset:         8
        .size:           8
        .value_kind:     global_buffer
      - .offset:         16
        .size:           4
        .value_kind:     by_value
      - .offset:         20
        .size:           4
        .value_kind:     by_value
      - .offset:         24
        .size:           4
        .value_kind:     hidden_block_count_x
      - .offset:         28
        .size:           4
        .value_kind:     hidden_block_count_y
      - .offset:         32
        .size:           4
        .value_kind:     hidden_block_count_z
      - .offset:         36
        .size:           2
        .value_kind:     hidden_group_size_x
      - .offset:         38
        .size:           2
        .value_kind:     hidden_group_size_y
      - .offset:         40
        .size:           2
        .value_kind:     hidden_group_size_z
      - .offset:         42
        .size:           2
        .value_kind:     hidden_remainder_x
      - .offset:         44
        .size:           2
        .value_kind:     hidden_remainder_y
      - .offset:         46
        .size:           2
        .value_kind:     hidden_remainder_z
      - .offset:         64
        .size:           8
        .value_kind:     hidden_global_offset_x
      - .offset:         72
        .size:           8
        .value_kind:     hidden_global_offset_y
      - .offset:         80
        .size:           8
        .value_kind:     hidden_global_offset_z
      - .offset:         88
        .size:           2
        .value_kind:     hidden_grid_dims
    .group_segment_fixed_size: 0
    .kernarg_segment_align: 8
    .kernarg_segment_size: 280
    .language:       OpenCL C
    .language_version:
      - 2
      - 0
    .max_flat_workgroup_size: 1024
    .name:           _ZN5aiter25scaled_act_and_mul_kernelItaTnPFfRKT_EXadL_ZNS_11silu_kernelItEEfS3_EELi2EEEvPT0_PS2_if
    .private_segment_fixed_size: 0
    .sgpr_count:     31
    .sgpr_spill_count: 0
    .symbol:         _ZN5aiter25scaled_act_and_mul_kernelItaTnPFfRKT_EXadL_ZNS_11silu_kernelItEEfS3_EELi2EEEvPT0_PS2_if.kd
    .uniform_work_group_size: 1
    .uses_dynamic_stack: false
    .vgpr_count:     15
    .vgpr_spill_count: 0
    .wavefront_size: 64
  - .agpr_count:     0
    .args:
      - .actual_access:  write_only
        .address_space:  global
        .offset:         0
        .size:           8
        .value_kind:     global_buffer
      - .actual_access:  read_only
        .address_space:  global
        .offset:         8
        .size:           8
        .value_kind:     global_buffer
      - .offset:         16
        .size:           4
        .value_kind:     by_value
      - .offset:         20
        .size:           4
        .value_kind:     by_value
      - .offset:         24
        .size:           4
        .value_kind:     hidden_block_count_x
      - .offset:         28
        .size:           4
        .value_kind:     hidden_block_count_y
      - .offset:         32
        .size:           4
        .value_kind:     hidden_block_count_z
      - .offset:         36
        .size:           2
        .value_kind:     hidden_group_size_x
      - .offset:         38
        .size:           2
        .value_kind:     hidden_group_size_y
      - .offset:         40
        .size:           2
        .value_kind:     hidden_group_size_z
      - .offset:         42
        .size:           2
        .value_kind:     hidden_remainder_x
      - .offset:         44
        .size:           2
        .value_kind:     hidden_remainder_y
      - .offset:         46
        .size:           2
        .value_kind:     hidden_remainder_z
      - .offset:         64
        .size:           8
        .value_kind:     hidden_global_offset_x
      - .offset:         72
        .size:           8
        .value_kind:     hidden_global_offset_y
      - .offset:         80
        .size:           8
        .value_kind:     hidden_global_offset_z
      - .offset:         88
        .size:           2
        .value_kind:     hidden_grid_dims
    .group_segment_fixed_size: 0
    .kernarg_segment_align: 8
    .kernarg_segment_size: 280
    .language:       OpenCL C
    .language_version:
      - 2
      - 0
    .max_flat_workgroup_size: 1024
    .name:           _ZN5aiter25scaled_act_and_mul_kernelItaTnPFfRKT_EXadL_ZNS_11silu_kernelItEEfS3_EELi1EEEvPT0_PS2_if
    .private_segment_fixed_size: 0
    .sgpr_count:     29
    .sgpr_spill_count: 0
    .symbol:         _ZN5aiter25scaled_act_and_mul_kernelItaTnPFfRKT_EXadL_ZNS_11silu_kernelItEEfS3_EELi1EEEvPT0_PS2_if.kd
    .uniform_work_group_size: 1
    .uses_dynamic_stack: false
    .vgpr_count:     9
    .vgpr_spill_count: 0
    .wavefront_size: 64
  - .agpr_count:     0
    .args:
      - .actual_access:  write_only
        .address_space:  global
        .offset:         0
        .size:           8
        .value_kind:     global_buffer
      - .actual_access:  read_only
        .address_space:  global
        .offset:         8
        .size:           8
        .value_kind:     global_buffer
      - .actual_access:  write_only
        .address_space:  global
        .offset:         16
        .size:           8
        .value_kind:     global_buffer
      - .offset:         24
        .size:           4
        .value_kind:     by_value
      - .offset:         28
        .size:           4
        .value_kind:     by_value
      - .offset:         32
        .size:           4
        .value_kind:     by_value
      - .offset:         36
        .size:           1
        .value_kind:     by_value
      - .offset:         40
        .size:           4
        .value_kind:     hidden_block_count_x
      - .offset:         44
        .size:           4
        .value_kind:     hidden_block_count_y
      - .offset:         48
        .size:           4
        .value_kind:     hidden_block_count_z
      - .offset:         52
        .size:           2
        .value_kind:     hidden_group_size_x
      - .offset:         54
        .size:           2
        .value_kind:     hidden_group_size_y
      - .offset:         56
        .size:           2
        .value_kind:     hidden_group_size_z
      - .offset:         58
        .size:           2
        .value_kind:     hidden_remainder_x
      - .offset:         60
        .size:           2
        .value_kind:     hidden_remainder_y
      - .offset:         62
        .size:           2
        .value_kind:     hidden_remainder_z
      - .offset:         80
        .size:           8
        .value_kind:     hidden_global_offset_x
      - .offset:         88
        .size:           8
        .value_kind:     hidden_global_offset_y
      - .offset:         96
        .size:           8
        .value_kind:     hidden_global_offset_z
      - .offset:         104
        .size:           2
        .value_kind:     hidden_grid_dims
    .group_segment_fixed_size: 0
    .kernarg_segment_align: 8
    .kernarg_segment_size: 296
    .language:       OpenCL C
    .language_version:
      - 2
      - 0
    .max_flat_workgroup_size: 1024
    .name:           _ZN5aiter24act_and_mul_quant_kernelIDF16_DB8_TnPFfRKT_EXadL_ZNS_11silu_kernelIDF16_EEfS4_EELi64ELi8ELb1EEEvPT0_PS3_Pfiifb
    .private_segment_fixed_size: 0
    .sgpr_count:     30
    .sgpr_spill_count: 0
    .symbol:         _ZN5aiter24act_and_mul_quant_kernelIDF16_DB8_TnPFfRKT_EXadL_ZNS_11silu_kernelIDF16_EEfS4_EELi64ELi8ELb1EEEvPT0_PS3_Pfiifb.kd
    .uniform_work_group_size: 1
    .uses_dynamic_stack: false
    .vgpr_count:     33
    .vgpr_spill_count: 0
    .wavefront_size: 64
  - .agpr_count:     0
    .args:
      - .actual_access:  write_only
        .address_space:  global
        .offset:         0
        .size:           8
        .value_kind:     global_buffer
      - .actual_access:  read_only
        .address_space:  global
        .offset:         8
        .size:           8
        .value_kind:     global_buffer
      - .actual_access:  write_only
        .address_space:  global
        .offset:         16
        .size:           8
        .value_kind:     global_buffer
      - .offset:         24
        .size:           4
        .value_kind:     by_value
      - .offset:         28
        .size:           4
        .value_kind:     by_value
      - .offset:         32
        .size:           4
        .value_kind:     by_value
      - .offset:         36
        .size:           1
        .value_kind:     by_value
      - .offset:         40
        .size:           4
        .value_kind:     hidden_block_count_x
      - .offset:         44
        .size:           4
        .value_kind:     hidden_block_count_y
      - .offset:         48
        .size:           4
        .value_kind:     hidden_block_count_z
      - .offset:         52
        .size:           2
        .value_kind:     hidden_group_size_x
      - .offset:         54
        .size:           2
        .value_kind:     hidden_group_size_y
      - .offset:         56
        .size:           2
        .value_kind:     hidden_group_size_z
      - .offset:         58
        .size:           2
        .value_kind:     hidden_remainder_x
      - .offset:         60
        .size:           2
        .value_kind:     hidden_remainder_y
      - .offset:         62
        .size:           2
        .value_kind:     hidden_remainder_z
      - .offset:         80
        .size:           8
        .value_kind:     hidden_global_offset_x
      - .offset:         88
        .size:           8
        .value_kind:     hidden_global_offset_y
      - .offset:         96
        .size:           8
        .value_kind:     hidden_global_offset_z
      - .offset:         104
        .size:           2
        .value_kind:     hidden_grid_dims
    .group_segment_fixed_size: 0
    .kernarg_segment_align: 8
    .kernarg_segment_size: 296
    .language:       OpenCL C
    .language_version:
      - 2
      - 0
    .max_flat_workgroup_size: 1024
    .name:           _ZN5aiter24act_and_mul_quant_kernelItDB8_TnPFfRKT_EXadL_ZNS_11silu_kernelItEEfS4_EELi64ELi8ELb1EEEvPT0_PS3_Pfiifb
    .private_segment_fixed_size: 0
    .sgpr_count:     30
    .sgpr_spill_count: 0
    .symbol:         _ZN5aiter24act_and_mul_quant_kernelItDB8_TnPFfRKT_EXadL_ZNS_11silu_kernelItEEfS4_EELi64ELi8ELb1EEEvPT0_PS3_Pfiifb.kd
    .uniform_work_group_size: 1
    .uses_dynamic_stack: false
    .vgpr_count:     28
    .vgpr_spill_count: 0
    .wavefront_size: 64
  - .agpr_count:     0
    .args:
      - .actual_access:  write_only
        .address_space:  global
        .offset:         0
        .size:           8
        .value_kind:     global_buffer
      - .actual_access:  read_only
        .address_space:  global
        .offset:         8
        .size:           8
        .value_kind:     global_buffer
      - .actual_access:  write_only
        .address_space:  global
        .offset:         16
        .size:           8
        .value_kind:     global_buffer
      - .offset:         24
        .size:           4
        .value_kind:     by_value
      - .offset:         28
        .size:           4
        .value_kind:     by_value
      - .offset:         32
        .size:           4
        .value_kind:     by_value
      - .offset:         36
        .size:           1
        .value_kind:     by_value
      - .offset:         40
        .size:           4
        .value_kind:     hidden_block_count_x
      - .offset:         44
        .size:           4
        .value_kind:     hidden_block_count_y
      - .offset:         48
        .size:           4
        .value_kind:     hidden_block_count_z
      - .offset:         52
        .size:           2
        .value_kind:     hidden_group_size_x
      - .offset:         54
        .size:           2
        .value_kind:     hidden_group_size_y
      - .offset:         56
        .size:           2
        .value_kind:     hidden_group_size_z
      - .offset:         58
        .size:           2
        .value_kind:     hidden_remainder_x
      - .offset:         60
        .size:           2
        .value_kind:     hidden_remainder_y
      - .offset:         62
        .size:           2
        .value_kind:     hidden_remainder_z
      - .offset:         80
        .size:           8
        .value_kind:     hidden_global_offset_x
      - .offset:         88
        .size:           8
        .value_kind:     hidden_global_offset_y
      - .offset:         96
        .size:           8
        .value_kind:     hidden_global_offset_z
      - .offset:         104
        .size:           2
        .value_kind:     hidden_grid_dims
    .group_segment_fixed_size: 0
    .kernarg_segment_align: 8
    .kernarg_segment_size: 296
    .language:       OpenCL C
    .language_version:
      - 2
      - 0
    .max_flat_workgroup_size: 1024
    .name:           _ZN5aiter24act_and_mul_quant_kernelIDF16_DB8_TnPFfRKT_EXadL_ZNS_11silu_kernelIDF16_EEfS4_EELi128ELi8ELb1EEEvPT0_PS3_Pfiifb
    .private_segment_fixed_size: 0
    .sgpr_count:     30
    .sgpr_spill_count: 0
    .symbol:         _ZN5aiter24act_and_mul_quant_kernelIDF16_DB8_TnPFfRKT_EXadL_ZNS_11silu_kernelIDF16_EEfS4_EELi128ELi8ELb1EEEvPT0_PS3_Pfiifb.kd
    .uniform_work_group_size: 1
    .uses_dynamic_stack: false
    .vgpr_count:     33
    .vgpr_spill_count: 0
    .wavefront_size: 64
  - .agpr_count:     0
    .args:
      - .actual_access:  write_only
        .address_space:  global
        .offset:         0
        .size:           8
        .value_kind:     global_buffer
      - .actual_access:  read_only
        .address_space:  global
        .offset:         8
        .size:           8
        .value_kind:     global_buffer
      - .actual_access:  write_only
        .address_space:  global
        .offset:         16
        .size:           8
        .value_kind:     global_buffer
      - .offset:         24
        .size:           4
        .value_kind:     by_value
      - .offset:         28
        .size:           4
        .value_kind:     by_value
      - .offset:         32
        .size:           4
        .value_kind:     by_value
      - .offset:         36
        .size:           1
        .value_kind:     by_value
      - .offset:         40
        .size:           4
        .value_kind:     hidden_block_count_x
      - .offset:         44
        .size:           4
        .value_kind:     hidden_block_count_y
      - .offset:         48
        .size:           4
        .value_kind:     hidden_block_count_z
      - .offset:         52
        .size:           2
        .value_kind:     hidden_group_size_x
      - .offset:         54
        .size:           2
        .value_kind:     hidden_group_size_y
      - .offset:         56
        .size:           2
        .value_kind:     hidden_group_size_z
      - .offset:         58
        .size:           2
        .value_kind:     hidden_remainder_x
      - .offset:         60
        .size:           2
        .value_kind:     hidden_remainder_y
      - .offset:         62
        .size:           2
        .value_kind:     hidden_remainder_z
      - .offset:         80
        .size:           8
        .value_kind:     hidden_global_offset_x
      - .offset:         88
        .size:           8
        .value_kind:     hidden_global_offset_y
      - .offset:         96
        .size:           8
        .value_kind:     hidden_global_offset_z
      - .offset:         104
        .size:           2
        .value_kind:     hidden_grid_dims
    .group_segment_fixed_size: 0
    .kernarg_segment_align: 8
    .kernarg_segment_size: 296
    .language:       OpenCL C
    .language_version:
      - 2
      - 0
    .max_flat_workgroup_size: 1024
    .name:           _ZN5aiter24act_and_mul_quant_kernelItDB8_TnPFfRKT_EXadL_ZNS_11silu_kernelItEEfS4_EELi128ELi8ELb1EEEvPT0_PS3_Pfiifb
    .private_segment_fixed_size: 0
    .sgpr_count:     30
    .sgpr_spill_count: 0
    .symbol:         _ZN5aiter24act_and_mul_quant_kernelItDB8_TnPFfRKT_EXadL_ZNS_11silu_kernelItEEfS4_EELi128ELi8ELb1EEEvPT0_PS3_Pfiifb.kd
    .uniform_work_group_size: 1
    .uses_dynamic_stack: false
    .vgpr_count:     28
    .vgpr_spill_count: 0
    .wavefront_size: 64
  - .agpr_count:     0
    .args:
      - .actual_access:  write_only
        .address_space:  global
        .offset:         0
        .size:           8
        .value_kind:     global_buffer
      - .actual_access:  read_only
        .address_space:  global
        .offset:         8
        .size:           8
        .value_kind:     global_buffer
      - .actual_access:  write_only
        .address_space:  global
        .offset:         16
        .size:           8
        .value_kind:     global_buffer
      - .offset:         24
        .size:           4
        .value_kind:     by_value
      - .offset:         28
        .size:           4
        .value_kind:     by_value
      - .offset:         32
        .size:           4
        .value_kind:     by_value
      - .offset:         36
        .size:           1
        .value_kind:     by_value
      - .offset:         40
        .size:           4
        .value_kind:     hidden_block_count_x
      - .offset:         44
        .size:           4
        .value_kind:     hidden_block_count_y
      - .offset:         48
        .size:           4
        .value_kind:     hidden_block_count_z
      - .offset:         52
        .size:           2
        .value_kind:     hidden_group_size_x
      - .offset:         54
        .size:           2
        .value_kind:     hidden_group_size_y
      - .offset:         56
        .size:           2
        .value_kind:     hidden_group_size_z
      - .offset:         58
        .size:           2
        .value_kind:     hidden_remainder_x
      - .offset:         60
        .size:           2
        .value_kind:     hidden_remainder_y
      - .offset:         62
        .size:           2
        .value_kind:     hidden_remainder_z
      - .offset:         80
        .size:           8
        .value_kind:     hidden_global_offset_x
      - .offset:         88
        .size:           8
        .value_kind:     hidden_global_offset_y
      - .offset:         96
        .size:           8
        .value_kind:     hidden_global_offset_z
      - .offset:         104
        .size:           2
        .value_kind:     hidden_grid_dims
    .group_segment_fixed_size: 0
    .kernarg_segment_align: 8
    .kernarg_segment_size: 296
    .language:       OpenCL C
    .language_version:
      - 2
      - 0
    .max_flat_workgroup_size: 1024
    .name:           _ZN5aiter24act_and_mul_quant_kernelIDF16_DB8_TnPFfRKT_EXadL_ZNS_11silu_kernelIDF16_EEfS4_EELi256ELi8ELb1EEEvPT0_PS3_Pfiifb
    .private_segment_fixed_size: 0
    .sgpr_count:     30
    .sgpr_spill_count: 0
    .symbol:         _ZN5aiter24act_and_mul_quant_kernelIDF16_DB8_TnPFfRKT_EXadL_ZNS_11silu_kernelIDF16_EEfS4_EELi256ELi8ELb1EEEvPT0_PS3_Pfiifb.kd
    .uniform_work_group_size: 1
    .uses_dynamic_stack: false
    .vgpr_count:     33
    .vgpr_spill_count: 0
    .wavefront_size: 64
  - .agpr_count:     0
    .args:
      - .actual_access:  write_only
        .address_space:  global
        .offset:         0
        .size:           8
        .value_kind:     global_buffer
      - .actual_access:  read_only
        .address_space:  global
        .offset:         8
        .size:           8
        .value_kind:     global_buffer
      - .actual_access:  write_only
        .address_space:  global
        .offset:         16
        .size:           8
        .value_kind:     global_buffer
      - .offset:         24
        .size:           4
        .value_kind:     by_value
      - .offset:         28
        .size:           4
        .value_kind:     by_value
      - .offset:         32
        .size:           4
        .value_kind:     by_value
      - .offset:         36
        .size:           1
        .value_kind:     by_value
      - .offset:         40
        .size:           4
        .value_kind:     hidden_block_count_x
      - .offset:         44
        .size:           4
        .value_kind:     hidden_block_count_y
      - .offset:         48
        .size:           4
        .value_kind:     hidden_block_count_z
      - .offset:         52
        .size:           2
        .value_kind:     hidden_group_size_x
      - .offset:         54
        .size:           2
        .value_kind:     hidden_group_size_y
      - .offset:         56
        .size:           2
        .value_kind:     hidden_group_size_z
      - .offset:         58
        .size:           2
        .value_kind:     hidden_remainder_x
      - .offset:         60
        .size:           2
        .value_kind:     hidden_remainder_y
      - .offset:         62
        .size:           2
        .value_kind:     hidden_remainder_z
      - .offset:         80
        .size:           8
        .value_kind:     hidden_global_offset_x
      - .offset:         88
        .size:           8
        .value_kind:     hidden_global_offset_y
      - .offset:         96
        .size:           8
        .value_kind:     hidden_global_offset_z
      - .offset:         104
        .size:           2
        .value_kind:     hidden_grid_dims
    .group_segment_fixed_size: 0
    .kernarg_segment_align: 8
    .kernarg_segment_size: 296
    .language:       OpenCL C
    .language_version:
      - 2
      - 0
    .max_flat_workgroup_size: 1024
    .name:           _ZN5aiter24act_and_mul_quant_kernelItDB8_TnPFfRKT_EXadL_ZNS_11silu_kernelItEEfS4_EELi256ELi8ELb1EEEvPT0_PS3_Pfiifb
    .private_segment_fixed_size: 0
    .sgpr_count:     30
    .sgpr_spill_count: 0
    .symbol:         _ZN5aiter24act_and_mul_quant_kernelItDB8_TnPFfRKT_EXadL_ZNS_11silu_kernelItEEfS4_EELi256ELi8ELb1EEEvPT0_PS3_Pfiifb.kd
    .uniform_work_group_size: 1
    .uses_dynamic_stack: false
    .vgpr_count:     28
    .vgpr_spill_count: 0
    .wavefront_size: 64
  - .agpr_count:     0
    .args:
      - .actual_access:  write_only
        .address_space:  global
        .offset:         0
        .size:           8
        .value_kind:     global_buffer
      - .actual_access:  read_only
        .address_space:  global
        .offset:         8
        .size:           8
        .value_kind:     global_buffer
      - .actual_access:  write_only
        .address_space:  global
        .offset:         16
        .size:           8
        .value_kind:     global_buffer
      - .offset:         24
        .size:           4
        .value_kind:     by_value
      - .offset:         28
        .size:           4
        .value_kind:     by_value
      - .offset:         32
        .size:           4
        .value_kind:     by_value
      - .offset:         36
        .size:           1
        .value_kind:     by_value
      - .offset:         40
        .size:           4
        .value_kind:     hidden_block_count_x
      - .offset:         44
        .size:           4
        .value_kind:     hidden_block_count_y
      - .offset:         48
        .size:           4
        .value_kind:     hidden_block_count_z
      - .offset:         52
        .size:           2
        .value_kind:     hidden_group_size_x
      - .offset:         54
        .size:           2
        .value_kind:     hidden_group_size_y
      - .offset:         56
        .size:           2
        .value_kind:     hidden_group_size_z
      - .offset:         58
        .size:           2
        .value_kind:     hidden_remainder_x
      - .offset:         60
        .size:           2
        .value_kind:     hidden_remainder_y
      - .offset:         62
        .size:           2
        .value_kind:     hidden_remainder_z
      - .offset:         80
        .size:           8
        .value_kind:     hidden_global_offset_x
      - .offset:         88
        .size:           8
        .value_kind:     hidden_global_offset_y
      - .offset:         96
        .size:           8
        .value_kind:     hidden_global_offset_z
      - .offset:         104
        .size:           2
        .value_kind:     hidden_grid_dims
    .group_segment_fixed_size: 0
    .kernarg_segment_align: 8
    .kernarg_segment_size: 296
    .language:       OpenCL C
    .language_version:
      - 2
      - 0
    .max_flat_workgroup_size: 1024
    .name:           _ZN5aiter24act_and_mul_quant_kernelIDF16_DB8_TnPFfRKT_EXadL_ZNS_11silu_kernelIDF16_EEfS4_EELi256ELi16ELb1EEEvPT0_PS3_Pfiifb
    .private_segment_fixed_size: 0
    .sgpr_count:     32
    .sgpr_spill_count: 0
    .symbol:         _ZN5aiter24act_and_mul_quant_kernelIDF16_DB8_TnPFfRKT_EXadL_ZNS_11silu_kernelIDF16_EEfS4_EELi256ELi16ELb1EEEvPT0_PS3_Pfiifb.kd
    .uniform_work_group_size: 1
    .uses_dynamic_stack: false
    .vgpr_count:     41
    .vgpr_spill_count: 0
    .wavefront_size: 64
  - .agpr_count:     0
    .args:
      - .actual_access:  write_only
        .address_space:  global
        .offset:         0
        .size:           8
        .value_kind:     global_buffer
      - .actual_access:  read_only
        .address_space:  global
        .offset:         8
        .size:           8
        .value_kind:     global_buffer
      - .actual_access:  write_only
        .address_space:  global
        .offset:         16
        .size:           8
        .value_kind:     global_buffer
      - .offset:         24
        .size:           4
        .value_kind:     by_value
      - .offset:         28
        .size:           4
        .value_kind:     by_value
      - .offset:         32
        .size:           4
        .value_kind:     by_value
      - .offset:         36
        .size:           1
        .value_kind:     by_value
      - .offset:         40
        .size:           4
        .value_kind:     hidden_block_count_x
      - .offset:         44
        .size:           4
        .value_kind:     hidden_block_count_y
      - .offset:         48
        .size:           4
        .value_kind:     hidden_block_count_z
      - .offset:         52
        .size:           2
        .value_kind:     hidden_group_size_x
      - .offset:         54
        .size:           2
        .value_kind:     hidden_group_size_y
      - .offset:         56
        .size:           2
        .value_kind:     hidden_group_size_z
      - .offset:         58
        .size:           2
        .value_kind:     hidden_remainder_x
      - .offset:         60
        .size:           2
        .value_kind:     hidden_remainder_y
      - .offset:         62
        .size:           2
        .value_kind:     hidden_remainder_z
      - .offset:         80
        .size:           8
        .value_kind:     hidden_global_offset_x
      - .offset:         88
        .size:           8
        .value_kind:     hidden_global_offset_y
      - .offset:         96
        .size:           8
        .value_kind:     hidden_global_offset_z
      - .offset:         104
        .size:           2
        .value_kind:     hidden_grid_dims
    .group_segment_fixed_size: 0
    .kernarg_segment_align: 8
    .kernarg_segment_size: 296
    .language:       OpenCL C
    .language_version:
      - 2
      - 0
    .max_flat_workgroup_size: 1024
    .name:           _ZN5aiter24act_and_mul_quant_kernelItDB8_TnPFfRKT_EXadL_ZNS_11silu_kernelItEEfS4_EELi256ELi16ELb1EEEvPT0_PS3_Pfiifb
    .private_segment_fixed_size: 0
    .sgpr_count:     31
    .sgpr_spill_count: 0
    .symbol:         _ZN5aiter24act_and_mul_quant_kernelItDB8_TnPFfRKT_EXadL_ZNS_11silu_kernelItEEfS4_EELi256ELi16ELb1EEEvPT0_PS3_Pfiifb.kd
    .uniform_work_group_size: 1
    .uses_dynamic_stack: false
    .vgpr_count:     36
    .vgpr_spill_count: 0
    .wavefront_size: 64
  - .agpr_count:     0
    .args:
      - .actual_access:  write_only
        .address_space:  global
        .offset:         0
        .size:           8
        .value_kind:     global_buffer
      - .actual_access:  read_only
        .address_space:  global
        .offset:         8
        .size:           8
        .value_kind:     global_buffer
      - .actual_access:  write_only
        .address_space:  global
        .offset:         16
        .size:           8
        .value_kind:     global_buffer
      - .offset:         24
        .size:           4
        .value_kind:     by_value
      - .offset:         28
        .size:           4
        .value_kind:     by_value
      - .offset:         32
        .size:           4
        .value_kind:     by_value
      - .offset:         36
        .size:           1
        .value_kind:     by_value
      - .offset:         40
        .size:           4
        .value_kind:     hidden_block_count_x
      - .offset:         44
        .size:           4
        .value_kind:     hidden_block_count_y
      - .offset:         48
        .size:           4
        .value_kind:     hidden_block_count_z
      - .offset:         52
        .size:           2
        .value_kind:     hidden_group_size_x
      - .offset:         54
        .size:           2
        .value_kind:     hidden_group_size_y
      - .offset:         56
        .size:           2
        .value_kind:     hidden_group_size_z
      - .offset:         58
        .size:           2
        .value_kind:     hidden_remainder_x
      - .offset:         60
        .size:           2
        .value_kind:     hidden_remainder_y
      - .offset:         62
        .size:           2
        .value_kind:     hidden_remainder_z
      - .offset:         80
        .size:           8
        .value_kind:     hidden_global_offset_x
      - .offset:         88
        .size:           8
        .value_kind:     hidden_global_offset_y
      - .offset:         96
        .size:           8
        .value_kind:     hidden_global_offset_z
      - .offset:         104
        .size:           2
        .value_kind:     hidden_grid_dims
    .group_segment_fixed_size: 0
    .kernarg_segment_align: 8
    .kernarg_segment_size: 296
    .language:       OpenCL C
    .language_version:
      - 2
      - 0
    .max_flat_workgroup_size: 1024
    .name:           _ZN5aiter24act_and_mul_quant_kernelIDF16_DB8_TnPFfRKT_EXadL_ZNS_11silu_kernelIDF16_EEfS4_EELi256ELi24ELb1EEEvPT0_PS3_Pfiifb
    .private_segment_fixed_size: 0
    .sgpr_count:     32
    .sgpr_spill_count: 0
    .symbol:         _ZN5aiter24act_and_mul_quant_kernelIDF16_DB8_TnPFfRKT_EXadL_ZNS_11silu_kernelIDF16_EEfS4_EELi256ELi24ELb1EEEvPT0_PS3_Pfiifb.kd
    .uniform_work_group_size: 1
    .uses_dynamic_stack: false
    .vgpr_count:     49
    .vgpr_spill_count: 0
    .wavefront_size: 64
  - .agpr_count:     0
    .args:
      - .actual_access:  write_only
        .address_space:  global
        .offset:         0
        .size:           8
        .value_kind:     global_buffer
      - .actual_access:  read_only
        .address_space:  global
        .offset:         8
        .size:           8
        .value_kind:     global_buffer
      - .actual_access:  write_only
        .address_space:  global
        .offset:         16
        .size:           8
        .value_kind:     global_buffer
      - .offset:         24
        .size:           4
        .value_kind:     by_value
      - .offset:         28
        .size:           4
        .value_kind:     by_value
      - .offset:         32
        .size:           4
        .value_kind:     by_value
      - .offset:         36
        .size:           1
        .value_kind:     by_value
      - .offset:         40
        .size:           4
        .value_kind:     hidden_block_count_x
      - .offset:         44
        .size:           4
        .value_kind:     hidden_block_count_y
      - .offset:         48
        .size:           4
        .value_kind:     hidden_block_count_z
      - .offset:         52
        .size:           2
        .value_kind:     hidden_group_size_x
      - .offset:         54
        .size:           2
        .value_kind:     hidden_group_size_y
      - .offset:         56
        .size:           2
        .value_kind:     hidden_group_size_z
      - .offset:         58
        .size:           2
        .value_kind:     hidden_remainder_x
      - .offset:         60
        .size:           2
        .value_kind:     hidden_remainder_y
      - .offset:         62
        .size:           2
        .value_kind:     hidden_remainder_z
      - .offset:         80
        .size:           8
        .value_kind:     hidden_global_offset_x
      - .offset:         88
        .size:           8
        .value_kind:     hidden_global_offset_y
      - .offset:         96
        .size:           8
        .value_kind:     hidden_global_offset_z
      - .offset:         104
        .size:           2
        .value_kind:     hidden_grid_dims
    .group_segment_fixed_size: 0
    .kernarg_segment_align: 8
    .kernarg_segment_size: 296
    .language:       OpenCL C
    .language_version:
      - 2
      - 0
    .max_flat_workgroup_size: 1024
    .name:           _ZN5aiter24act_and_mul_quant_kernelItDB8_TnPFfRKT_EXadL_ZNS_11silu_kernelItEEfS4_EELi256ELi24ELb1EEEvPT0_PS3_Pfiifb
    .private_segment_fixed_size: 0
    .sgpr_count:     31
    .sgpr_spill_count: 0
    .symbol:         _ZN5aiter24act_and_mul_quant_kernelItDB8_TnPFfRKT_EXadL_ZNS_11silu_kernelItEEfS4_EELi256ELi24ELb1EEEvPT0_PS3_Pfiifb.kd
    .uniform_work_group_size: 1
    .uses_dynamic_stack: false
    .vgpr_count:     44
    .vgpr_spill_count: 0
    .wavefront_size: 64
  - .agpr_count:     0
    .args:
      - .actual_access:  write_only
        .address_space:  global
        .offset:         0
        .size:           8
        .value_kind:     global_buffer
      - .actual_access:  read_only
        .address_space:  global
        .offset:         8
        .size:           8
        .value_kind:     global_buffer
      - .actual_access:  write_only
        .address_space:  global
        .offset:         16
        .size:           8
        .value_kind:     global_buffer
      - .offset:         24
        .size:           4
        .value_kind:     by_value
      - .offset:         28
        .size:           4
        .value_kind:     by_value
      - .offset:         32
        .size:           4
        .value_kind:     by_value
      - .offset:         36
        .size:           1
        .value_kind:     by_value
      - .offset:         40
        .size:           4
        .value_kind:     hidden_block_count_x
      - .offset:         44
        .size:           4
        .value_kind:     hidden_block_count_y
      - .offset:         48
        .size:           4
        .value_kind:     hidden_block_count_z
      - .offset:         52
        .size:           2
        .value_kind:     hidden_group_size_x
      - .offset:         54
        .size:           2
        .value_kind:     hidden_group_size_y
      - .offset:         56
        .size:           2
        .value_kind:     hidden_group_size_z
      - .offset:         58
        .size:           2
        .value_kind:     hidden_remainder_x
      - .offset:         60
        .size:           2
        .value_kind:     hidden_remainder_y
      - .offset:         62
        .size:           2
        .value_kind:     hidden_remainder_z
      - .offset:         80
        .size:           8
        .value_kind:     hidden_global_offset_x
      - .offset:         88
        .size:           8
        .value_kind:     hidden_global_offset_y
      - .offset:         96
        .size:           8
        .value_kind:     hidden_global_offset_z
      - .offset:         104
        .size:           2
        .value_kind:     hidden_grid_dims
    .group_segment_fixed_size: 0
    .kernarg_segment_align: 8
    .kernarg_segment_size: 296
    .language:       OpenCL C
    .language_version:
      - 2
      - 0
    .max_flat_workgroup_size: 1024
    .name:           _ZN5aiter24act_and_mul_quant_kernelIDF16_DB8_TnPFfRKT_EXadL_ZNS_11silu_kernelIDF16_EEfS4_EELi256ELi32ELb1EEEvPT0_PS3_Pfiifb
    .private_segment_fixed_size: 0
    .sgpr_count:     32
    .sgpr_spill_count: 0
    .symbol:         _ZN5aiter24act_and_mul_quant_kernelIDF16_DB8_TnPFfRKT_EXadL_ZNS_11silu_kernelIDF16_EEfS4_EELi256ELi32ELb1EEEvPT0_PS3_Pfiifb.kd
    .uniform_work_group_size: 1
    .uses_dynamic_stack: false
    .vgpr_count:     56
    .vgpr_spill_count: 0
    .wavefront_size: 64
  - .agpr_count:     0
    .args:
      - .actual_access:  write_only
        .address_space:  global
        .offset:         0
        .size:           8
        .value_kind:     global_buffer
      - .actual_access:  read_only
        .address_space:  global
        .offset:         8
        .size:           8
        .value_kind:     global_buffer
      - .actual_access:  write_only
        .address_space:  global
        .offset:         16
        .size:           8
        .value_kind:     global_buffer
      - .offset:         24
        .size:           4
        .value_kind:     by_value
      - .offset:         28
        .size:           4
        .value_kind:     by_value
      - .offset:         32
        .size:           4
        .value_kind:     by_value
      - .offset:         36
        .size:           1
        .value_kind:     by_value
      - .offset:         40
        .size:           4
        .value_kind:     hidden_block_count_x
      - .offset:         44
        .size:           4
        .value_kind:     hidden_block_count_y
      - .offset:         48
        .size:           4
        .value_kind:     hidden_block_count_z
      - .offset:         52
        .size:           2
        .value_kind:     hidden_group_size_x
      - .offset:         54
        .size:           2
        .value_kind:     hidden_group_size_y
      - .offset:         56
        .size:           2
        .value_kind:     hidden_group_size_z
      - .offset:         58
        .size:           2
        .value_kind:     hidden_remainder_x
      - .offset:         60
        .size:           2
        .value_kind:     hidden_remainder_y
      - .offset:         62
        .size:           2
        .value_kind:     hidden_remainder_z
      - .offset:         80
        .size:           8
        .value_kind:     hidden_global_offset_x
      - .offset:         88
        .size:           8
        .value_kind:     hidden_global_offset_y
      - .offset:         96
        .size:           8
        .value_kind:     hidden_global_offset_z
      - .offset:         104
        .size:           2
        .value_kind:     hidden_grid_dims
    .group_segment_fixed_size: 0
    .kernarg_segment_align: 8
    .kernarg_segment_size: 296
    .language:       OpenCL C
    .language_version:
      - 2
      - 0
    .max_flat_workgroup_size: 1024
    .name:           _ZN5aiter24act_and_mul_quant_kernelItDB8_TnPFfRKT_EXadL_ZNS_11silu_kernelItEEfS4_EELi256ELi32ELb1EEEvPT0_PS3_Pfiifb
    .private_segment_fixed_size: 0
    .sgpr_count:     31
    .sgpr_spill_count: 0
    .symbol:         _ZN5aiter24act_and_mul_quant_kernelItDB8_TnPFfRKT_EXadL_ZNS_11silu_kernelItEEfS4_EELi256ELi32ELb1EEEvPT0_PS3_Pfiifb.kd
    .uniform_work_group_size: 1
    .uses_dynamic_stack: false
    .vgpr_count:     52
    .vgpr_spill_count: 0
    .wavefront_size: 64
  - .agpr_count:     0
    .args:
      - .actual_access:  write_only
        .address_space:  global
        .offset:         0
        .size:           8
        .value_kind:     global_buffer
      - .actual_access:  read_only
        .address_space:  global
        .offset:         8
        .size:           8
        .value_kind:     global_buffer
      - .actual_access:  write_only
        .address_space:  global
        .offset:         16
        .size:           8
        .value_kind:     global_buffer
      - .offset:         24
        .size:           4
        .value_kind:     by_value
      - .offset:         28
        .size:           4
        .value_kind:     by_value
      - .offset:         32
        .size:           4
        .value_kind:     by_value
      - .offset:         36
        .size:           1
        .value_kind:     by_value
      - .offset:         40
        .size:           4
        .value_kind:     hidden_block_count_x
      - .offset:         44
        .size:           4
        .value_kind:     hidden_block_count_y
      - .offset:         48
        .size:           4
        .value_kind:     hidden_block_count_z
      - .offset:         52
        .size:           2
        .value_kind:     hidden_group_size_x
      - .offset:         54
        .size:           2
        .value_kind:     hidden_group_size_y
      - .offset:         56
        .size:           2
        .value_kind:     hidden_group_size_z
      - .offset:         58
        .size:           2
        .value_kind:     hidden_remainder_x
      - .offset:         60
        .size:           2
        .value_kind:     hidden_remainder_y
      - .offset:         62
        .size:           2
        .value_kind:     hidden_remainder_z
      - .offset:         80
        .size:           8
        .value_kind:     hidden_global_offset_x
      - .offset:         88
        .size:           8
        .value_kind:     hidden_global_offset_y
      - .offset:         96
        .size:           8
        .value_kind:     hidden_global_offset_z
      - .offset:         104
        .size:           2
        .value_kind:     hidden_grid_dims
    .group_segment_fixed_size: 0
    .kernarg_segment_align: 8
    .kernarg_segment_size: 296
    .language:       OpenCL C
    .language_version:
      - 2
      - 0
    .max_flat_workgroup_size: 1024
    .name:           _ZN5aiter24act_and_mul_quant_kernelIDF16_DB8_TnPFfRKT_EXadL_ZNS_11silu_kernelIDF16_EEfS4_EELi64ELi8ELb0EEEvPT0_PS3_Pfiifb
    .private_segment_fixed_size: 0
    .sgpr_count:     30
    .sgpr_spill_count: 0
    .symbol:         _ZN5aiter24act_and_mul_quant_kernelIDF16_DB8_TnPFfRKT_EXadL_ZNS_11silu_kernelIDF16_EEfS4_EELi64ELi8ELb0EEEvPT0_PS3_Pfiifb.kd
    .uniform_work_group_size: 1
    .uses_dynamic_stack: false
    .vgpr_count:     34
    .vgpr_spill_count: 0
    .wavefront_size: 64
  - .agpr_count:     0
    .args:
      - .actual_access:  write_only
        .address_space:  global
        .offset:         0
        .size:           8
        .value_kind:     global_buffer
      - .actual_access:  read_only
        .address_space:  global
        .offset:         8
        .size:           8
        .value_kind:     global_buffer
      - .actual_access:  write_only
        .address_space:  global
        .offset:         16
        .size:           8
        .value_kind:     global_buffer
      - .offset:         24
        .size:           4
        .value_kind:     by_value
      - .offset:         28
        .size:           4
        .value_kind:     by_value
      - .offset:         32
        .size:           4
        .value_kind:     by_value
      - .offset:         36
        .size:           1
        .value_kind:     by_value
      - .offset:         40
        .size:           4
        .value_kind:     hidden_block_count_x
      - .offset:         44
        .size:           4
        .value_kind:     hidden_block_count_y
      - .offset:         48
        .size:           4
        .value_kind:     hidden_block_count_z
      - .offset:         52
        .size:           2
        .value_kind:     hidden_group_size_x
      - .offset:         54
        .size:           2
        .value_kind:     hidden_group_size_y
      - .offset:         56
        .size:           2
        .value_kind:     hidden_group_size_z
      - .offset:         58
        .size:           2
        .value_kind:     hidden_remainder_x
      - .offset:         60
        .size:           2
        .value_kind:     hidden_remainder_y
      - .offset:         62
        .size:           2
        .value_kind:     hidden_remainder_z
      - .offset:         80
        .size:           8
        .value_kind:     hidden_global_offset_x
      - .offset:         88
        .size:           8
        .value_kind:     hidden_global_offset_y
      - .offset:         96
        .size:           8
        .value_kind:     hidden_global_offset_z
      - .offset:         104
        .size:           2
        .value_kind:     hidden_grid_dims
    .group_segment_fixed_size: 0
    .kernarg_segment_align: 8
    .kernarg_segment_size: 296
    .language:       OpenCL C
    .language_version:
      - 2
      - 0
    .max_flat_workgroup_size: 1024
    .name:           _ZN5aiter24act_and_mul_quant_kernelItDB8_TnPFfRKT_EXadL_ZNS_11silu_kernelItEEfS4_EELi64ELi8ELb0EEEvPT0_PS3_Pfiifb
    .private_segment_fixed_size: 0
    .sgpr_count:     30
    .sgpr_spill_count: 0
    .symbol:         _ZN5aiter24act_and_mul_quant_kernelItDB8_TnPFfRKT_EXadL_ZNS_11silu_kernelItEEfS4_EELi64ELi8ELb0EEEvPT0_PS3_Pfiifb.kd
    .uniform_work_group_size: 1
    .uses_dynamic_stack: false
    .vgpr_count:     32
    .vgpr_spill_count: 0
    .wavefront_size: 64
  - .agpr_count:     0
    .args:
      - .actual_access:  write_only
        .address_space:  global
        .offset:         0
        .size:           8
        .value_kind:     global_buffer
      - .actual_access:  read_only
        .address_space:  global
        .offset:         8
        .size:           8
        .value_kind:     global_buffer
      - .actual_access:  write_only
        .address_space:  global
        .offset:         16
        .size:           8
        .value_kind:     global_buffer
      - .offset:         24
        .size:           4
        .value_kind:     by_value
      - .offset:         28
        .size:           4
        .value_kind:     by_value
      - .offset:         32
        .size:           4
        .value_kind:     by_value
      - .offset:         36
        .size:           1
        .value_kind:     by_value
      - .offset:         40
        .size:           4
        .value_kind:     hidden_block_count_x
      - .offset:         44
        .size:           4
        .value_kind:     hidden_block_count_y
      - .offset:         48
        .size:           4
        .value_kind:     hidden_block_count_z
      - .offset:         52
        .size:           2
        .value_kind:     hidden_group_size_x
      - .offset:         54
        .size:           2
        .value_kind:     hidden_group_size_y
      - .offset:         56
        .size:           2
        .value_kind:     hidden_group_size_z
      - .offset:         58
        .size:           2
        .value_kind:     hidden_remainder_x
      - .offset:         60
        .size:           2
        .value_kind:     hidden_remainder_y
      - .offset:         62
        .size:           2
        .value_kind:     hidden_remainder_z
      - .offset:         80
        .size:           8
        .value_kind:     hidden_global_offset_x
      - .offset:         88
        .size:           8
        .value_kind:     hidden_global_offset_y
      - .offset:         96
        .size:           8
        .value_kind:     hidden_global_offset_z
      - .offset:         104
        .size:           2
        .value_kind:     hidden_grid_dims
    .group_segment_fixed_size: 0
    .kernarg_segment_align: 8
    .kernarg_segment_size: 296
    .language:       OpenCL C
    .language_version:
      - 2
      - 0
    .max_flat_workgroup_size: 1024
    .name:           _ZN5aiter24act_and_mul_quant_kernelIDF16_DB8_TnPFfRKT_EXadL_ZNS_11silu_kernelIDF16_EEfS4_EELi128ELi8ELb0EEEvPT0_PS3_Pfiifb
    .private_segment_fixed_size: 0
    .sgpr_count:     30
    .sgpr_spill_count: 0
    .symbol:         _ZN5aiter24act_and_mul_quant_kernelIDF16_DB8_TnPFfRKT_EXadL_ZNS_11silu_kernelIDF16_EEfS4_EELi128ELi8ELb0EEEvPT0_PS3_Pfiifb.kd
    .uniform_work_group_size: 1
    .uses_dynamic_stack: false
    .vgpr_count:     34
    .vgpr_spill_count: 0
    .wavefront_size: 64
  - .agpr_count:     0
    .args:
      - .actual_access:  write_only
        .address_space:  global
        .offset:         0
        .size:           8
        .value_kind:     global_buffer
      - .actual_access:  read_only
        .address_space:  global
        .offset:         8
        .size:           8
        .value_kind:     global_buffer
      - .actual_access:  write_only
        .address_space:  global
        .offset:         16
        .size:           8
        .value_kind:     global_buffer
      - .offset:         24
        .size:           4
        .value_kind:     by_value
      - .offset:         28
        .size:           4
        .value_kind:     by_value
      - .offset:         32
        .size:           4
        .value_kind:     by_value
      - .offset:         36
        .size:           1
        .value_kind:     by_value
      - .offset:         40
        .size:           4
        .value_kind:     hidden_block_count_x
      - .offset:         44
        .size:           4
        .value_kind:     hidden_block_count_y
      - .offset:         48
        .size:           4
        .value_kind:     hidden_block_count_z
      - .offset:         52
        .size:           2
        .value_kind:     hidden_group_size_x
      - .offset:         54
        .size:           2
        .value_kind:     hidden_group_size_y
      - .offset:         56
        .size:           2
        .value_kind:     hidden_group_size_z
      - .offset:         58
        .size:           2
        .value_kind:     hidden_remainder_x
      - .offset:         60
        .size:           2
        .value_kind:     hidden_remainder_y
      - .offset:         62
        .size:           2
        .value_kind:     hidden_remainder_z
      - .offset:         80
        .size:           8
        .value_kind:     hidden_global_offset_x
      - .offset:         88
        .size:           8
        .value_kind:     hidden_global_offset_y
      - .offset:         96
        .size:           8
        .value_kind:     hidden_global_offset_z
      - .offset:         104
        .size:           2
        .value_kind:     hidden_grid_dims
    .group_segment_fixed_size: 0
    .kernarg_segment_align: 8
    .kernarg_segment_size: 296
    .language:       OpenCL C
    .language_version:
      - 2
      - 0
    .max_flat_workgroup_size: 1024
    .name:           _ZN5aiter24act_and_mul_quant_kernelItDB8_TnPFfRKT_EXadL_ZNS_11silu_kernelItEEfS4_EELi128ELi8ELb0EEEvPT0_PS3_Pfiifb
    .private_segment_fixed_size: 0
    .sgpr_count:     30
    .sgpr_spill_count: 0
    .symbol:         _ZN5aiter24act_and_mul_quant_kernelItDB8_TnPFfRKT_EXadL_ZNS_11silu_kernelItEEfS4_EELi128ELi8ELb0EEEvPT0_PS3_Pfiifb.kd
    .uniform_work_group_size: 1
    .uses_dynamic_stack: false
    .vgpr_count:     32
    .vgpr_spill_count: 0
    .wavefront_size: 64
  - .agpr_count:     0
    .args:
      - .actual_access:  write_only
        .address_space:  global
        .offset:         0
        .size:           8
        .value_kind:     global_buffer
      - .actual_access:  read_only
        .address_space:  global
        .offset:         8
        .size:           8
        .value_kind:     global_buffer
      - .actual_access:  write_only
        .address_space:  global
        .offset:         16
        .size:           8
        .value_kind:     global_buffer
      - .offset:         24
        .size:           4
        .value_kind:     by_value
      - .offset:         28
        .size:           4
        .value_kind:     by_value
      - .offset:         32
        .size:           4
        .value_kind:     by_value
      - .offset:         36
        .size:           1
        .value_kind:     by_value
      - .offset:         40
        .size:           4
        .value_kind:     hidden_block_count_x
      - .offset:         44
        .size:           4
        .value_kind:     hidden_block_count_y
      - .offset:         48
        .size:           4
        .value_kind:     hidden_block_count_z
      - .offset:         52
        .size:           2
        .value_kind:     hidden_group_size_x
      - .offset:         54
        .size:           2
        .value_kind:     hidden_group_size_y
      - .offset:         56
        .size:           2
        .value_kind:     hidden_group_size_z
      - .offset:         58
        .size:           2
        .value_kind:     hidden_remainder_x
      - .offset:         60
        .size:           2
        .value_kind:     hidden_remainder_y
      - .offset:         62
        .size:           2
        .value_kind:     hidden_remainder_z
      - .offset:         80
        .size:           8
        .value_kind:     hidden_global_offset_x
      - .offset:         88
        .size:           8
        .value_kind:     hidden_global_offset_y
      - .offset:         96
        .size:           8
        .value_kind:     hidden_global_offset_z
      - .offset:         104
        .size:           2
        .value_kind:     hidden_grid_dims
    .group_segment_fixed_size: 0
    .kernarg_segment_align: 8
    .kernarg_segment_size: 296
    .language:       OpenCL C
    .language_version:
      - 2
      - 0
    .max_flat_workgroup_size: 1024
    .name:           _ZN5aiter24act_and_mul_quant_kernelIDF16_DB8_TnPFfRKT_EXadL_ZNS_11silu_kernelIDF16_EEfS4_EELi256ELi8ELb0EEEvPT0_PS3_Pfiifb
    .private_segment_fixed_size: 0
    .sgpr_count:     30
    .sgpr_spill_count: 0
    .symbol:         _ZN5aiter24act_and_mul_quant_kernelIDF16_DB8_TnPFfRKT_EXadL_ZNS_11silu_kernelIDF16_EEfS4_EELi256ELi8ELb0EEEvPT0_PS3_Pfiifb.kd
    .uniform_work_group_size: 1
    .uses_dynamic_stack: false
    .vgpr_count:     34
    .vgpr_spill_count: 0
    .wavefront_size: 64
  - .agpr_count:     0
    .args:
      - .actual_access:  write_only
        .address_space:  global
        .offset:         0
        .size:           8
        .value_kind:     global_buffer
      - .actual_access:  read_only
        .address_space:  global
        .offset:         8
        .size:           8
        .value_kind:     global_buffer
      - .actual_access:  write_only
        .address_space:  global
        .offset:         16
        .size:           8
        .value_kind:     global_buffer
      - .offset:         24
        .size:           4
        .value_kind:     by_value
      - .offset:         28
        .size:           4
        .value_kind:     by_value
      - .offset:         32
        .size:           4
        .value_kind:     by_value
      - .offset:         36
        .size:           1
        .value_kind:     by_value
      - .offset:         40
        .size:           4
        .value_kind:     hidden_block_count_x
      - .offset:         44
        .size:           4
        .value_kind:     hidden_block_count_y
      - .offset:         48
        .size:           4
        .value_kind:     hidden_block_count_z
      - .offset:         52
        .size:           2
        .value_kind:     hidden_group_size_x
      - .offset:         54
        .size:           2
        .value_kind:     hidden_group_size_y
      - .offset:         56
        .size:           2
        .value_kind:     hidden_group_size_z
      - .offset:         58
        .size:           2
        .value_kind:     hidden_remainder_x
      - .offset:         60
        .size:           2
        .value_kind:     hidden_remainder_y
      - .offset:         62
        .size:           2
        .value_kind:     hidden_remainder_z
      - .offset:         80
        .size:           8
        .value_kind:     hidden_global_offset_x
      - .offset:         88
        .size:           8
        .value_kind:     hidden_global_offset_y
      - .offset:         96
        .size:           8
        .value_kind:     hidden_global_offset_z
      - .offset:         104
        .size:           2
        .value_kind:     hidden_grid_dims
    .group_segment_fixed_size: 0
    .kernarg_segment_align: 8
    .kernarg_segment_size: 296
    .language:       OpenCL C
    .language_version:
      - 2
      - 0
    .max_flat_workgroup_size: 1024
    .name:           _ZN5aiter24act_and_mul_quant_kernelItDB8_TnPFfRKT_EXadL_ZNS_11silu_kernelItEEfS4_EELi256ELi8ELb0EEEvPT0_PS3_Pfiifb
    .private_segment_fixed_size: 0
    .sgpr_count:     30
    .sgpr_spill_count: 0
    .symbol:         _ZN5aiter24act_and_mul_quant_kernelItDB8_TnPFfRKT_EXadL_ZNS_11silu_kernelItEEfS4_EELi256ELi8ELb0EEEvPT0_PS3_Pfiifb.kd
    .uniform_work_group_size: 1
    .uses_dynamic_stack: false
    .vgpr_count:     32
    .vgpr_spill_count: 0
    .wavefront_size: 64
  - .agpr_count:     0
    .args:
      - .actual_access:  write_only
        .address_space:  global
        .offset:         0
        .size:           8
        .value_kind:     global_buffer
      - .actual_access:  read_only
        .address_space:  global
        .offset:         8
        .size:           8
        .value_kind:     global_buffer
      - .actual_access:  write_only
        .address_space:  global
        .offset:         16
        .size:           8
        .value_kind:     global_buffer
      - .offset:         24
        .size:           4
        .value_kind:     by_value
      - .offset:         28
        .size:           4
        .value_kind:     by_value
      - .offset:         32
        .size:           4
        .value_kind:     by_value
      - .offset:         36
        .size:           1
        .value_kind:     by_value
      - .offset:         40
        .size:           4
        .value_kind:     hidden_block_count_x
      - .offset:         44
        .size:           4
        .value_kind:     hidden_block_count_y
      - .offset:         48
        .size:           4
        .value_kind:     hidden_block_count_z
      - .offset:         52
        .size:           2
        .value_kind:     hidden_group_size_x
      - .offset:         54
        .size:           2
        .value_kind:     hidden_group_size_y
      - .offset:         56
        .size:           2
        .value_kind:     hidden_group_size_z
      - .offset:         58
        .size:           2
        .value_kind:     hidden_remainder_x
      - .offset:         60
        .size:           2
        .value_kind:     hidden_remainder_y
      - .offset:         62
        .size:           2
        .value_kind:     hidden_remainder_z
      - .offset:         80
        .size:           8
        .value_kind:     hidden_global_offset_x
      - .offset:         88
        .size:           8
        .value_kind:     hidden_global_offset_y
      - .offset:         96
        .size:           8
        .value_kind:     hidden_global_offset_z
      - .offset:         104
        .size:           2
        .value_kind:     hidden_grid_dims
    .group_segment_fixed_size: 0
    .kernarg_segment_align: 8
    .kernarg_segment_size: 296
    .language:       OpenCL C
    .language_version:
      - 2
      - 0
    .max_flat_workgroup_size: 1024
    .name:           _ZN5aiter24act_and_mul_quant_kernelIDF16_DB8_TnPFfRKT_EXadL_ZNS_11silu_kernelIDF16_EEfS4_EELi256ELi16ELb0EEEvPT0_PS3_Pfiifb
    .private_segment_fixed_size: 0
    .sgpr_count:     30
    .sgpr_spill_count: 0
    .symbol:         _ZN5aiter24act_and_mul_quant_kernelIDF16_DB8_TnPFfRKT_EXadL_ZNS_11silu_kernelIDF16_EEfS4_EELi256ELi16ELb0EEEvPT0_PS3_Pfiifb.kd
    .uniform_work_group_size: 1
    .uses_dynamic_stack: false
    .vgpr_count:     41
    .vgpr_spill_count: 0
    .wavefront_size: 64
  - .agpr_count:     0
    .args:
      - .actual_access:  write_only
        .address_space:  global
        .offset:         0
        .size:           8
        .value_kind:     global_buffer
      - .actual_access:  read_only
        .address_space:  global
        .offset:         8
        .size:           8
        .value_kind:     global_buffer
      - .actual_access:  write_only
        .address_space:  global
        .offset:         16
        .size:           8
        .value_kind:     global_buffer
      - .offset:         24
        .size:           4
        .value_kind:     by_value
      - .offset:         28
        .size:           4
        .value_kind:     by_value
      - .offset:         32
        .size:           4
        .value_kind:     by_value
      - .offset:         36
        .size:           1
        .value_kind:     by_value
      - .offset:         40
        .size:           4
        .value_kind:     hidden_block_count_x
      - .offset:         44
        .size:           4
        .value_kind:     hidden_block_count_y
      - .offset:         48
        .size:           4
        .value_kind:     hidden_block_count_z
      - .offset:         52
        .size:           2
        .value_kind:     hidden_group_size_x
      - .offset:         54
        .size:           2
        .value_kind:     hidden_group_size_y
      - .offset:         56
        .size:           2
        .value_kind:     hidden_group_size_z
      - .offset:         58
        .size:           2
        .value_kind:     hidden_remainder_x
      - .offset:         60
        .size:           2
        .value_kind:     hidden_remainder_y
      - .offset:         62
        .size:           2
        .value_kind:     hidden_remainder_z
      - .offset:         80
        .size:           8
        .value_kind:     hidden_global_offset_x
      - .offset:         88
        .size:           8
        .value_kind:     hidden_global_offset_y
      - .offset:         96
        .size:           8
        .value_kind:     hidden_global_offset_z
      - .offset:         104
        .size:           2
        .value_kind:     hidden_grid_dims
    .group_segment_fixed_size: 0
    .kernarg_segment_align: 8
    .kernarg_segment_size: 296
    .language:       OpenCL C
    .language_version:
      - 2
      - 0
    .max_flat_workgroup_size: 1024
    .name:           _ZN5aiter24act_and_mul_quant_kernelItDB8_TnPFfRKT_EXadL_ZNS_11silu_kernelItEEfS4_EELi256ELi16ELb0EEEvPT0_PS3_Pfiifb
    .private_segment_fixed_size: 0
    .sgpr_count:     29
    .sgpr_spill_count: 0
    .symbol:         _ZN5aiter24act_and_mul_quant_kernelItDB8_TnPFfRKT_EXadL_ZNS_11silu_kernelItEEfS4_EELi256ELi16ELb0EEEvPT0_PS3_Pfiifb.kd
    .uniform_work_group_size: 1
    .uses_dynamic_stack: false
    .vgpr_count:     40
    .vgpr_spill_count: 0
    .wavefront_size: 64
  - .agpr_count:     0
    .args:
      - .actual_access:  write_only
        .address_space:  global
        .offset:         0
        .size:           8
        .value_kind:     global_buffer
      - .actual_access:  read_only
        .address_space:  global
        .offset:         8
        .size:           8
        .value_kind:     global_buffer
      - .actual_access:  write_only
        .address_space:  global
        .offset:         16
        .size:           8
        .value_kind:     global_buffer
      - .offset:         24
        .size:           4
        .value_kind:     by_value
      - .offset:         28
        .size:           4
        .value_kind:     by_value
      - .offset:         32
        .size:           4
        .value_kind:     by_value
      - .offset:         36
        .size:           1
        .value_kind:     by_value
      - .offset:         40
        .size:           4
        .value_kind:     hidden_block_count_x
      - .offset:         44
        .size:           4
        .value_kind:     hidden_block_count_y
      - .offset:         48
        .size:           4
        .value_kind:     hidden_block_count_z
      - .offset:         52
        .size:           2
        .value_kind:     hidden_group_size_x
      - .offset:         54
        .size:           2
        .value_kind:     hidden_group_size_y
      - .offset:         56
        .size:           2
        .value_kind:     hidden_group_size_z
      - .offset:         58
        .size:           2
        .value_kind:     hidden_remainder_x
      - .offset:         60
        .size:           2
        .value_kind:     hidden_remainder_y
      - .offset:         62
        .size:           2
        .value_kind:     hidden_remainder_z
      - .offset:         80
        .size:           8
        .value_kind:     hidden_global_offset_x
      - .offset:         88
        .size:           8
        .value_kind:     hidden_global_offset_y
      - .offset:         96
        .size:           8
        .value_kind:     hidden_global_offset_z
      - .offset:         104
        .size:           2
        .value_kind:     hidden_grid_dims
    .group_segment_fixed_size: 0
    .kernarg_segment_align: 8
    .kernarg_segment_size: 296
    .language:       OpenCL C
    .language_version:
      - 2
      - 0
    .max_flat_workgroup_size: 1024
    .name:           _ZN5aiter24act_and_mul_quant_kernelIDF16_DB8_TnPFfRKT_EXadL_ZNS_11silu_kernelIDF16_EEfS4_EELi256ELi24ELb0EEEvPT0_PS3_Pfiifb
    .private_segment_fixed_size: 0
    .sgpr_count:     30
    .sgpr_spill_count: 0
    .symbol:         _ZN5aiter24act_and_mul_quant_kernelIDF16_DB8_TnPFfRKT_EXadL_ZNS_11silu_kernelIDF16_EEfS4_EELi256ELi24ELb0EEEvPT0_PS3_Pfiifb.kd
    .uniform_work_group_size: 1
    .uses_dynamic_stack: false
    .vgpr_count:     49
    .vgpr_spill_count: 0
    .wavefront_size: 64
  - .agpr_count:     0
    .args:
      - .actual_access:  write_only
        .address_space:  global
        .offset:         0
        .size:           8
        .value_kind:     global_buffer
      - .actual_access:  read_only
        .address_space:  global
        .offset:         8
        .size:           8
        .value_kind:     global_buffer
      - .actual_access:  write_only
        .address_space:  global
        .offset:         16
        .size:           8
        .value_kind:     global_buffer
      - .offset:         24
        .size:           4
        .value_kind:     by_value
      - .offset:         28
        .size:           4
        .value_kind:     by_value
      - .offset:         32
        .size:           4
        .value_kind:     by_value
      - .offset:         36
        .size:           1
        .value_kind:     by_value
      - .offset:         40
        .size:           4
        .value_kind:     hidden_block_count_x
      - .offset:         44
        .size:           4
        .value_kind:     hidden_block_count_y
      - .offset:         48
        .size:           4
        .value_kind:     hidden_block_count_z
      - .offset:         52
        .size:           2
        .value_kind:     hidden_group_size_x
      - .offset:         54
        .size:           2
        .value_kind:     hidden_group_size_y
      - .offset:         56
        .size:           2
        .value_kind:     hidden_group_size_z
      - .offset:         58
        .size:           2
        .value_kind:     hidden_remainder_x
      - .offset:         60
        .size:           2
        .value_kind:     hidden_remainder_y
      - .offset:         62
        .size:           2
        .value_kind:     hidden_remainder_z
      - .offset:         80
        .size:           8
        .value_kind:     hidden_global_offset_x
      - .offset:         88
        .size:           8
        .value_kind:     hidden_global_offset_y
      - .offset:         96
        .size:           8
        .value_kind:     hidden_global_offset_z
      - .offset:         104
        .size:           2
        .value_kind:     hidden_grid_dims
    .group_segment_fixed_size: 0
    .kernarg_segment_align: 8
    .kernarg_segment_size: 296
    .language:       OpenCL C
    .language_version:
      - 2
      - 0
    .max_flat_workgroup_size: 1024
    .name:           _ZN5aiter24act_and_mul_quant_kernelItDB8_TnPFfRKT_EXadL_ZNS_11silu_kernelItEEfS4_EELi256ELi24ELb0EEEvPT0_PS3_Pfiifb
    .private_segment_fixed_size: 0
    .sgpr_count:     29
    .sgpr_spill_count: 0
    .symbol:         _ZN5aiter24act_and_mul_quant_kernelItDB8_TnPFfRKT_EXadL_ZNS_11silu_kernelItEEfS4_EELi256ELi24ELb0EEEvPT0_PS3_Pfiifb.kd
    .uniform_work_group_size: 1
    .uses_dynamic_stack: false
    .vgpr_count:     47
    .vgpr_spill_count: 0
    .wavefront_size: 64
  - .agpr_count:     0
    .args:
      - .actual_access:  write_only
        .address_space:  global
        .offset:         0
        .size:           8
        .value_kind:     global_buffer
      - .actual_access:  read_only
        .address_space:  global
        .offset:         8
        .size:           8
        .value_kind:     global_buffer
      - .actual_access:  write_only
        .address_space:  global
        .offset:         16
        .size:           8
        .value_kind:     global_buffer
      - .offset:         24
        .size:           4
        .value_kind:     by_value
      - .offset:         28
        .size:           4
        .value_kind:     by_value
      - .offset:         32
        .size:           4
        .value_kind:     by_value
      - .offset:         36
        .size:           1
        .value_kind:     by_value
      - .offset:         40
        .size:           4
        .value_kind:     hidden_block_count_x
      - .offset:         44
        .size:           4
        .value_kind:     hidden_block_count_y
      - .offset:         48
        .size:           4
        .value_kind:     hidden_block_count_z
      - .offset:         52
        .size:           2
        .value_kind:     hidden_group_size_x
      - .offset:         54
        .size:           2
        .value_kind:     hidden_group_size_y
      - .offset:         56
        .size:           2
        .value_kind:     hidden_group_size_z
      - .offset:         58
        .size:           2
        .value_kind:     hidden_remainder_x
      - .offset:         60
        .size:           2
        .value_kind:     hidden_remainder_y
      - .offset:         62
        .size:           2
        .value_kind:     hidden_remainder_z
      - .offset:         80
        .size:           8
        .value_kind:     hidden_global_offset_x
      - .offset:         88
        .size:           8
        .value_kind:     hidden_global_offset_y
      - .offset:         96
        .size:           8
        .value_kind:     hidden_global_offset_z
      - .offset:         104
        .size:           2
        .value_kind:     hidden_grid_dims
    .group_segment_fixed_size: 0
    .kernarg_segment_align: 8
    .kernarg_segment_size: 296
    .language:       OpenCL C
    .language_version:
      - 2
      - 0
    .max_flat_workgroup_size: 1024
    .name:           _ZN5aiter24act_and_mul_quant_kernelIDF16_DB8_TnPFfRKT_EXadL_ZNS_11silu_kernelIDF16_EEfS4_EELi256ELi32ELb0EEEvPT0_PS3_Pfiifb
    .private_segment_fixed_size: 0
    .sgpr_count:     30
    .sgpr_spill_count: 0
    .symbol:         _ZN5aiter24act_and_mul_quant_kernelIDF16_DB8_TnPFfRKT_EXadL_ZNS_11silu_kernelIDF16_EEfS4_EELi256ELi32ELb0EEEvPT0_PS3_Pfiifb.kd
    .uniform_work_group_size: 1
    .uses_dynamic_stack: false
    .vgpr_count:     56
    .vgpr_spill_count: 0
    .wavefront_size: 64
  - .agpr_count:     0
    .args:
      - .actual_access:  write_only
        .address_space:  global
        .offset:         0
        .size:           8
        .value_kind:     global_buffer
      - .actual_access:  read_only
        .address_space:  global
        .offset:         8
        .size:           8
        .value_kind:     global_buffer
      - .actual_access:  write_only
        .address_space:  global
        .offset:         16
        .size:           8
        .value_kind:     global_buffer
      - .offset:         24
        .size:           4
        .value_kind:     by_value
      - .offset:         28
        .size:           4
        .value_kind:     by_value
      - .offset:         32
        .size:           4
        .value_kind:     by_value
      - .offset:         36
        .size:           1
        .value_kind:     by_value
      - .offset:         40
        .size:           4
        .value_kind:     hidden_block_count_x
      - .offset:         44
        .size:           4
        .value_kind:     hidden_block_count_y
      - .offset:         48
        .size:           4
        .value_kind:     hidden_block_count_z
      - .offset:         52
        .size:           2
        .value_kind:     hidden_group_size_x
      - .offset:         54
        .size:           2
        .value_kind:     hidden_group_size_y
      - .offset:         56
        .size:           2
        .value_kind:     hidden_group_size_z
      - .offset:         58
        .size:           2
        .value_kind:     hidden_remainder_x
      - .offset:         60
        .size:           2
        .value_kind:     hidden_remainder_y
      - .offset:         62
        .size:           2
        .value_kind:     hidden_remainder_z
      - .offset:         80
        .size:           8
        .value_kind:     hidden_global_offset_x
      - .offset:         88
        .size:           8
        .value_kind:     hidden_global_offset_y
      - .offset:         96
        .size:           8
        .value_kind:     hidden_global_offset_z
      - .offset:         104
        .size:           2
        .value_kind:     hidden_grid_dims
    .group_segment_fixed_size: 0
    .kernarg_segment_align: 8
    .kernarg_segment_size: 296
    .language:       OpenCL C
    .language_version:
      - 2
      - 0
    .max_flat_workgroup_size: 1024
    .name:           _ZN5aiter24act_and_mul_quant_kernelItDB8_TnPFfRKT_EXadL_ZNS_11silu_kernelItEEfS4_EELi256ELi32ELb0EEEvPT0_PS3_Pfiifb
    .private_segment_fixed_size: 0
    .sgpr_count:     29
    .sgpr_spill_count: 0
    .symbol:         _ZN5aiter24act_and_mul_quant_kernelItDB8_TnPFfRKT_EXadL_ZNS_11silu_kernelItEEfS4_EELi256ELi32ELb0EEEvPT0_PS3_Pfiifb.kd
    .uniform_work_group_size: 1
    .uses_dynamic_stack: false
    .vgpr_count:     53
    .vgpr_spill_count: 0
    .wavefront_size: 64
  - .agpr_count:     0
    .args:
      - .actual_access:  write_only
        .address_space:  global
        .offset:         0
        .size:           8
        .value_kind:     global_buffer
      - .actual_access:  read_only
        .address_space:  global
        .offset:         8
        .size:           8
        .value_kind:     global_buffer
      - .offset:         16
        .size:           4
        .value_kind:     by_value
      - .offset:         20
        .size:           4
        .value_kind:     by_value
      - .offset:         24
        .size:           4
        .value_kind:     hidden_block_count_x
      - .offset:         28
        .size:           4
        .value_kind:     hidden_block_count_y
      - .offset:         32
        .size:           4
        .value_kind:     hidden_block_count_z
      - .offset:         36
        .size:           2
        .value_kind:     hidden_group_size_x
      - .offset:         38
        .size:           2
        .value_kind:     hidden_group_size_y
      - .offset:         40
        .size:           2
        .value_kind:     hidden_group_size_z
      - .offset:         42
        .size:           2
        .value_kind:     hidden_remainder_x
      - .offset:         44
        .size:           2
        .value_kind:     hidden_remainder_y
      - .offset:         46
        .size:           2
        .value_kind:     hidden_remainder_z
      - .offset:         64
        .size:           8
        .value_kind:     hidden_global_offset_x
      - .offset:         72
        .size:           8
        .value_kind:     hidden_global_offset_y
      - .offset:         80
        .size:           8
        .value_kind:     hidden_global_offset_z
      - .offset:         88
        .size:           2
        .value_kind:     hidden_grid_dims
    .group_segment_fixed_size: 0
    .kernarg_segment_align: 8
    .kernarg_segment_size: 280
    .language:       OpenCL C
    .language_version:
      - 2
      - 0
    .max_flat_workgroup_size: 1024
    .name:           _ZN5aiter18act_and_mul_kernelIftTnPFfRKT_EXadL_ZNS_11gelu_kernelIfEEfS3_EELi16ELb0ELi0EEEvPT0_PS2_if
    .private_segment_fixed_size: 0
    .sgpr_count:     42
    .sgpr_spill_count: 0
    .symbol:         _ZN5aiter18act_and_mul_kernelIftTnPFfRKT_EXadL_ZNS_11gelu_kernelIfEEfS3_EELi16ELb0ELi0EEEvPT0_PS2_if.kd
    .uniform_work_group_size: 1
    .uses_dynamic_stack: false
    .vgpr_count:     44
    .vgpr_spill_count: 0
    .wavefront_size: 64
  - .agpr_count:     0
    .args:
      - .actual_access:  write_only
        .address_space:  global
        .offset:         0
        .size:           8
        .value_kind:     global_buffer
      - .actual_access:  read_only
        .address_space:  global
        .offset:         8
        .size:           8
        .value_kind:     global_buffer
      - .offset:         16
        .size:           4
        .value_kind:     by_value
      - .offset:         20
        .size:           4
        .value_kind:     by_value
      - .offset:         24
        .size:           4
        .value_kind:     hidden_block_count_x
      - .offset:         28
        .size:           4
        .value_kind:     hidden_block_count_y
      - .offset:         32
        .size:           4
        .value_kind:     hidden_block_count_z
      - .offset:         36
        .size:           2
        .value_kind:     hidden_group_size_x
      - .offset:         38
        .size:           2
        .value_kind:     hidden_group_size_y
      - .offset:         40
        .size:           2
        .value_kind:     hidden_group_size_z
      - .offset:         42
        .size:           2
        .value_kind:     hidden_remainder_x
      - .offset:         44
        .size:           2
        .value_kind:     hidden_remainder_y
      - .offset:         46
        .size:           2
        .value_kind:     hidden_remainder_z
      - .offset:         64
        .size:           8
        .value_kind:     hidden_global_offset_x
      - .offset:         72
        .size:           8
        .value_kind:     hidden_global_offset_y
      - .offset:         80
        .size:           8
        .value_kind:     hidden_global_offset_z
      - .offset:         88
        .size:           2
        .value_kind:     hidden_grid_dims
    .group_segment_fixed_size: 0
    .kernarg_segment_align: 8
    .kernarg_segment_size: 280
    .language:       OpenCL C
    .language_version:
      - 2
      - 0
    .max_flat_workgroup_size: 1024
    .name:           _ZN5aiter18act_and_mul_kernelIftTnPFfRKT_EXadL_ZNS_11gelu_kernelIfEEfS3_EELi8ELb0ELi0EEEvPT0_PS2_if
    .private_segment_fixed_size: 0
    .sgpr_count:     42
    .sgpr_spill_count: 0
    .symbol:         _ZN5aiter18act_and_mul_kernelIftTnPFfRKT_EXadL_ZNS_11gelu_kernelIfEEfS3_EELi8ELb0ELi0EEEvPT0_PS2_if.kd
    .uniform_work_group_size: 1
    .uses_dynamic_stack: false
    .vgpr_count:     28
    .vgpr_spill_count: 0
    .wavefront_size: 64
  - .agpr_count:     0
    .args:
      - .actual_access:  write_only
        .address_space:  global
        .offset:         0
        .size:           8
        .value_kind:     global_buffer
      - .actual_access:  read_only
        .address_space:  global
        .offset:         8
        .size:           8
        .value_kind:     global_buffer
      - .offset:         16
        .size:           4
        .value_kind:     by_value
      - .offset:         20
        .size:           4
        .value_kind:     by_value
      - .offset:         24
        .size:           4
        .value_kind:     hidden_block_count_x
      - .offset:         28
        .size:           4
        .value_kind:     hidden_block_count_y
      - .offset:         32
        .size:           4
        .value_kind:     hidden_block_count_z
      - .offset:         36
        .size:           2
        .value_kind:     hidden_group_size_x
      - .offset:         38
        .size:           2
        .value_kind:     hidden_group_size_y
      - .offset:         40
        .size:           2
        .value_kind:     hidden_group_size_z
      - .offset:         42
        .size:           2
        .value_kind:     hidden_remainder_x
      - .offset:         44
        .size:           2
        .value_kind:     hidden_remainder_y
      - .offset:         46
        .size:           2
        .value_kind:     hidden_remainder_z
      - .offset:         64
        .size:           8
        .value_kind:     hidden_global_offset_x
      - .offset:         72
        .size:           8
        .value_kind:     hidden_global_offset_y
      - .offset:         80
        .size:           8
        .value_kind:     hidden_global_offset_z
      - .offset:         88
        .size:           2
        .value_kind:     hidden_grid_dims
    .group_segment_fixed_size: 0
    .kernarg_segment_align: 8
    .kernarg_segment_size: 280
    .language:       OpenCL C
    .language_version:
      - 2
      - 0
    .max_flat_workgroup_size: 1024
    .name:           _ZN5aiter18act_and_mul_kernelIftTnPFfRKT_EXadL_ZNS_11gelu_kernelIfEEfS3_EELi4ELb0ELi0EEEvPT0_PS2_if
    .private_segment_fixed_size: 0
    .sgpr_count:     42
    .sgpr_spill_count: 0
    .symbol:         _ZN5aiter18act_and_mul_kernelIftTnPFfRKT_EXadL_ZNS_11gelu_kernelIfEEfS3_EELi4ELb0ELi0EEEvPT0_PS2_if.kd
    .uniform_work_group_size: 1
    .uses_dynamic_stack: false
    .vgpr_count:     20
    .vgpr_spill_count: 0
    .wavefront_size: 64
  - .agpr_count:     0
    .args:
      - .actual_access:  write_only
        .address_space:  global
        .offset:         0
        .size:           8
        .value_kind:     global_buffer
      - .actual_access:  read_only
        .address_space:  global
        .offset:         8
        .size:           8
        .value_kind:     global_buffer
      - .offset:         16
        .size:           4
        .value_kind:     by_value
      - .offset:         20
        .size:           4
        .value_kind:     by_value
      - .offset:         24
        .size:           4
        .value_kind:     hidden_block_count_x
      - .offset:         28
        .size:           4
        .value_kind:     hidden_block_count_y
      - .offset:         32
        .size:           4
        .value_kind:     hidden_block_count_z
      - .offset:         36
        .size:           2
        .value_kind:     hidden_group_size_x
      - .offset:         38
        .size:           2
        .value_kind:     hidden_group_size_y
      - .offset:         40
        .size:           2
        .value_kind:     hidden_group_size_z
      - .offset:         42
        .size:           2
        .value_kind:     hidden_remainder_x
      - .offset:         44
        .size:           2
        .value_kind:     hidden_remainder_y
      - .offset:         46
        .size:           2
        .value_kind:     hidden_remainder_z
      - .offset:         64
        .size:           8
        .value_kind:     hidden_global_offset_x
      - .offset:         72
        .size:           8
        .value_kind:     hidden_global_offset_y
      - .offset:         80
        .size:           8
        .value_kind:     hidden_global_offset_z
      - .offset:         88
        .size:           2
        .value_kind:     hidden_grid_dims
    .group_segment_fixed_size: 0
    .kernarg_segment_align: 8
    .kernarg_segment_size: 280
    .language:       OpenCL C
    .language_version:
      - 2
      - 0
    .max_flat_workgroup_size: 1024
    .name:           _ZN5aiter18act_and_mul_kernelIftTnPFfRKT_EXadL_ZNS_11gelu_kernelIfEEfS3_EELi2ELb0ELi0EEEvPT0_PS2_if
    .private_segment_fixed_size: 0
    .sgpr_count:     44
    .sgpr_spill_count: 0
    .symbol:         _ZN5aiter18act_and_mul_kernelIftTnPFfRKT_EXadL_ZNS_11gelu_kernelIfEEfS3_EELi2ELb0ELi0EEEvPT0_PS2_if.kd
    .uniform_work_group_size: 1
    .uses_dynamic_stack: false
    .vgpr_count:     17
    .vgpr_spill_count: 0
    .wavefront_size: 64
  - .agpr_count:     0
    .args:
      - .actual_access:  write_only
        .address_space:  global
        .offset:         0
        .size:           8
        .value_kind:     global_buffer
      - .actual_access:  read_only
        .address_space:  global
        .offset:         8
        .size:           8
        .value_kind:     global_buffer
      - .offset:         16
        .size:           4
        .value_kind:     by_value
      - .offset:         20
        .size:           4
        .value_kind:     by_value
      - .offset:         24
        .size:           4
        .value_kind:     hidden_block_count_x
      - .offset:         28
        .size:           4
        .value_kind:     hidden_block_count_y
      - .offset:         32
        .size:           4
        .value_kind:     hidden_block_count_z
      - .offset:         36
        .size:           2
        .value_kind:     hidden_group_size_x
      - .offset:         38
        .size:           2
        .value_kind:     hidden_group_size_y
      - .offset:         40
        .size:           2
        .value_kind:     hidden_group_size_z
      - .offset:         42
        .size:           2
        .value_kind:     hidden_remainder_x
      - .offset:         44
        .size:           2
        .value_kind:     hidden_remainder_y
      - .offset:         46
        .size:           2
        .value_kind:     hidden_remainder_z
      - .offset:         64
        .size:           8
        .value_kind:     hidden_global_offset_x
      - .offset:         72
        .size:           8
        .value_kind:     hidden_global_offset_y
      - .offset:         80
        .size:           8
        .value_kind:     hidden_global_offset_z
      - .offset:         88
        .size:           2
        .value_kind:     hidden_grid_dims
    .group_segment_fixed_size: 0
    .kernarg_segment_align: 8
    .kernarg_segment_size: 280
    .language:       OpenCL C
    .language_version:
      - 2
      - 0
    .max_flat_workgroup_size: 1024
    .name:           _ZN5aiter18act_and_mul_kernelIftTnPFfRKT_EXadL_ZNS_11gelu_kernelIfEEfS3_EELi1ELb0ELi0EEEvPT0_PS2_if
    .private_segment_fixed_size: 0
    .sgpr_count:     42
    .sgpr_spill_count: 0
    .symbol:         _ZN5aiter18act_and_mul_kernelIftTnPFfRKT_EXadL_ZNS_11gelu_kernelIfEEfS3_EELi1ELb0ELi0EEEvPT0_PS2_if.kd
    .uniform_work_group_size: 1
    .uses_dynamic_stack: false
    .vgpr_count:     14
    .vgpr_spill_count: 0
    .wavefront_size: 64
  - .agpr_count:     0
    .args:
      - .actual_access:  write_only
        .address_space:  global
        .offset:         0
        .size:           8
        .value_kind:     global_buffer
      - .actual_access:  read_only
        .address_space:  global
        .offset:         8
        .size:           8
        .value_kind:     global_buffer
      - .offset:         16
        .size:           4
        .value_kind:     by_value
      - .offset:         20
        .size:           4
        .value_kind:     by_value
      - .offset:         24
        .size:           4
        .value_kind:     hidden_block_count_x
      - .offset:         28
        .size:           4
        .value_kind:     hidden_block_count_y
      - .offset:         32
        .size:           4
        .value_kind:     hidden_block_count_z
      - .offset:         36
        .size:           2
        .value_kind:     hidden_group_size_x
      - .offset:         38
        .size:           2
        .value_kind:     hidden_group_size_y
      - .offset:         40
        .size:           2
        .value_kind:     hidden_group_size_z
      - .offset:         42
        .size:           2
        .value_kind:     hidden_remainder_x
      - .offset:         44
        .size:           2
        .value_kind:     hidden_remainder_y
      - .offset:         46
        .size:           2
        .value_kind:     hidden_remainder_z
      - .offset:         64
        .size:           8
        .value_kind:     hidden_global_offset_x
      - .offset:         72
        .size:           8
        .value_kind:     hidden_global_offset_y
      - .offset:         80
        .size:           8
        .value_kind:     hidden_global_offset_z
      - .offset:         88
        .size:           2
        .value_kind:     hidden_grid_dims
    .group_segment_fixed_size: 0
    .kernarg_segment_align: 8
    .kernarg_segment_size: 280
    .language:       OpenCL C
    .language_version:
      - 2
      - 0
    .max_flat_workgroup_size: 1024
    .name:           _ZN5aiter18act_and_mul_kernelIfDF16_TnPFfRKT_EXadL_ZNS_11gelu_kernelIfEEfS3_EELi16ELb0ELi0EEEvPT0_PS2_if
    .private_segment_fixed_size: 0
    .sgpr_count:     42
    .sgpr_spill_count: 0
    .symbol:         _ZN5aiter18act_and_mul_kernelIfDF16_TnPFfRKT_EXadL_ZNS_11gelu_kernelIfEEfS3_EELi16ELb0ELi0EEEvPT0_PS2_if.kd
    .uniform_work_group_size: 1
    .uses_dynamic_stack: false
    .vgpr_count:     44
    .vgpr_spill_count: 0
    .wavefront_size: 64
  - .agpr_count:     0
    .args:
      - .actual_access:  write_only
        .address_space:  global
        .offset:         0
        .size:           8
        .value_kind:     global_buffer
      - .actual_access:  read_only
        .address_space:  global
        .offset:         8
        .size:           8
        .value_kind:     global_buffer
      - .offset:         16
        .size:           4
        .value_kind:     by_value
      - .offset:         20
        .size:           4
        .value_kind:     by_value
      - .offset:         24
        .size:           4
        .value_kind:     hidden_block_count_x
      - .offset:         28
        .size:           4
        .value_kind:     hidden_block_count_y
      - .offset:         32
        .size:           4
        .value_kind:     hidden_block_count_z
      - .offset:         36
        .size:           2
        .value_kind:     hidden_group_size_x
      - .offset:         38
        .size:           2
        .value_kind:     hidden_group_size_y
      - .offset:         40
        .size:           2
        .value_kind:     hidden_group_size_z
      - .offset:         42
        .size:           2
        .value_kind:     hidden_remainder_x
      - .offset:         44
        .size:           2
        .value_kind:     hidden_remainder_y
      - .offset:         46
        .size:           2
        .value_kind:     hidden_remainder_z
      - .offset:         64
        .size:           8
        .value_kind:     hidden_global_offset_x
      - .offset:         72
        .size:           8
        .value_kind:     hidden_global_offset_y
      - .offset:         80
        .size:           8
        .value_kind:     hidden_global_offset_z
      - .offset:         88
        .size:           2
        .value_kind:     hidden_grid_dims
    .group_segment_fixed_size: 0
    .kernarg_segment_align: 8
    .kernarg_segment_size: 280
    .language:       OpenCL C
    .language_version:
      - 2
      - 0
    .max_flat_workgroup_size: 1024
    .name:           _ZN5aiter18act_and_mul_kernelIfDF16_TnPFfRKT_EXadL_ZNS_11gelu_kernelIfEEfS3_EELi8ELb0ELi0EEEvPT0_PS2_if
    .private_segment_fixed_size: 0
    .sgpr_count:     42
    .sgpr_spill_count: 0
    .symbol:         _ZN5aiter18act_and_mul_kernelIfDF16_TnPFfRKT_EXadL_ZNS_11gelu_kernelIfEEfS3_EELi8ELb0ELi0EEEvPT0_PS2_if.kd
    .uniform_work_group_size: 1
    .uses_dynamic_stack: false
    .vgpr_count:     28
    .vgpr_spill_count: 0
    .wavefront_size: 64
  - .agpr_count:     0
    .args:
      - .actual_access:  write_only
        .address_space:  global
        .offset:         0
        .size:           8
        .value_kind:     global_buffer
      - .actual_access:  read_only
        .address_space:  global
        .offset:         8
        .size:           8
        .value_kind:     global_buffer
      - .offset:         16
        .size:           4
        .value_kind:     by_value
      - .offset:         20
        .size:           4
        .value_kind:     by_value
      - .offset:         24
        .size:           4
        .value_kind:     hidden_block_count_x
      - .offset:         28
        .size:           4
        .value_kind:     hidden_block_count_y
      - .offset:         32
        .size:           4
        .value_kind:     hidden_block_count_z
      - .offset:         36
        .size:           2
        .value_kind:     hidden_group_size_x
      - .offset:         38
        .size:           2
        .value_kind:     hidden_group_size_y
      - .offset:         40
        .size:           2
        .value_kind:     hidden_group_size_z
      - .offset:         42
        .size:           2
        .value_kind:     hidden_remainder_x
      - .offset:         44
        .size:           2
        .value_kind:     hidden_remainder_y
      - .offset:         46
        .size:           2
        .value_kind:     hidden_remainder_z
      - .offset:         64
        .size:           8
        .value_kind:     hidden_global_offset_x
      - .offset:         72
        .size:           8
        .value_kind:     hidden_global_offset_y
      - .offset:         80
        .size:           8
        .value_kind:     hidden_global_offset_z
      - .offset:         88
        .size:           2
        .value_kind:     hidden_grid_dims
    .group_segment_fixed_size: 0
    .kernarg_segment_align: 8
    .kernarg_segment_size: 280
    .language:       OpenCL C
    .language_version:
      - 2
      - 0
    .max_flat_workgroup_size: 1024
    .name:           _ZN5aiter18act_and_mul_kernelIfDF16_TnPFfRKT_EXadL_ZNS_11gelu_kernelIfEEfS3_EELi4ELb0ELi0EEEvPT0_PS2_if
    .private_segment_fixed_size: 0
    .sgpr_count:     42
    .sgpr_spill_count: 0
    .symbol:         _ZN5aiter18act_and_mul_kernelIfDF16_TnPFfRKT_EXadL_ZNS_11gelu_kernelIfEEfS3_EELi4ELb0ELi0EEEvPT0_PS2_if.kd
    .uniform_work_group_size: 1
    .uses_dynamic_stack: false
    .vgpr_count:     20
    .vgpr_spill_count: 0
    .wavefront_size: 64
  - .agpr_count:     0
    .args:
      - .actual_access:  write_only
        .address_space:  global
        .offset:         0
        .size:           8
        .value_kind:     global_buffer
      - .actual_access:  read_only
        .address_space:  global
        .offset:         8
        .size:           8
        .value_kind:     global_buffer
      - .offset:         16
        .size:           4
        .value_kind:     by_value
      - .offset:         20
        .size:           4
        .value_kind:     by_value
      - .offset:         24
        .size:           4
        .value_kind:     hidden_block_count_x
      - .offset:         28
        .size:           4
        .value_kind:     hidden_block_count_y
      - .offset:         32
        .size:           4
        .value_kind:     hidden_block_count_z
      - .offset:         36
        .size:           2
        .value_kind:     hidden_group_size_x
      - .offset:         38
        .size:           2
        .value_kind:     hidden_group_size_y
      - .offset:         40
        .size:           2
        .value_kind:     hidden_group_size_z
      - .offset:         42
        .size:           2
        .value_kind:     hidden_remainder_x
      - .offset:         44
        .size:           2
        .value_kind:     hidden_remainder_y
      - .offset:         46
        .size:           2
        .value_kind:     hidden_remainder_z
      - .offset:         64
        .size:           8
        .value_kind:     hidden_global_offset_x
      - .offset:         72
        .size:           8
        .value_kind:     hidden_global_offset_y
      - .offset:         80
        .size:           8
        .value_kind:     hidden_global_offset_z
      - .offset:         88
        .size:           2
        .value_kind:     hidden_grid_dims
    .group_segment_fixed_size: 0
    .kernarg_segment_align: 8
    .kernarg_segment_size: 280
    .language:       OpenCL C
    .language_version:
      - 2
      - 0
    .max_flat_workgroup_size: 1024
    .name:           _ZN5aiter18act_and_mul_kernelIfDF16_TnPFfRKT_EXadL_ZNS_11gelu_kernelIfEEfS3_EELi2ELb0ELi0EEEvPT0_PS2_if
    .private_segment_fixed_size: 0
    .sgpr_count:     42
    .sgpr_spill_count: 0
    .symbol:         _ZN5aiter18act_and_mul_kernelIfDF16_TnPFfRKT_EXadL_ZNS_11gelu_kernelIfEEfS3_EELi2ELb0ELi0EEEvPT0_PS2_if.kd
    .uniform_work_group_size: 1
    .uses_dynamic_stack: false
    .vgpr_count:     17
    .vgpr_spill_count: 0
    .wavefront_size: 64
  - .agpr_count:     0
    .args:
      - .actual_access:  write_only
        .address_space:  global
        .offset:         0
        .size:           8
        .value_kind:     global_buffer
      - .actual_access:  read_only
        .address_space:  global
        .offset:         8
        .size:           8
        .value_kind:     global_buffer
      - .offset:         16
        .size:           4
        .value_kind:     by_value
      - .offset:         20
        .size:           4
        .value_kind:     by_value
      - .offset:         24
        .size:           4
        .value_kind:     hidden_block_count_x
      - .offset:         28
        .size:           4
        .value_kind:     hidden_block_count_y
      - .offset:         32
        .size:           4
        .value_kind:     hidden_block_count_z
      - .offset:         36
        .size:           2
        .value_kind:     hidden_group_size_x
      - .offset:         38
        .size:           2
        .value_kind:     hidden_group_size_y
      - .offset:         40
        .size:           2
        .value_kind:     hidden_group_size_z
      - .offset:         42
        .size:           2
        .value_kind:     hidden_remainder_x
      - .offset:         44
        .size:           2
        .value_kind:     hidden_remainder_y
      - .offset:         46
        .size:           2
        .value_kind:     hidden_remainder_z
      - .offset:         64
        .size:           8
        .value_kind:     hidden_global_offset_x
      - .offset:         72
        .size:           8
        .value_kind:     hidden_global_offset_y
      - .offset:         80
        .size:           8
        .value_kind:     hidden_global_offset_z
      - .offset:         88
        .size:           2
        .value_kind:     hidden_grid_dims
    .group_segment_fixed_size: 0
    .kernarg_segment_align: 8
    .kernarg_segment_size: 280
    .language:       OpenCL C
    .language_version:
      - 2
      - 0
    .max_flat_workgroup_size: 1024
    .name:           _ZN5aiter18act_and_mul_kernelIfDF16_TnPFfRKT_EXadL_ZNS_11gelu_kernelIfEEfS3_EELi1ELb0ELi0EEEvPT0_PS2_if
    .private_segment_fixed_size: 0
    .sgpr_count:     42
    .sgpr_spill_count: 0
    .symbol:         _ZN5aiter18act_and_mul_kernelIfDF16_TnPFfRKT_EXadL_ZNS_11gelu_kernelIfEEfS3_EELi1ELb0ELi0EEEvPT0_PS2_if.kd
    .uniform_work_group_size: 1
    .uses_dynamic_stack: false
    .vgpr_count:     14
    .vgpr_spill_count: 0
    .wavefront_size: 64
  - .agpr_count:     0
    .args:
      - .actual_access:  write_only
        .address_space:  global
        .offset:         0
        .size:           8
        .value_kind:     global_buffer
      - .actual_access:  read_only
        .address_space:  global
        .offset:         8
        .size:           8
        .value_kind:     global_buffer
      - .offset:         16
        .size:           4
        .value_kind:     by_value
      - .offset:         20
        .size:           4
        .value_kind:     by_value
      - .offset:         24
        .size:           4
        .value_kind:     hidden_block_count_x
      - .offset:         28
        .size:           4
        .value_kind:     hidden_block_count_y
      - .offset:         32
        .size:           4
        .value_kind:     hidden_block_count_z
      - .offset:         36
        .size:           2
        .value_kind:     hidden_group_size_x
      - .offset:         38
        .size:           2
        .value_kind:     hidden_group_size_y
      - .offset:         40
        .size:           2
        .value_kind:     hidden_group_size_z
      - .offset:         42
        .size:           2
        .value_kind:     hidden_remainder_x
      - .offset:         44
        .size:           2
        .value_kind:     hidden_remainder_y
      - .offset:         46
        .size:           2
        .value_kind:     hidden_remainder_z
      - .offset:         64
        .size:           8
        .value_kind:     hidden_global_offset_x
      - .offset:         72
        .size:           8
        .value_kind:     hidden_global_offset_y
      - .offset:         80
        .size:           8
        .value_kind:     hidden_global_offset_z
      - .offset:         88
        .size:           2
        .value_kind:     hidden_grid_dims
    .group_segment_fixed_size: 0
    .kernarg_segment_align: 8
    .kernarg_segment_size: 280
    .language:       OpenCL C
    .language_version:
      - 2
      - 0
    .max_flat_workgroup_size: 1024
    .name:           _ZN5aiter18act_and_mul_kernelIffTnPFfRKT_EXadL_ZNS_11gelu_kernelIfEEfS3_EELi16ELb0ELi0EEEvPT0_PS2_if
    .private_segment_fixed_size: 0
    .sgpr_count:     42
    .sgpr_spill_count: 0
    .symbol:         _ZN5aiter18act_and_mul_kernelIffTnPFfRKT_EXadL_ZNS_11gelu_kernelIfEEfS3_EELi16ELb0ELi0EEEvPT0_PS2_if.kd
    .uniform_work_group_size: 1
    .uses_dynamic_stack: false
    .vgpr_count:     45
    .vgpr_spill_count: 0
    .wavefront_size: 64
  - .agpr_count:     0
    .args:
      - .actual_access:  write_only
        .address_space:  global
        .offset:         0
        .size:           8
        .value_kind:     global_buffer
      - .actual_access:  read_only
        .address_space:  global
        .offset:         8
        .size:           8
        .value_kind:     global_buffer
      - .offset:         16
        .size:           4
        .value_kind:     by_value
      - .offset:         20
        .size:           4
        .value_kind:     by_value
      - .offset:         24
        .size:           4
        .value_kind:     hidden_block_count_x
      - .offset:         28
        .size:           4
        .value_kind:     hidden_block_count_y
      - .offset:         32
        .size:           4
        .value_kind:     hidden_block_count_z
      - .offset:         36
        .size:           2
        .value_kind:     hidden_group_size_x
      - .offset:         38
        .size:           2
        .value_kind:     hidden_group_size_y
      - .offset:         40
        .size:           2
        .value_kind:     hidden_group_size_z
      - .offset:         42
        .size:           2
        .value_kind:     hidden_remainder_x
      - .offset:         44
        .size:           2
        .value_kind:     hidden_remainder_y
      - .offset:         46
        .size:           2
        .value_kind:     hidden_remainder_z
      - .offset:         64
        .size:           8
        .value_kind:     hidden_global_offset_x
      - .offset:         72
        .size:           8
        .value_kind:     hidden_global_offset_y
      - .offset:         80
        .size:           8
        .value_kind:     hidden_global_offset_z
      - .offset:         88
        .size:           2
        .value_kind:     hidden_grid_dims
    .group_segment_fixed_size: 0
    .kernarg_segment_align: 8
    .kernarg_segment_size: 280
    .language:       OpenCL C
    .language_version:
      - 2
      - 0
    .max_flat_workgroup_size: 1024
    .name:           _ZN5aiter18act_and_mul_kernelIffTnPFfRKT_EXadL_ZNS_11gelu_kernelIfEEfS3_EELi8ELb0ELi0EEEvPT0_PS2_if
    .private_segment_fixed_size: 0
    .sgpr_count:     42
    .sgpr_spill_count: 0
    .symbol:         _ZN5aiter18act_and_mul_kernelIffTnPFfRKT_EXadL_ZNS_11gelu_kernelIfEEfS3_EELi8ELb0ELi0EEEvPT0_PS2_if.kd
    .uniform_work_group_size: 1
    .uses_dynamic_stack: false
    .vgpr_count:     29
    .vgpr_spill_count: 0
    .wavefront_size: 64
  - .agpr_count:     0
    .args:
      - .actual_access:  write_only
        .address_space:  global
        .offset:         0
        .size:           8
        .value_kind:     global_buffer
      - .actual_access:  read_only
        .address_space:  global
        .offset:         8
        .size:           8
        .value_kind:     global_buffer
      - .offset:         16
        .size:           4
        .value_kind:     by_value
      - .offset:         20
        .size:           4
        .value_kind:     by_value
      - .offset:         24
        .size:           4
        .value_kind:     hidden_block_count_x
      - .offset:         28
        .size:           4
        .value_kind:     hidden_block_count_y
      - .offset:         32
        .size:           4
        .value_kind:     hidden_block_count_z
      - .offset:         36
        .size:           2
        .value_kind:     hidden_group_size_x
      - .offset:         38
        .size:           2
        .value_kind:     hidden_group_size_y
      - .offset:         40
        .size:           2
        .value_kind:     hidden_group_size_z
      - .offset:         42
        .size:           2
        .value_kind:     hidden_remainder_x
      - .offset:         44
        .size:           2
        .value_kind:     hidden_remainder_y
      - .offset:         46
        .size:           2
        .value_kind:     hidden_remainder_z
      - .offset:         64
        .size:           8
        .value_kind:     hidden_global_offset_x
      - .offset:         72
        .size:           8
        .value_kind:     hidden_global_offset_y
      - .offset:         80
        .size:           8
        .value_kind:     hidden_global_offset_z
      - .offset:         88
        .size:           2
        .value_kind:     hidden_grid_dims
    .group_segment_fixed_size: 0
    .kernarg_segment_align: 8
    .kernarg_segment_size: 280
    .language:       OpenCL C
    .language_version:
      - 2
      - 0
    .max_flat_workgroup_size: 1024
    .name:           _ZN5aiter18act_and_mul_kernelIffTnPFfRKT_EXadL_ZNS_11gelu_kernelIfEEfS3_EELi4ELb0ELi0EEEvPT0_PS2_if
    .private_segment_fixed_size: 0
    .sgpr_count:     42
    .sgpr_spill_count: 0
    .symbol:         _ZN5aiter18act_and_mul_kernelIffTnPFfRKT_EXadL_ZNS_11gelu_kernelIfEEfS3_EELi4ELb0ELi0EEEvPT0_PS2_if.kd
    .uniform_work_group_size: 1
    .uses_dynamic_stack: false
    .vgpr_count:     21
    .vgpr_spill_count: 0
    .wavefront_size: 64
  - .agpr_count:     0
    .args:
      - .actual_access:  write_only
        .address_space:  global
        .offset:         0
        .size:           8
        .value_kind:     global_buffer
      - .actual_access:  read_only
        .address_space:  global
        .offset:         8
        .size:           8
        .value_kind:     global_buffer
      - .offset:         16
        .size:           4
        .value_kind:     by_value
      - .offset:         20
        .size:           4
        .value_kind:     by_value
      - .offset:         24
        .size:           4
        .value_kind:     hidden_block_count_x
      - .offset:         28
        .size:           4
        .value_kind:     hidden_block_count_y
      - .offset:         32
        .size:           4
        .value_kind:     hidden_block_count_z
      - .offset:         36
        .size:           2
        .value_kind:     hidden_group_size_x
      - .offset:         38
        .size:           2
        .value_kind:     hidden_group_size_y
      - .offset:         40
        .size:           2
        .value_kind:     hidden_group_size_z
      - .offset:         42
        .size:           2
        .value_kind:     hidden_remainder_x
      - .offset:         44
        .size:           2
        .value_kind:     hidden_remainder_y
      - .offset:         46
        .size:           2
        .value_kind:     hidden_remainder_z
      - .offset:         64
        .size:           8
        .value_kind:     hidden_global_offset_x
      - .offset:         72
        .size:           8
        .value_kind:     hidden_global_offset_y
      - .offset:         80
        .size:           8
        .value_kind:     hidden_global_offset_z
      - .offset:         88
        .size:           2
        .value_kind:     hidden_grid_dims
    .group_segment_fixed_size: 0
    .kernarg_segment_align: 8
    .kernarg_segment_size: 280
    .language:       OpenCL C
    .language_version:
      - 2
      - 0
    .max_flat_workgroup_size: 1024
    .name:           _ZN5aiter18act_and_mul_kernelIffTnPFfRKT_EXadL_ZNS_11gelu_kernelIfEEfS3_EELi2ELb0ELi0EEEvPT0_PS2_if
    .private_segment_fixed_size: 0
    .sgpr_count:     42
    .sgpr_spill_count: 0
    .symbol:         _ZN5aiter18act_and_mul_kernelIffTnPFfRKT_EXadL_ZNS_11gelu_kernelIfEEfS3_EELi2ELb0ELi0EEEvPT0_PS2_if.kd
    .uniform_work_group_size: 1
    .uses_dynamic_stack: false
    .vgpr_count:     18
    .vgpr_spill_count: 0
    .wavefront_size: 64
  - .agpr_count:     0
    .args:
      - .actual_access:  write_only
        .address_space:  global
        .offset:         0
        .size:           8
        .value_kind:     global_buffer
      - .actual_access:  read_only
        .address_space:  global
        .offset:         8
        .size:           8
        .value_kind:     global_buffer
      - .offset:         16
        .size:           4
        .value_kind:     by_value
      - .offset:         20
        .size:           4
        .value_kind:     by_value
      - .offset:         24
        .size:           4
        .value_kind:     hidden_block_count_x
      - .offset:         28
        .size:           4
        .value_kind:     hidden_block_count_y
      - .offset:         32
        .size:           4
        .value_kind:     hidden_block_count_z
      - .offset:         36
        .size:           2
        .value_kind:     hidden_group_size_x
      - .offset:         38
        .size:           2
        .value_kind:     hidden_group_size_y
      - .offset:         40
        .size:           2
        .value_kind:     hidden_group_size_z
      - .offset:         42
        .size:           2
        .value_kind:     hidden_remainder_x
      - .offset:         44
        .size:           2
        .value_kind:     hidden_remainder_y
      - .offset:         46
        .size:           2
        .value_kind:     hidden_remainder_z
      - .offset:         64
        .size:           8
        .value_kind:     hidden_global_offset_x
      - .offset:         72
        .size:           8
        .value_kind:     hidden_global_offset_y
      - .offset:         80
        .size:           8
        .value_kind:     hidden_global_offset_z
      - .offset:         88
        .size:           2
        .value_kind:     hidden_grid_dims
    .group_segment_fixed_size: 0
    .kernarg_segment_align: 8
    .kernarg_segment_size: 280
    .language:       OpenCL C
    .language_version:
      - 2
      - 0
    .max_flat_workgroup_size: 1024
    .name:           _ZN5aiter18act_and_mul_kernelIffTnPFfRKT_EXadL_ZNS_11gelu_kernelIfEEfS3_EELi1ELb0ELi0EEEvPT0_PS2_if
    .private_segment_fixed_size: 0
    .sgpr_count:     42
    .sgpr_spill_count: 0
    .symbol:         _ZN5aiter18act_and_mul_kernelIffTnPFfRKT_EXadL_ZNS_11gelu_kernelIfEEfS3_EELi1ELb0ELi0EEEvPT0_PS2_if.kd
    .uniform_work_group_size: 1
    .uses_dynamic_stack: false
    .vgpr_count:     13
    .vgpr_spill_count: 0
    .wavefront_size: 64
  - .agpr_count:     0
    .args:
      - .actual_access:  write_only
        .address_space:  global
        .offset:         0
        .size:           8
        .value_kind:     global_buffer
      - .actual_access:  read_only
        .address_space:  global
        .offset:         8
        .size:           8
        .value_kind:     global_buffer
      - .offset:         16
        .size:           4
        .value_kind:     by_value
      - .offset:         20
        .size:           4
        .value_kind:     by_value
      - .offset:         24
        .size:           4
        .value_kind:     hidden_block_count_x
      - .offset:         28
        .size:           4
        .value_kind:     hidden_block_count_y
      - .offset:         32
        .size:           4
        .value_kind:     hidden_block_count_z
      - .offset:         36
        .size:           2
        .value_kind:     hidden_group_size_x
      - .offset:         38
        .size:           2
        .value_kind:     hidden_group_size_y
      - .offset:         40
        .size:           2
        .value_kind:     hidden_group_size_z
      - .offset:         42
        .size:           2
        .value_kind:     hidden_remainder_x
      - .offset:         44
        .size:           2
        .value_kind:     hidden_remainder_y
      - .offset:         46
        .size:           2
        .value_kind:     hidden_remainder_z
      - .offset:         64
        .size:           8
        .value_kind:     hidden_global_offset_x
      - .offset:         72
        .size:           8
        .value_kind:     hidden_global_offset_y
      - .offset:         80
        .size:           8
        .value_kind:     hidden_global_offset_z
      - .offset:         88
        .size:           2
        .value_kind:     hidden_grid_dims
    .group_segment_fixed_size: 0
    .kernarg_segment_align: 8
    .kernarg_segment_size: 280
    .language:       OpenCL C
    .language_version:
      - 2
      - 0
    .max_flat_workgroup_size: 1024
    .name:           _ZN5aiter18act_and_mul_kernelIDF16_DF16_TnPFfRKT_EXadL_ZNS_11gelu_kernelIDF16_EEfS3_EELi32ELb0ELi3EEEvPT0_PS2_if
    .private_segment_fixed_size: 0
    .sgpr_count:     42
    .sgpr_spill_count: 0
    .symbol:         _ZN5aiter18act_and_mul_kernelIDF16_DF16_TnPFfRKT_EXadL_ZNS_11gelu_kernelIDF16_EEfS3_EELi32ELb0ELi3EEEvPT0_PS2_if.kd
    .uniform_work_group_size: 1
    .uses_dynamic_stack: false
    .vgpr_count:     46
    .vgpr_spill_count: 0
    .wavefront_size: 64
  - .agpr_count:     0
    .args:
      - .actual_access:  write_only
        .address_space:  global
        .offset:         0
        .size:           8
        .value_kind:     global_buffer
      - .actual_access:  read_only
        .address_space:  global
        .offset:         8
        .size:           8
        .value_kind:     global_buffer
      - .offset:         16
        .size:           4
        .value_kind:     by_value
      - .offset:         20
        .size:           4
        .value_kind:     by_value
      - .offset:         24
        .size:           4
        .value_kind:     hidden_block_count_x
      - .offset:         28
        .size:           4
        .value_kind:     hidden_block_count_y
      - .offset:         32
        .size:           4
        .value_kind:     hidden_block_count_z
      - .offset:         36
        .size:           2
        .value_kind:     hidden_group_size_x
      - .offset:         38
        .size:           2
        .value_kind:     hidden_group_size_y
      - .offset:         40
        .size:           2
        .value_kind:     hidden_group_size_z
      - .offset:         42
        .size:           2
        .value_kind:     hidden_remainder_x
      - .offset:         44
        .size:           2
        .value_kind:     hidden_remainder_y
      - .offset:         46
        .size:           2
        .value_kind:     hidden_remainder_z
      - .offset:         64
        .size:           8
        .value_kind:     hidden_global_offset_x
      - .offset:         72
        .size:           8
        .value_kind:     hidden_global_offset_y
      - .offset:         80
        .size:           8
        .value_kind:     hidden_global_offset_z
      - .offset:         88
        .size:           2
        .value_kind:     hidden_grid_dims
    .group_segment_fixed_size: 0
    .kernarg_segment_align: 8
    .kernarg_segment_size: 280
    .language:       OpenCL C
    .language_version:
      - 2
      - 0
    .max_flat_workgroup_size: 1024
    .name:           _ZN5aiter18act_and_mul_kernelIDF16_DF16_TnPFfRKT_EXadL_ZNS_11gelu_kernelIDF16_EEfS3_EELi16ELb0ELi3EEEvPT0_PS2_if
    .private_segment_fixed_size: 0
    .sgpr_count:     42
    .sgpr_spill_count: 0
    .symbol:         _ZN5aiter18act_and_mul_kernelIDF16_DF16_TnPFfRKT_EXadL_ZNS_11gelu_kernelIDF16_EEfS3_EELi16ELb0ELi3EEEvPT0_PS2_if.kd
    .uniform_work_group_size: 1
    .uses_dynamic_stack: false
    .vgpr_count:     30
    .vgpr_spill_count: 0
    .wavefront_size: 64
  - .agpr_count:     0
    .args:
      - .actual_access:  write_only
        .address_space:  global
        .offset:         0
        .size:           8
        .value_kind:     global_buffer
      - .actual_access:  read_only
        .address_space:  global
        .offset:         8
        .size:           8
        .value_kind:     global_buffer
      - .offset:         16
        .size:           4
        .value_kind:     by_value
      - .offset:         20
        .size:           4
        .value_kind:     by_value
      - .offset:         24
        .size:           4
        .value_kind:     hidden_block_count_x
      - .offset:         28
        .size:           4
        .value_kind:     hidden_block_count_y
      - .offset:         32
        .size:           4
        .value_kind:     hidden_block_count_z
      - .offset:         36
        .size:           2
        .value_kind:     hidden_group_size_x
      - .offset:         38
        .size:           2
        .value_kind:     hidden_group_size_y
      - .offset:         40
        .size:           2
        .value_kind:     hidden_group_size_z
      - .offset:         42
        .size:           2
        .value_kind:     hidden_remainder_x
      - .offset:         44
        .size:           2
        .value_kind:     hidden_remainder_y
      - .offset:         46
        .size:           2
        .value_kind:     hidden_remainder_z
      - .offset:         64
        .size:           8
        .value_kind:     hidden_global_offset_x
      - .offset:         72
        .size:           8
        .value_kind:     hidden_global_offset_y
      - .offset:         80
        .size:           8
        .value_kind:     hidden_global_offset_z
      - .offset:         88
        .size:           2
        .value_kind:     hidden_grid_dims
    .group_segment_fixed_size: 0
    .kernarg_segment_align: 8
    .kernarg_segment_size: 280
    .language:       OpenCL C
    .language_version:
      - 2
      - 0
    .max_flat_workgroup_size: 1024
    .name:           _ZN5aiter18act_and_mul_kernelIDF16_DF16_TnPFfRKT_EXadL_ZNS_11gelu_kernelIDF16_EEfS3_EELi8ELb0ELi3EEEvPT0_PS2_if
    .private_segment_fixed_size: 0
    .sgpr_count:     42
    .sgpr_spill_count: 0
    .symbol:         _ZN5aiter18act_and_mul_kernelIDF16_DF16_TnPFfRKT_EXadL_ZNS_11gelu_kernelIDF16_EEfS3_EELi8ELb0ELi3EEEvPT0_PS2_if.kd
    .uniform_work_group_size: 1
    .uses_dynamic_stack: false
    .vgpr_count:     22
    .vgpr_spill_count: 0
    .wavefront_size: 64
  - .agpr_count:     0
    .args:
      - .actual_access:  write_only
        .address_space:  global
        .offset:         0
        .size:           8
        .value_kind:     global_buffer
      - .actual_access:  read_only
        .address_space:  global
        .offset:         8
        .size:           8
        .value_kind:     global_buffer
      - .offset:         16
        .size:           4
        .value_kind:     by_value
      - .offset:         20
        .size:           4
        .value_kind:     by_value
      - .offset:         24
        .size:           4
        .value_kind:     hidden_block_count_x
      - .offset:         28
        .size:           4
        .value_kind:     hidden_block_count_y
      - .offset:         32
        .size:           4
        .value_kind:     hidden_block_count_z
      - .offset:         36
        .size:           2
        .value_kind:     hidden_group_size_x
      - .offset:         38
        .size:           2
        .value_kind:     hidden_group_size_y
      - .offset:         40
        .size:           2
        .value_kind:     hidden_group_size_z
      - .offset:         42
        .size:           2
        .value_kind:     hidden_remainder_x
      - .offset:         44
        .size:           2
        .value_kind:     hidden_remainder_y
      - .offset:         46
        .size:           2
        .value_kind:     hidden_remainder_z
      - .offset:         64
        .size:           8
        .value_kind:     hidden_global_offset_x
      - .offset:         72
        .size:           8
        .value_kind:     hidden_global_offset_y
      - .offset:         80
        .size:           8
        .value_kind:     hidden_global_offset_z
      - .offset:         88
        .size:           2
        .value_kind:     hidden_grid_dims
    .group_segment_fixed_size: 0
    .kernarg_segment_align: 8
    .kernarg_segment_size: 280
    .language:       OpenCL C
    .language_version:
      - 2
      - 0
    .max_flat_workgroup_size: 1024
    .name:           _ZN5aiter18act_and_mul_kernelIDF16_DF16_TnPFfRKT_EXadL_ZNS_11gelu_kernelIDF16_EEfS3_EELi4ELb0ELi3EEEvPT0_PS2_if
    .private_segment_fixed_size: 0
    .sgpr_count:     42
    .sgpr_spill_count: 0
    .symbol:         _ZN5aiter18act_and_mul_kernelIDF16_DF16_TnPFfRKT_EXadL_ZNS_11gelu_kernelIDF16_EEfS3_EELi4ELb0ELi3EEEvPT0_PS2_if.kd
    .uniform_work_group_size: 1
    .uses_dynamic_stack: false
    .vgpr_count:     18
    .vgpr_spill_count: 0
    .wavefront_size: 64
  - .agpr_count:     0
    .args:
      - .actual_access:  write_only
        .address_space:  global
        .offset:         0
        .size:           8
        .value_kind:     global_buffer
      - .actual_access:  read_only
        .address_space:  global
        .offset:         8
        .size:           8
        .value_kind:     global_buffer
      - .offset:         16
        .size:           4
        .value_kind:     by_value
      - .offset:         20
        .size:           4
        .value_kind:     by_value
      - .offset:         24
        .size:           4
        .value_kind:     hidden_block_count_x
      - .offset:         28
        .size:           4
        .value_kind:     hidden_block_count_y
      - .offset:         32
        .size:           4
        .value_kind:     hidden_block_count_z
      - .offset:         36
        .size:           2
        .value_kind:     hidden_group_size_x
      - .offset:         38
        .size:           2
        .value_kind:     hidden_group_size_y
      - .offset:         40
        .size:           2
        .value_kind:     hidden_group_size_z
      - .offset:         42
        .size:           2
        .value_kind:     hidden_remainder_x
      - .offset:         44
        .size:           2
        .value_kind:     hidden_remainder_y
      - .offset:         46
        .size:           2
        .value_kind:     hidden_remainder_z
      - .offset:         64
        .size:           8
        .value_kind:     hidden_global_offset_x
      - .offset:         72
        .size:           8
        .value_kind:     hidden_global_offset_y
      - .offset:         80
        .size:           8
        .value_kind:     hidden_global_offset_z
      - .offset:         88
        .size:           2
        .value_kind:     hidden_grid_dims
    .group_segment_fixed_size: 0
    .kernarg_segment_align: 8
    .kernarg_segment_size: 280
    .language:       OpenCL C
    .language_version:
      - 2
      - 0
    .max_flat_workgroup_size: 1024
    .name:           _ZN5aiter18act_and_mul_kernelIDF16_DF16_TnPFfRKT_EXadL_ZNS_11gelu_kernelIDF16_EEfS3_EELi2ELb0ELi3EEEvPT0_PS2_if
    .private_segment_fixed_size: 0
    .sgpr_count:     42
    .sgpr_spill_count: 0
    .symbol:         _ZN5aiter18act_and_mul_kernelIDF16_DF16_TnPFfRKT_EXadL_ZNS_11gelu_kernelIDF16_EEfS3_EELi2ELb0ELi3EEEvPT0_PS2_if.kd
    .uniform_work_group_size: 1
    .uses_dynamic_stack: false
    .vgpr_count:     18
    .vgpr_spill_count: 0
    .wavefront_size: 64
  - .agpr_count:     0
    .args:
      - .actual_access:  write_only
        .address_space:  global
        .offset:         0
        .size:           8
        .value_kind:     global_buffer
      - .actual_access:  read_only
        .address_space:  global
        .offset:         8
        .size:           8
        .value_kind:     global_buffer
      - .offset:         16
        .size:           4
        .value_kind:     by_value
      - .offset:         20
        .size:           4
        .value_kind:     by_value
      - .offset:         24
        .size:           4
        .value_kind:     hidden_block_count_x
      - .offset:         28
        .size:           4
        .value_kind:     hidden_block_count_y
      - .offset:         32
        .size:           4
        .value_kind:     hidden_block_count_z
      - .offset:         36
        .size:           2
        .value_kind:     hidden_group_size_x
      - .offset:         38
        .size:           2
        .value_kind:     hidden_group_size_y
      - .offset:         40
        .size:           2
        .value_kind:     hidden_group_size_z
      - .offset:         42
        .size:           2
        .value_kind:     hidden_remainder_x
      - .offset:         44
        .size:           2
        .value_kind:     hidden_remainder_y
      - .offset:         46
        .size:           2
        .value_kind:     hidden_remainder_z
      - .offset:         64
        .size:           8
        .value_kind:     hidden_global_offset_x
      - .offset:         72
        .size:           8
        .value_kind:     hidden_global_offset_y
      - .offset:         80
        .size:           8
        .value_kind:     hidden_global_offset_z
      - .offset:         88
        .size:           2
        .value_kind:     hidden_grid_dims
    .group_segment_fixed_size: 0
    .kernarg_segment_align: 8
    .kernarg_segment_size: 280
    .language:       OpenCL C
    .language_version:
      - 2
      - 0
    .max_flat_workgroup_size: 1024
    .name:           _ZN5aiter18act_and_mul_kernelIDF16_DF16_TnPFfRKT_EXadL_ZNS_11gelu_kernelIDF16_EEfS3_EELi1ELb0ELi3EEEvPT0_PS2_if
    .private_segment_fixed_size: 0
    .sgpr_count:     42
    .sgpr_spill_count: 0
    .symbol:         _ZN5aiter18act_and_mul_kernelIDF16_DF16_TnPFfRKT_EXadL_ZNS_11gelu_kernelIDF16_EEfS3_EELi1ELb0ELi3EEEvPT0_PS2_if.kd
    .uniform_work_group_size: 1
    .uses_dynamic_stack: false
    .vgpr_count:     13
    .vgpr_spill_count: 0
    .wavefront_size: 64
  - .agpr_count:     0
    .args:
      - .actual_access:  write_only
        .address_space:  global
        .offset:         0
        .size:           8
        .value_kind:     global_buffer
      - .actual_access:  read_only
        .address_space:  global
        .offset:         8
        .size:           8
        .value_kind:     global_buffer
      - .offset:         16
        .size:           4
        .value_kind:     by_value
      - .offset:         20
        .size:           4
        .value_kind:     by_value
      - .offset:         24
        .size:           4
        .value_kind:     hidden_block_count_x
      - .offset:         28
        .size:           4
        .value_kind:     hidden_block_count_y
      - .offset:         32
        .size:           4
        .value_kind:     hidden_block_count_z
      - .offset:         36
        .size:           2
        .value_kind:     hidden_group_size_x
      - .offset:         38
        .size:           2
        .value_kind:     hidden_group_size_y
      - .offset:         40
        .size:           2
        .value_kind:     hidden_group_size_z
      - .offset:         42
        .size:           2
        .value_kind:     hidden_remainder_x
      - .offset:         44
        .size:           2
        .value_kind:     hidden_remainder_y
      - .offset:         46
        .size:           2
        .value_kind:     hidden_remainder_z
      - .offset:         64
        .size:           8
        .value_kind:     hidden_global_offset_x
      - .offset:         72
        .size:           8
        .value_kind:     hidden_global_offset_y
      - .offset:         80
        .size:           8
        .value_kind:     hidden_global_offset_z
      - .offset:         88
        .size:           2
        .value_kind:     hidden_grid_dims
    .group_segment_fixed_size: 0
    .kernarg_segment_align: 8
    .kernarg_segment_size: 280
    .language:       OpenCL C
    .language_version:
      - 2
      - 0
    .max_flat_workgroup_size: 1024
    .name:           _ZN5aiter18act_and_mul_kernelIttTnPFfRKT_EXadL_ZNS_11gelu_kernelItEEfS3_EELi32ELb0ELi3EEEvPT0_PS2_if
    .private_segment_fixed_size: 0
    .sgpr_count:     42
    .sgpr_spill_count: 0
    .symbol:         _ZN5aiter18act_and_mul_kernelIttTnPFfRKT_EXadL_ZNS_11gelu_kernelItEEfS3_EELi32ELb0ELi3EEEvPT0_PS2_if.kd
    .uniform_work_group_size: 1
    .uses_dynamic_stack: false
    .vgpr_count:     46
    .vgpr_spill_count: 0
    .wavefront_size: 64
  - .agpr_count:     0
    .args:
      - .actual_access:  write_only
        .address_space:  global
        .offset:         0
        .size:           8
        .value_kind:     global_buffer
      - .actual_access:  read_only
        .address_space:  global
        .offset:         8
        .size:           8
        .value_kind:     global_buffer
      - .offset:         16
        .size:           4
        .value_kind:     by_value
      - .offset:         20
        .size:           4
        .value_kind:     by_value
      - .offset:         24
        .size:           4
        .value_kind:     hidden_block_count_x
      - .offset:         28
        .size:           4
        .value_kind:     hidden_block_count_y
      - .offset:         32
        .size:           4
        .value_kind:     hidden_block_count_z
      - .offset:         36
        .size:           2
        .value_kind:     hidden_group_size_x
      - .offset:         38
        .size:           2
        .value_kind:     hidden_group_size_y
      - .offset:         40
        .size:           2
        .value_kind:     hidden_group_size_z
      - .offset:         42
        .size:           2
        .value_kind:     hidden_remainder_x
      - .offset:         44
        .size:           2
        .value_kind:     hidden_remainder_y
      - .offset:         46
        .size:           2
        .value_kind:     hidden_remainder_z
      - .offset:         64
        .size:           8
        .value_kind:     hidden_global_offset_x
      - .offset:         72
        .size:           8
        .value_kind:     hidden_global_offset_y
      - .offset:         80
        .size:           8
        .value_kind:     hidden_global_offset_z
      - .offset:         88
        .size:           2
        .value_kind:     hidden_grid_dims
    .group_segment_fixed_size: 0
    .kernarg_segment_align: 8
    .kernarg_segment_size: 280
    .language:       OpenCL C
    .language_version:
      - 2
      - 0
    .max_flat_workgroup_size: 1024
    .name:           _ZN5aiter18act_and_mul_kernelIttTnPFfRKT_EXadL_ZNS_11gelu_kernelItEEfS3_EELi16ELb0ELi3EEEvPT0_PS2_if
    .private_segment_fixed_size: 0
    .sgpr_count:     42
    .sgpr_spill_count: 0
    .symbol:         _ZN5aiter18act_and_mul_kernelIttTnPFfRKT_EXadL_ZNS_11gelu_kernelItEEfS3_EELi16ELb0ELi3EEEvPT0_PS2_if.kd
    .uniform_work_group_size: 1
    .uses_dynamic_stack: false
    .vgpr_count:     30
    .vgpr_spill_count: 0
    .wavefront_size: 64
  - .agpr_count:     0
    .args:
      - .actual_access:  write_only
        .address_space:  global
        .offset:         0
        .size:           8
        .value_kind:     global_buffer
      - .actual_access:  read_only
        .address_space:  global
        .offset:         8
        .size:           8
        .value_kind:     global_buffer
      - .offset:         16
        .size:           4
        .value_kind:     by_value
      - .offset:         20
        .size:           4
        .value_kind:     by_value
      - .offset:         24
        .size:           4
        .value_kind:     hidden_block_count_x
      - .offset:         28
        .size:           4
        .value_kind:     hidden_block_count_y
      - .offset:         32
        .size:           4
        .value_kind:     hidden_block_count_z
      - .offset:         36
        .size:           2
        .value_kind:     hidden_group_size_x
      - .offset:         38
        .size:           2
        .value_kind:     hidden_group_size_y
      - .offset:         40
        .size:           2
        .value_kind:     hidden_group_size_z
      - .offset:         42
        .size:           2
        .value_kind:     hidden_remainder_x
      - .offset:         44
        .size:           2
        .value_kind:     hidden_remainder_y
      - .offset:         46
        .size:           2
        .value_kind:     hidden_remainder_z
      - .offset:         64
        .size:           8
        .value_kind:     hidden_global_offset_x
      - .offset:         72
        .size:           8
        .value_kind:     hidden_global_offset_y
      - .offset:         80
        .size:           8
        .value_kind:     hidden_global_offset_z
      - .offset:         88
        .size:           2
        .value_kind:     hidden_grid_dims
    .group_segment_fixed_size: 0
    .kernarg_segment_align: 8
    .kernarg_segment_size: 280
    .language:       OpenCL C
    .language_version:
      - 2
      - 0
    .max_flat_workgroup_size: 1024
    .name:           _ZN5aiter18act_and_mul_kernelIttTnPFfRKT_EXadL_ZNS_11gelu_kernelItEEfS3_EELi8ELb0ELi3EEEvPT0_PS2_if
    .private_segment_fixed_size: 0
    .sgpr_count:     42
    .sgpr_spill_count: 0
    .symbol:         _ZN5aiter18act_and_mul_kernelIttTnPFfRKT_EXadL_ZNS_11gelu_kernelItEEfS3_EELi8ELb0ELi3EEEvPT0_PS2_if.kd
    .uniform_work_group_size: 1
    .uses_dynamic_stack: false
    .vgpr_count:     22
    .vgpr_spill_count: 0
    .wavefront_size: 64
  - .agpr_count:     0
    .args:
      - .actual_access:  write_only
        .address_space:  global
        .offset:         0
        .size:           8
        .value_kind:     global_buffer
      - .actual_access:  read_only
        .address_space:  global
        .offset:         8
        .size:           8
        .value_kind:     global_buffer
      - .offset:         16
        .size:           4
        .value_kind:     by_value
      - .offset:         20
        .size:           4
        .value_kind:     by_value
      - .offset:         24
        .size:           4
        .value_kind:     hidden_block_count_x
      - .offset:         28
        .size:           4
        .value_kind:     hidden_block_count_y
      - .offset:         32
        .size:           4
        .value_kind:     hidden_block_count_z
      - .offset:         36
        .size:           2
        .value_kind:     hidden_group_size_x
      - .offset:         38
        .size:           2
        .value_kind:     hidden_group_size_y
      - .offset:         40
        .size:           2
        .value_kind:     hidden_group_size_z
      - .offset:         42
        .size:           2
        .value_kind:     hidden_remainder_x
      - .offset:         44
        .size:           2
        .value_kind:     hidden_remainder_y
      - .offset:         46
        .size:           2
        .value_kind:     hidden_remainder_z
      - .offset:         64
        .size:           8
        .value_kind:     hidden_global_offset_x
      - .offset:         72
        .size:           8
        .value_kind:     hidden_global_offset_y
      - .offset:         80
        .size:           8
        .value_kind:     hidden_global_offset_z
      - .offset:         88
        .size:           2
        .value_kind:     hidden_grid_dims
    .group_segment_fixed_size: 0
    .kernarg_segment_align: 8
    .kernarg_segment_size: 280
    .language:       OpenCL C
    .language_version:
      - 2
      - 0
    .max_flat_workgroup_size: 1024
    .name:           _ZN5aiter18act_and_mul_kernelIttTnPFfRKT_EXadL_ZNS_11gelu_kernelItEEfS3_EELi4ELb0ELi3EEEvPT0_PS2_if
    .private_segment_fixed_size: 0
    .sgpr_count:     42
    .sgpr_spill_count: 0
    .symbol:         _ZN5aiter18act_and_mul_kernelIttTnPFfRKT_EXadL_ZNS_11gelu_kernelItEEfS3_EELi4ELb0ELi3EEEvPT0_PS2_if.kd
    .uniform_work_group_size: 1
    .uses_dynamic_stack: false
    .vgpr_count:     18
    .vgpr_spill_count: 0
    .wavefront_size: 64
  - .agpr_count:     0
    .args:
      - .actual_access:  write_only
        .address_space:  global
        .offset:         0
        .size:           8
        .value_kind:     global_buffer
      - .actual_access:  read_only
        .address_space:  global
        .offset:         8
        .size:           8
        .value_kind:     global_buffer
      - .offset:         16
        .size:           4
        .value_kind:     by_value
      - .offset:         20
        .size:           4
        .value_kind:     by_value
      - .offset:         24
        .size:           4
        .value_kind:     hidden_block_count_x
      - .offset:         28
        .size:           4
        .value_kind:     hidden_block_count_y
      - .offset:         32
        .size:           4
        .value_kind:     hidden_block_count_z
      - .offset:         36
        .size:           2
        .value_kind:     hidden_group_size_x
      - .offset:         38
        .size:           2
        .value_kind:     hidden_group_size_y
      - .offset:         40
        .size:           2
        .value_kind:     hidden_group_size_z
      - .offset:         42
        .size:           2
        .value_kind:     hidden_remainder_x
      - .offset:         44
        .size:           2
        .value_kind:     hidden_remainder_y
      - .offset:         46
        .size:           2
        .value_kind:     hidden_remainder_z
      - .offset:         64
        .size:           8
        .value_kind:     hidden_global_offset_x
      - .offset:         72
        .size:           8
        .value_kind:     hidden_global_offset_y
      - .offset:         80
        .size:           8
        .value_kind:     hidden_global_offset_z
      - .offset:         88
        .size:           2
        .value_kind:     hidden_grid_dims
    .group_segment_fixed_size: 0
    .kernarg_segment_align: 8
    .kernarg_segment_size: 280
    .language:       OpenCL C
    .language_version:
      - 2
      - 0
    .max_flat_workgroup_size: 1024
    .name:           _ZN5aiter18act_and_mul_kernelIttTnPFfRKT_EXadL_ZNS_11gelu_kernelItEEfS3_EELi2ELb0ELi3EEEvPT0_PS2_if
    .private_segment_fixed_size: 0
    .sgpr_count:     44
    .sgpr_spill_count: 0
    .symbol:         _ZN5aiter18act_and_mul_kernelIttTnPFfRKT_EXadL_ZNS_11gelu_kernelItEEfS3_EELi2ELb0ELi3EEEvPT0_PS2_if.kd
    .uniform_work_group_size: 1
    .uses_dynamic_stack: false
    .vgpr_count:     18
    .vgpr_spill_count: 0
    .wavefront_size: 64
  - .agpr_count:     0
    .args:
      - .actual_access:  write_only
        .address_space:  global
        .offset:         0
        .size:           8
        .value_kind:     global_buffer
      - .actual_access:  read_only
        .address_space:  global
        .offset:         8
        .size:           8
        .value_kind:     global_buffer
      - .offset:         16
        .size:           4
        .value_kind:     by_value
      - .offset:         20
        .size:           4
        .value_kind:     by_value
      - .offset:         24
        .size:           4
        .value_kind:     hidden_block_count_x
      - .offset:         28
        .size:           4
        .value_kind:     hidden_block_count_y
      - .offset:         32
        .size:           4
        .value_kind:     hidden_block_count_z
      - .offset:         36
        .size:           2
        .value_kind:     hidden_group_size_x
      - .offset:         38
        .size:           2
        .value_kind:     hidden_group_size_y
      - .offset:         40
        .size:           2
        .value_kind:     hidden_group_size_z
      - .offset:         42
        .size:           2
        .value_kind:     hidden_remainder_x
      - .offset:         44
        .size:           2
        .value_kind:     hidden_remainder_y
      - .offset:         46
        .size:           2
        .value_kind:     hidden_remainder_z
      - .offset:         64
        .size:           8
        .value_kind:     hidden_global_offset_x
      - .offset:         72
        .size:           8
        .value_kind:     hidden_global_offset_y
      - .offset:         80
        .size:           8
        .value_kind:     hidden_global_offset_z
      - .offset:         88
        .size:           2
        .value_kind:     hidden_grid_dims
    .group_segment_fixed_size: 0
    .kernarg_segment_align: 8
    .kernarg_segment_size: 280
    .language:       OpenCL C
    .language_version:
      - 2
      - 0
    .max_flat_workgroup_size: 1024
    .name:           _ZN5aiter18act_and_mul_kernelIttTnPFfRKT_EXadL_ZNS_11gelu_kernelItEEfS3_EELi1ELb0ELi3EEEvPT0_PS2_if
    .private_segment_fixed_size: 0
    .sgpr_count:     42
    .sgpr_spill_count: 0
    .symbol:         _ZN5aiter18act_and_mul_kernelIttTnPFfRKT_EXadL_ZNS_11gelu_kernelItEEfS3_EELi1ELb0ELi3EEEvPT0_PS2_if.kd
    .uniform_work_group_size: 1
    .uses_dynamic_stack: false
    .vgpr_count:     13
    .vgpr_spill_count: 0
    .wavefront_size: 64
  - .agpr_count:     0
    .args:
      - .actual_access:  write_only
        .address_space:  global
        .offset:         0
        .size:           8
        .value_kind:     global_buffer
      - .actual_access:  read_only
        .address_space:  global
        .offset:         8
        .size:           8
        .value_kind:     global_buffer
      - .offset:         16
        .size:           4
        .value_kind:     by_value
      - .offset:         20
        .size:           4
        .value_kind:     by_value
      - .offset:         24
        .size:           4
        .value_kind:     hidden_block_count_x
      - .offset:         28
        .size:           4
        .value_kind:     hidden_block_count_y
      - .offset:         32
        .size:           4
        .value_kind:     hidden_block_count_z
      - .offset:         36
        .size:           2
        .value_kind:     hidden_group_size_x
      - .offset:         38
        .size:           2
        .value_kind:     hidden_group_size_y
      - .offset:         40
        .size:           2
        .value_kind:     hidden_group_size_z
      - .offset:         42
        .size:           2
        .value_kind:     hidden_remainder_x
      - .offset:         44
        .size:           2
        .value_kind:     hidden_remainder_y
      - .offset:         46
        .size:           2
        .value_kind:     hidden_remainder_z
      - .offset:         64
        .size:           8
        .value_kind:     hidden_global_offset_x
      - .offset:         72
        .size:           8
        .value_kind:     hidden_global_offset_y
      - .offset:         80
        .size:           8
        .value_kind:     hidden_global_offset_z
      - .offset:         88
        .size:           2
        .value_kind:     hidden_grid_dims
    .group_segment_fixed_size: 0
    .kernarg_segment_align: 8
    .kernarg_segment_size: 280
    .language:       OpenCL C
    .language_version:
      - 2
      - 0
    .max_flat_workgroup_size: 1024
    .name:           _ZN5aiter18act_and_mul_kernelIftTnPFfRKT_EXadL_ZNS_16gelu_tanh_kernelIfEEfS3_EELi16ELb0ELi0EEEvPT0_PS2_if
    .private_segment_fixed_size: 0
    .sgpr_count:     36
    .sgpr_spill_count: 0
    .symbol:         _ZN5aiter18act_and_mul_kernelIftTnPFfRKT_EXadL_ZNS_16gelu_tanh_kernelIfEEfS3_EELi16ELb0ELi0EEEvPT0_PS2_if.kd
    .uniform_work_group_size: 1
    .uses_dynamic_stack: false
    .vgpr_count:     43
    .vgpr_spill_count: 0
    .wavefront_size: 64
  - .agpr_count:     0
    .args:
      - .actual_access:  write_only
        .address_space:  global
        .offset:         0
        .size:           8
        .value_kind:     global_buffer
      - .actual_access:  read_only
        .address_space:  global
        .offset:         8
        .size:           8
        .value_kind:     global_buffer
      - .offset:         16
        .size:           4
        .value_kind:     by_value
      - .offset:         20
        .size:           4
        .value_kind:     by_value
      - .offset:         24
        .size:           4
        .value_kind:     hidden_block_count_x
      - .offset:         28
        .size:           4
        .value_kind:     hidden_block_count_y
      - .offset:         32
        .size:           4
        .value_kind:     hidden_block_count_z
      - .offset:         36
        .size:           2
        .value_kind:     hidden_group_size_x
      - .offset:         38
        .size:           2
        .value_kind:     hidden_group_size_y
      - .offset:         40
        .size:           2
        .value_kind:     hidden_group_size_z
      - .offset:         42
        .size:           2
        .value_kind:     hidden_remainder_x
      - .offset:         44
        .size:           2
        .value_kind:     hidden_remainder_y
      - .offset:         46
        .size:           2
        .value_kind:     hidden_remainder_z
      - .offset:         64
        .size:           8
        .value_kind:     hidden_global_offset_x
      - .offset:         72
        .size:           8
        .value_kind:     hidden_global_offset_y
      - .offset:         80
        .size:           8
        .value_kind:     hidden_global_offset_z
      - .offset:         88
        .size:           2
        .value_kind:     hidden_grid_dims
    .group_segment_fixed_size: 0
    .kernarg_segment_align: 8
    .kernarg_segment_size: 280
    .language:       OpenCL C
    .language_version:
      - 2
      - 0
    .max_flat_workgroup_size: 1024
    .name:           _ZN5aiter18act_and_mul_kernelIftTnPFfRKT_EXadL_ZNS_16gelu_tanh_kernelIfEEfS3_EELi8ELb0ELi0EEEvPT0_PS2_if
    .private_segment_fixed_size: 0
    .sgpr_count:     36
    .sgpr_spill_count: 0
    .symbol:         _ZN5aiter18act_and_mul_kernelIftTnPFfRKT_EXadL_ZNS_16gelu_tanh_kernelIfEEfS3_EELi8ELb0ELi0EEEvPT0_PS2_if.kd
    .uniform_work_group_size: 1
    .uses_dynamic_stack: false
    .vgpr_count:     27
    .vgpr_spill_count: 0
    .wavefront_size: 64
  - .agpr_count:     0
    .args:
      - .actual_access:  write_only
        .address_space:  global
        .offset:         0
        .size:           8
        .value_kind:     global_buffer
      - .actual_access:  read_only
        .address_space:  global
        .offset:         8
        .size:           8
        .value_kind:     global_buffer
      - .offset:         16
        .size:           4
        .value_kind:     by_value
      - .offset:         20
        .size:           4
        .value_kind:     by_value
      - .offset:         24
        .size:           4
        .value_kind:     hidden_block_count_x
      - .offset:         28
        .size:           4
        .value_kind:     hidden_block_count_y
      - .offset:         32
        .size:           4
        .value_kind:     hidden_block_count_z
      - .offset:         36
        .size:           2
        .value_kind:     hidden_group_size_x
      - .offset:         38
        .size:           2
        .value_kind:     hidden_group_size_y
      - .offset:         40
        .size:           2
        .value_kind:     hidden_group_size_z
      - .offset:         42
        .size:           2
        .value_kind:     hidden_remainder_x
      - .offset:         44
        .size:           2
        .value_kind:     hidden_remainder_y
      - .offset:         46
        .size:           2
        .value_kind:     hidden_remainder_z
      - .offset:         64
        .size:           8
        .value_kind:     hidden_global_offset_x
      - .offset:         72
        .size:           8
        .value_kind:     hidden_global_offset_y
      - .offset:         80
        .size:           8
        .value_kind:     hidden_global_offset_z
      - .offset:         88
        .size:           2
        .value_kind:     hidden_grid_dims
    .group_segment_fixed_size: 0
    .kernarg_segment_align: 8
    .kernarg_segment_size: 280
    .language:       OpenCL C
    .language_version:
      - 2
      - 0
    .max_flat_workgroup_size: 1024
    .name:           _ZN5aiter18act_and_mul_kernelIftTnPFfRKT_EXadL_ZNS_16gelu_tanh_kernelIfEEfS3_EELi4ELb0ELi0EEEvPT0_PS2_if
    .private_segment_fixed_size: 0
    .sgpr_count:     36
    .sgpr_spill_count: 0
    .symbol:         _ZN5aiter18act_and_mul_kernelIftTnPFfRKT_EXadL_ZNS_16gelu_tanh_kernelIfEEfS3_EELi4ELb0ELi0EEEvPT0_PS2_if.kd
    .uniform_work_group_size: 1
    .uses_dynamic_stack: false
    .vgpr_count:     19
    .vgpr_spill_count: 0
    .wavefront_size: 64
  - .agpr_count:     0
    .args:
      - .actual_access:  write_only
        .address_space:  global
        .offset:         0
        .size:           8
        .value_kind:     global_buffer
      - .actual_access:  read_only
        .address_space:  global
        .offset:         8
        .size:           8
        .value_kind:     global_buffer
      - .offset:         16
        .size:           4
        .value_kind:     by_value
      - .offset:         20
        .size:           4
        .value_kind:     by_value
      - .offset:         24
        .size:           4
        .value_kind:     hidden_block_count_x
      - .offset:         28
        .size:           4
        .value_kind:     hidden_block_count_y
      - .offset:         32
        .size:           4
        .value_kind:     hidden_block_count_z
      - .offset:         36
        .size:           2
        .value_kind:     hidden_group_size_x
      - .offset:         38
        .size:           2
        .value_kind:     hidden_group_size_y
      - .offset:         40
        .size:           2
        .value_kind:     hidden_group_size_z
      - .offset:         42
        .size:           2
        .value_kind:     hidden_remainder_x
      - .offset:         44
        .size:           2
        .value_kind:     hidden_remainder_y
      - .offset:         46
        .size:           2
        .value_kind:     hidden_remainder_z
      - .offset:         64
        .size:           8
        .value_kind:     hidden_global_offset_x
      - .offset:         72
        .size:           8
        .value_kind:     hidden_global_offset_y
      - .offset:         80
        .size:           8
        .value_kind:     hidden_global_offset_z
      - .offset:         88
        .size:           2
        .value_kind:     hidden_grid_dims
    .group_segment_fixed_size: 0
    .kernarg_segment_align: 8
    .kernarg_segment_size: 280
    .language:       OpenCL C
    .language_version:
      - 2
      - 0
    .max_flat_workgroup_size: 1024
    .name:           _ZN5aiter18act_and_mul_kernelIftTnPFfRKT_EXadL_ZNS_16gelu_tanh_kernelIfEEfS3_EELi2ELb0ELi0EEEvPT0_PS2_if
    .private_segment_fixed_size: 0
    .sgpr_count:     38
    .sgpr_spill_count: 0
    .symbol:         _ZN5aiter18act_and_mul_kernelIftTnPFfRKT_EXadL_ZNS_16gelu_tanh_kernelIfEEfS3_EELi2ELb0ELi0EEEvPT0_PS2_if.kd
    .uniform_work_group_size: 1
    .uses_dynamic_stack: false
    .vgpr_count:     16
    .vgpr_spill_count: 0
    .wavefront_size: 64
  - .agpr_count:     0
    .args:
      - .actual_access:  write_only
        .address_space:  global
        .offset:         0
        .size:           8
        .value_kind:     global_buffer
      - .actual_access:  read_only
        .address_space:  global
        .offset:         8
        .size:           8
        .value_kind:     global_buffer
      - .offset:         16
        .size:           4
        .value_kind:     by_value
      - .offset:         20
        .size:           4
        .value_kind:     by_value
      - .offset:         24
        .size:           4
        .value_kind:     hidden_block_count_x
      - .offset:         28
        .size:           4
        .value_kind:     hidden_block_count_y
      - .offset:         32
        .size:           4
        .value_kind:     hidden_block_count_z
      - .offset:         36
        .size:           2
        .value_kind:     hidden_group_size_x
      - .offset:         38
        .size:           2
        .value_kind:     hidden_group_size_y
      - .offset:         40
        .size:           2
        .value_kind:     hidden_group_size_z
      - .offset:         42
        .size:           2
        .value_kind:     hidden_remainder_x
      - .offset:         44
        .size:           2
        .value_kind:     hidden_remainder_y
      - .offset:         46
        .size:           2
        .value_kind:     hidden_remainder_z
      - .offset:         64
        .size:           8
        .value_kind:     hidden_global_offset_x
      - .offset:         72
        .size:           8
        .value_kind:     hidden_global_offset_y
      - .offset:         80
        .size:           8
        .value_kind:     hidden_global_offset_z
      - .offset:         88
        .size:           2
        .value_kind:     hidden_grid_dims
    .group_segment_fixed_size: 0
    .kernarg_segment_align: 8
    .kernarg_segment_size: 280
    .language:       OpenCL C
    .language_version:
      - 2
      - 0
    .max_flat_workgroup_size: 1024
    .name:           _ZN5aiter18act_and_mul_kernelIftTnPFfRKT_EXadL_ZNS_16gelu_tanh_kernelIfEEfS3_EELi1ELb0ELi0EEEvPT0_PS2_if
    .private_segment_fixed_size: 0
    .sgpr_count:     36
    .sgpr_spill_count: 0
    .symbol:         _ZN5aiter18act_and_mul_kernelIftTnPFfRKT_EXadL_ZNS_16gelu_tanh_kernelIfEEfS3_EELi1ELb0ELi0EEEvPT0_PS2_if.kd
    .uniform_work_group_size: 1
    .uses_dynamic_stack: false
    .vgpr_count:     13
    .vgpr_spill_count: 0
    .wavefront_size: 64
  - .agpr_count:     0
    .args:
      - .actual_access:  write_only
        .address_space:  global
        .offset:         0
        .size:           8
        .value_kind:     global_buffer
      - .actual_access:  read_only
        .address_space:  global
        .offset:         8
        .size:           8
        .value_kind:     global_buffer
      - .offset:         16
        .size:           4
        .value_kind:     by_value
      - .offset:         20
        .size:           4
        .value_kind:     by_value
      - .offset:         24
        .size:           4
        .value_kind:     hidden_block_count_x
      - .offset:         28
        .size:           4
        .value_kind:     hidden_block_count_y
      - .offset:         32
        .size:           4
        .value_kind:     hidden_block_count_z
      - .offset:         36
        .size:           2
        .value_kind:     hidden_group_size_x
      - .offset:         38
        .size:           2
        .value_kind:     hidden_group_size_y
      - .offset:         40
        .size:           2
        .value_kind:     hidden_group_size_z
      - .offset:         42
        .size:           2
        .value_kind:     hidden_remainder_x
      - .offset:         44
        .size:           2
        .value_kind:     hidden_remainder_y
      - .offset:         46
        .size:           2
        .value_kind:     hidden_remainder_z
      - .offset:         64
        .size:           8
        .value_kind:     hidden_global_offset_x
      - .offset:         72
        .size:           8
        .value_kind:     hidden_global_offset_y
      - .offset:         80
        .size:           8
        .value_kind:     hidden_global_offset_z
      - .offset:         88
        .size:           2
        .value_kind:     hidden_grid_dims
    .group_segment_fixed_size: 0
    .kernarg_segment_align: 8
    .kernarg_segment_size: 280
    .language:       OpenCL C
    .language_version:
      - 2
      - 0
    .max_flat_workgroup_size: 1024
    .name:           _ZN5aiter18act_and_mul_kernelIfDF16_TnPFfRKT_EXadL_ZNS_16gelu_tanh_kernelIfEEfS3_EELi16ELb0ELi0EEEvPT0_PS2_if
    .private_segment_fixed_size: 0
    .sgpr_count:     36
    .sgpr_spill_count: 0
    .symbol:         _ZN5aiter18act_and_mul_kernelIfDF16_TnPFfRKT_EXadL_ZNS_16gelu_tanh_kernelIfEEfS3_EELi16ELb0ELi0EEEvPT0_PS2_if.kd
    .uniform_work_group_size: 1
    .uses_dynamic_stack: false
    .vgpr_count:     43
    .vgpr_spill_count: 0
    .wavefront_size: 64
  - .agpr_count:     0
    .args:
      - .actual_access:  write_only
        .address_space:  global
        .offset:         0
        .size:           8
        .value_kind:     global_buffer
      - .actual_access:  read_only
        .address_space:  global
        .offset:         8
        .size:           8
        .value_kind:     global_buffer
      - .offset:         16
        .size:           4
        .value_kind:     by_value
      - .offset:         20
        .size:           4
        .value_kind:     by_value
      - .offset:         24
        .size:           4
        .value_kind:     hidden_block_count_x
      - .offset:         28
        .size:           4
        .value_kind:     hidden_block_count_y
      - .offset:         32
        .size:           4
        .value_kind:     hidden_block_count_z
      - .offset:         36
        .size:           2
        .value_kind:     hidden_group_size_x
      - .offset:         38
        .size:           2
        .value_kind:     hidden_group_size_y
      - .offset:         40
        .size:           2
        .value_kind:     hidden_group_size_z
      - .offset:         42
        .size:           2
        .value_kind:     hidden_remainder_x
      - .offset:         44
        .size:           2
        .value_kind:     hidden_remainder_y
      - .offset:         46
        .size:           2
        .value_kind:     hidden_remainder_z
      - .offset:         64
        .size:           8
        .value_kind:     hidden_global_offset_x
      - .offset:         72
        .size:           8
        .value_kind:     hidden_global_offset_y
      - .offset:         80
        .size:           8
        .value_kind:     hidden_global_offset_z
      - .offset:         88
        .size:           2
        .value_kind:     hidden_grid_dims
    .group_segment_fixed_size: 0
    .kernarg_segment_align: 8
    .kernarg_segment_size: 280
    .language:       OpenCL C
    .language_version:
      - 2
      - 0
    .max_flat_workgroup_size: 1024
    .name:           _ZN5aiter18act_and_mul_kernelIfDF16_TnPFfRKT_EXadL_ZNS_16gelu_tanh_kernelIfEEfS3_EELi8ELb0ELi0EEEvPT0_PS2_if
    .private_segment_fixed_size: 0
    .sgpr_count:     36
    .sgpr_spill_count: 0
    .symbol:         _ZN5aiter18act_and_mul_kernelIfDF16_TnPFfRKT_EXadL_ZNS_16gelu_tanh_kernelIfEEfS3_EELi8ELb0ELi0EEEvPT0_PS2_if.kd
    .uniform_work_group_size: 1
    .uses_dynamic_stack: false
    .vgpr_count:     27
    .vgpr_spill_count: 0
    .wavefront_size: 64
  - .agpr_count:     0
    .args:
      - .actual_access:  write_only
        .address_space:  global
        .offset:         0
        .size:           8
        .value_kind:     global_buffer
      - .actual_access:  read_only
        .address_space:  global
        .offset:         8
        .size:           8
        .value_kind:     global_buffer
      - .offset:         16
        .size:           4
        .value_kind:     by_value
      - .offset:         20
        .size:           4
        .value_kind:     by_value
      - .offset:         24
        .size:           4
        .value_kind:     hidden_block_count_x
      - .offset:         28
        .size:           4
        .value_kind:     hidden_block_count_y
      - .offset:         32
        .size:           4
        .value_kind:     hidden_block_count_z
      - .offset:         36
        .size:           2
        .value_kind:     hidden_group_size_x
      - .offset:         38
        .size:           2
        .value_kind:     hidden_group_size_y
      - .offset:         40
        .size:           2
        .value_kind:     hidden_group_size_z
      - .offset:         42
        .size:           2
        .value_kind:     hidden_remainder_x
      - .offset:         44
        .size:           2
        .value_kind:     hidden_remainder_y
      - .offset:         46
        .size:           2
        .value_kind:     hidden_remainder_z
      - .offset:         64
        .size:           8
        .value_kind:     hidden_global_offset_x
      - .offset:         72
        .size:           8
        .value_kind:     hidden_global_offset_y
      - .offset:         80
        .size:           8
        .value_kind:     hidden_global_offset_z
      - .offset:         88
        .size:           2
        .value_kind:     hidden_grid_dims
    .group_segment_fixed_size: 0
    .kernarg_segment_align: 8
    .kernarg_segment_size: 280
    .language:       OpenCL C
    .language_version:
      - 2
      - 0
    .max_flat_workgroup_size: 1024
    .name:           _ZN5aiter18act_and_mul_kernelIfDF16_TnPFfRKT_EXadL_ZNS_16gelu_tanh_kernelIfEEfS3_EELi4ELb0ELi0EEEvPT0_PS2_if
    .private_segment_fixed_size: 0
    .sgpr_count:     36
    .sgpr_spill_count: 0
    .symbol:         _ZN5aiter18act_and_mul_kernelIfDF16_TnPFfRKT_EXadL_ZNS_16gelu_tanh_kernelIfEEfS3_EELi4ELb0ELi0EEEvPT0_PS2_if.kd
    .uniform_work_group_size: 1
    .uses_dynamic_stack: false
    .vgpr_count:     19
    .vgpr_spill_count: 0
    .wavefront_size: 64
  - .agpr_count:     0
    .args:
      - .actual_access:  write_only
        .address_space:  global
        .offset:         0
        .size:           8
        .value_kind:     global_buffer
      - .actual_access:  read_only
        .address_space:  global
        .offset:         8
        .size:           8
        .value_kind:     global_buffer
      - .offset:         16
        .size:           4
        .value_kind:     by_value
      - .offset:         20
        .size:           4
        .value_kind:     by_value
      - .offset:         24
        .size:           4
        .value_kind:     hidden_block_count_x
      - .offset:         28
        .size:           4
        .value_kind:     hidden_block_count_y
      - .offset:         32
        .size:           4
        .value_kind:     hidden_block_count_z
      - .offset:         36
        .size:           2
        .value_kind:     hidden_group_size_x
      - .offset:         38
        .size:           2
        .value_kind:     hidden_group_size_y
      - .offset:         40
        .size:           2
        .value_kind:     hidden_group_size_z
      - .offset:         42
        .size:           2
        .value_kind:     hidden_remainder_x
      - .offset:         44
        .size:           2
        .value_kind:     hidden_remainder_y
      - .offset:         46
        .size:           2
        .value_kind:     hidden_remainder_z
      - .offset:         64
        .size:           8
        .value_kind:     hidden_global_offset_x
      - .offset:         72
        .size:           8
        .value_kind:     hidden_global_offset_y
      - .offset:         80
        .size:           8
        .value_kind:     hidden_global_offset_z
      - .offset:         88
        .size:           2
        .value_kind:     hidden_grid_dims
    .group_segment_fixed_size: 0
    .kernarg_segment_align: 8
    .kernarg_segment_size: 280
    .language:       OpenCL C
    .language_version:
      - 2
      - 0
    .max_flat_workgroup_size: 1024
    .name:           _ZN5aiter18act_and_mul_kernelIfDF16_TnPFfRKT_EXadL_ZNS_16gelu_tanh_kernelIfEEfS3_EELi2ELb0ELi0EEEvPT0_PS2_if
    .private_segment_fixed_size: 0
    .sgpr_count:     38
    .sgpr_spill_count: 0
    .symbol:         _ZN5aiter18act_and_mul_kernelIfDF16_TnPFfRKT_EXadL_ZNS_16gelu_tanh_kernelIfEEfS3_EELi2ELb0ELi0EEEvPT0_PS2_if.kd
    .uniform_work_group_size: 1
    .uses_dynamic_stack: false
    .vgpr_count:     16
    .vgpr_spill_count: 0
    .wavefront_size: 64
  - .agpr_count:     0
    .args:
      - .actual_access:  write_only
        .address_space:  global
        .offset:         0
        .size:           8
        .value_kind:     global_buffer
      - .actual_access:  read_only
        .address_space:  global
        .offset:         8
        .size:           8
        .value_kind:     global_buffer
      - .offset:         16
        .size:           4
        .value_kind:     by_value
      - .offset:         20
        .size:           4
        .value_kind:     by_value
      - .offset:         24
        .size:           4
        .value_kind:     hidden_block_count_x
      - .offset:         28
        .size:           4
        .value_kind:     hidden_block_count_y
      - .offset:         32
        .size:           4
        .value_kind:     hidden_block_count_z
      - .offset:         36
        .size:           2
        .value_kind:     hidden_group_size_x
      - .offset:         38
        .size:           2
        .value_kind:     hidden_group_size_y
      - .offset:         40
        .size:           2
        .value_kind:     hidden_group_size_z
      - .offset:         42
        .size:           2
        .value_kind:     hidden_remainder_x
      - .offset:         44
        .size:           2
        .value_kind:     hidden_remainder_y
      - .offset:         46
        .size:           2
        .value_kind:     hidden_remainder_z
      - .offset:         64
        .size:           8
        .value_kind:     hidden_global_offset_x
      - .offset:         72
        .size:           8
        .value_kind:     hidden_global_offset_y
      - .offset:         80
        .size:           8
        .value_kind:     hidden_global_offset_z
      - .offset:         88
        .size:           2
        .value_kind:     hidden_grid_dims
    .group_segment_fixed_size: 0
    .kernarg_segment_align: 8
    .kernarg_segment_size: 280
    .language:       OpenCL C
    .language_version:
      - 2
      - 0
    .max_flat_workgroup_size: 1024
    .name:           _ZN5aiter18act_and_mul_kernelIfDF16_TnPFfRKT_EXadL_ZNS_16gelu_tanh_kernelIfEEfS3_EELi1ELb0ELi0EEEvPT0_PS2_if
    .private_segment_fixed_size: 0
    .sgpr_count:     36
    .sgpr_spill_count: 0
    .symbol:         _ZN5aiter18act_and_mul_kernelIfDF16_TnPFfRKT_EXadL_ZNS_16gelu_tanh_kernelIfEEfS3_EELi1ELb0ELi0EEEvPT0_PS2_if.kd
    .uniform_work_group_size: 1
    .uses_dynamic_stack: false
    .vgpr_count:     13
    .vgpr_spill_count: 0
    .wavefront_size: 64
  - .agpr_count:     0
    .args:
      - .actual_access:  write_only
        .address_space:  global
        .offset:         0
        .size:           8
        .value_kind:     global_buffer
      - .actual_access:  read_only
        .address_space:  global
        .offset:         8
        .size:           8
        .value_kind:     global_buffer
      - .offset:         16
        .size:           4
        .value_kind:     by_value
      - .offset:         20
        .size:           4
        .value_kind:     by_value
      - .offset:         24
        .size:           4
        .value_kind:     hidden_block_count_x
      - .offset:         28
        .size:           4
        .value_kind:     hidden_block_count_y
      - .offset:         32
        .size:           4
        .value_kind:     hidden_block_count_z
      - .offset:         36
        .size:           2
        .value_kind:     hidden_group_size_x
      - .offset:         38
        .size:           2
        .value_kind:     hidden_group_size_y
      - .offset:         40
        .size:           2
        .value_kind:     hidden_group_size_z
      - .offset:         42
        .size:           2
        .value_kind:     hidden_remainder_x
      - .offset:         44
        .size:           2
        .value_kind:     hidden_remainder_y
      - .offset:         46
        .size:           2
        .value_kind:     hidden_remainder_z
      - .offset:         64
        .size:           8
        .value_kind:     hidden_global_offset_x
      - .offset:         72
        .size:           8
        .value_kind:     hidden_global_offset_y
      - .offset:         80
        .size:           8
        .value_kind:     hidden_global_offset_z
      - .offset:         88
        .size:           2
        .value_kind:     hidden_grid_dims
    .group_segment_fixed_size: 0
    .kernarg_segment_align: 8
    .kernarg_segment_size: 280
    .language:       OpenCL C
    .language_version:
      - 2
      - 0
    .max_flat_workgroup_size: 1024
    .name:           _ZN5aiter18act_and_mul_kernelIffTnPFfRKT_EXadL_ZNS_16gelu_tanh_kernelIfEEfS3_EELi16ELb0ELi0EEEvPT0_PS2_if
    .private_segment_fixed_size: 0
    .sgpr_count:     36
    .sgpr_spill_count: 0
    .symbol:         _ZN5aiter18act_and_mul_kernelIffTnPFfRKT_EXadL_ZNS_16gelu_tanh_kernelIfEEfS3_EELi16ELb0ELi0EEEvPT0_PS2_if.kd
    .uniform_work_group_size: 1
    .uses_dynamic_stack: false
    .vgpr_count:     44
    .vgpr_spill_count: 0
    .wavefront_size: 64
  - .agpr_count:     0
    .args:
      - .actual_access:  write_only
        .address_space:  global
        .offset:         0
        .size:           8
        .value_kind:     global_buffer
      - .actual_access:  read_only
        .address_space:  global
        .offset:         8
        .size:           8
        .value_kind:     global_buffer
      - .offset:         16
        .size:           4
        .value_kind:     by_value
      - .offset:         20
        .size:           4
        .value_kind:     by_value
      - .offset:         24
        .size:           4
        .value_kind:     hidden_block_count_x
      - .offset:         28
        .size:           4
        .value_kind:     hidden_block_count_y
      - .offset:         32
        .size:           4
        .value_kind:     hidden_block_count_z
      - .offset:         36
        .size:           2
        .value_kind:     hidden_group_size_x
      - .offset:         38
        .size:           2
        .value_kind:     hidden_group_size_y
      - .offset:         40
        .size:           2
        .value_kind:     hidden_group_size_z
      - .offset:         42
        .size:           2
        .value_kind:     hidden_remainder_x
      - .offset:         44
        .size:           2
        .value_kind:     hidden_remainder_y
      - .offset:         46
        .size:           2
        .value_kind:     hidden_remainder_z
      - .offset:         64
        .size:           8
        .value_kind:     hidden_global_offset_x
      - .offset:         72
        .size:           8
        .value_kind:     hidden_global_offset_y
      - .offset:         80
        .size:           8
        .value_kind:     hidden_global_offset_z
      - .offset:         88
        .size:           2
        .value_kind:     hidden_grid_dims
    .group_segment_fixed_size: 0
    .kernarg_segment_align: 8
    .kernarg_segment_size: 280
    .language:       OpenCL C
    .language_version:
      - 2
      - 0
    .max_flat_workgroup_size: 1024
    .name:           _ZN5aiter18act_and_mul_kernelIffTnPFfRKT_EXadL_ZNS_16gelu_tanh_kernelIfEEfS3_EELi8ELb0ELi0EEEvPT0_PS2_if
    .private_segment_fixed_size: 0
    .sgpr_count:     36
    .sgpr_spill_count: 0
    .symbol:         _ZN5aiter18act_and_mul_kernelIffTnPFfRKT_EXadL_ZNS_16gelu_tanh_kernelIfEEfS3_EELi8ELb0ELi0EEEvPT0_PS2_if.kd
    .uniform_work_group_size: 1
    .uses_dynamic_stack: false
    .vgpr_count:     28
    .vgpr_spill_count: 0
    .wavefront_size: 64
  - .agpr_count:     0
    .args:
      - .actual_access:  write_only
        .address_space:  global
        .offset:         0
        .size:           8
        .value_kind:     global_buffer
      - .actual_access:  read_only
        .address_space:  global
        .offset:         8
        .size:           8
        .value_kind:     global_buffer
      - .offset:         16
        .size:           4
        .value_kind:     by_value
      - .offset:         20
        .size:           4
        .value_kind:     by_value
      - .offset:         24
        .size:           4
        .value_kind:     hidden_block_count_x
      - .offset:         28
        .size:           4
        .value_kind:     hidden_block_count_y
      - .offset:         32
        .size:           4
        .value_kind:     hidden_block_count_z
      - .offset:         36
        .size:           2
        .value_kind:     hidden_group_size_x
      - .offset:         38
        .size:           2
        .value_kind:     hidden_group_size_y
      - .offset:         40
        .size:           2
        .value_kind:     hidden_group_size_z
      - .offset:         42
        .size:           2
        .value_kind:     hidden_remainder_x
      - .offset:         44
        .size:           2
        .value_kind:     hidden_remainder_y
      - .offset:         46
        .size:           2
        .value_kind:     hidden_remainder_z
      - .offset:         64
        .size:           8
        .value_kind:     hidden_global_offset_x
      - .offset:         72
        .size:           8
        .value_kind:     hidden_global_offset_y
      - .offset:         80
        .size:           8
        .value_kind:     hidden_global_offset_z
      - .offset:         88
        .size:           2
        .value_kind:     hidden_grid_dims
    .group_segment_fixed_size: 0
    .kernarg_segment_align: 8
    .kernarg_segment_size: 280
    .language:       OpenCL C
    .language_version:
      - 2
      - 0
    .max_flat_workgroup_size: 1024
    .name:           _ZN5aiter18act_and_mul_kernelIffTnPFfRKT_EXadL_ZNS_16gelu_tanh_kernelIfEEfS3_EELi4ELb0ELi0EEEvPT0_PS2_if
    .private_segment_fixed_size: 0
    .sgpr_count:     36
    .sgpr_spill_count: 0
    .symbol:         _ZN5aiter18act_and_mul_kernelIffTnPFfRKT_EXadL_ZNS_16gelu_tanh_kernelIfEEfS3_EELi4ELb0ELi0EEEvPT0_PS2_if.kd
    .uniform_work_group_size: 1
    .uses_dynamic_stack: false
    .vgpr_count:     20
    .vgpr_spill_count: 0
    .wavefront_size: 64
  - .agpr_count:     0
    .args:
      - .actual_access:  write_only
        .address_space:  global
        .offset:         0
        .size:           8
        .value_kind:     global_buffer
      - .actual_access:  read_only
        .address_space:  global
        .offset:         8
        .size:           8
        .value_kind:     global_buffer
      - .offset:         16
        .size:           4
        .value_kind:     by_value
      - .offset:         20
        .size:           4
        .value_kind:     by_value
      - .offset:         24
        .size:           4
        .value_kind:     hidden_block_count_x
      - .offset:         28
        .size:           4
        .value_kind:     hidden_block_count_y
      - .offset:         32
        .size:           4
        .value_kind:     hidden_block_count_z
      - .offset:         36
        .size:           2
        .value_kind:     hidden_group_size_x
      - .offset:         38
        .size:           2
        .value_kind:     hidden_group_size_y
      - .offset:         40
        .size:           2
        .value_kind:     hidden_group_size_z
      - .offset:         42
        .size:           2
        .value_kind:     hidden_remainder_x
      - .offset:         44
        .size:           2
        .value_kind:     hidden_remainder_y
      - .offset:         46
        .size:           2
        .value_kind:     hidden_remainder_z
      - .offset:         64
        .size:           8
        .value_kind:     hidden_global_offset_x
      - .offset:         72
        .size:           8
        .value_kind:     hidden_global_offset_y
      - .offset:         80
        .size:           8
        .value_kind:     hidden_global_offset_z
      - .offset:         88
        .size:           2
        .value_kind:     hidden_grid_dims
    .group_segment_fixed_size: 0
    .kernarg_segment_align: 8
    .kernarg_segment_size: 280
    .language:       OpenCL C
    .language_version:
      - 2
      - 0
    .max_flat_workgroup_size: 1024
    .name:           _ZN5aiter18act_and_mul_kernelIffTnPFfRKT_EXadL_ZNS_16gelu_tanh_kernelIfEEfS3_EELi2ELb0ELi0EEEvPT0_PS2_if
    .private_segment_fixed_size: 0
    .sgpr_count:     38
    .sgpr_spill_count: 0
    .symbol:         _ZN5aiter18act_and_mul_kernelIffTnPFfRKT_EXadL_ZNS_16gelu_tanh_kernelIfEEfS3_EELi2ELb0ELi0EEEvPT0_PS2_if.kd
    .uniform_work_group_size: 1
    .uses_dynamic_stack: false
    .vgpr_count:     17
    .vgpr_spill_count: 0
    .wavefront_size: 64
  - .agpr_count:     0
    .args:
      - .actual_access:  write_only
        .address_space:  global
        .offset:         0
        .size:           8
        .value_kind:     global_buffer
      - .actual_access:  read_only
        .address_space:  global
        .offset:         8
        .size:           8
        .value_kind:     global_buffer
      - .offset:         16
        .size:           4
        .value_kind:     by_value
      - .offset:         20
        .size:           4
        .value_kind:     by_value
      - .offset:         24
        .size:           4
        .value_kind:     hidden_block_count_x
      - .offset:         28
        .size:           4
        .value_kind:     hidden_block_count_y
      - .offset:         32
        .size:           4
        .value_kind:     hidden_block_count_z
      - .offset:         36
        .size:           2
        .value_kind:     hidden_group_size_x
      - .offset:         38
        .size:           2
        .value_kind:     hidden_group_size_y
      - .offset:         40
        .size:           2
        .value_kind:     hidden_group_size_z
      - .offset:         42
        .size:           2
        .value_kind:     hidden_remainder_x
      - .offset:         44
        .size:           2
        .value_kind:     hidden_remainder_y
      - .offset:         46
        .size:           2
        .value_kind:     hidden_remainder_z
      - .offset:         64
        .size:           8
        .value_kind:     hidden_global_offset_x
      - .offset:         72
        .size:           8
        .value_kind:     hidden_global_offset_y
      - .offset:         80
        .size:           8
        .value_kind:     hidden_global_offset_z
      - .offset:         88
        .size:           2
        .value_kind:     hidden_grid_dims
    .group_segment_fixed_size: 0
    .kernarg_segment_align: 8
    .kernarg_segment_size: 280
    .language:       OpenCL C
    .language_version:
      - 2
      - 0
    .max_flat_workgroup_size: 1024
    .name:           _ZN5aiter18act_and_mul_kernelIffTnPFfRKT_EXadL_ZNS_16gelu_tanh_kernelIfEEfS3_EELi1ELb0ELi0EEEvPT0_PS2_if
    .private_segment_fixed_size: 0
    .sgpr_count:     34
    .sgpr_spill_count: 0
    .symbol:         _ZN5aiter18act_and_mul_kernelIffTnPFfRKT_EXadL_ZNS_16gelu_tanh_kernelIfEEfS3_EELi1ELb0ELi0EEEvPT0_PS2_if.kd
    .uniform_work_group_size: 1
    .uses_dynamic_stack: false
    .vgpr_count:     12
    .vgpr_spill_count: 0
    .wavefront_size: 64
  - .agpr_count:     0
    .args:
      - .actual_access:  write_only
        .address_space:  global
        .offset:         0
        .size:           8
        .value_kind:     global_buffer
      - .actual_access:  read_only
        .address_space:  global
        .offset:         8
        .size:           8
        .value_kind:     global_buffer
      - .offset:         16
        .size:           4
        .value_kind:     by_value
      - .offset:         20
        .size:           4
        .value_kind:     by_value
      - .offset:         24
        .size:           4
        .value_kind:     hidden_block_count_x
      - .offset:         28
        .size:           4
        .value_kind:     hidden_block_count_y
      - .offset:         32
        .size:           4
        .value_kind:     hidden_block_count_z
      - .offset:         36
        .size:           2
        .value_kind:     hidden_group_size_x
      - .offset:         38
        .size:           2
        .value_kind:     hidden_group_size_y
      - .offset:         40
        .size:           2
        .value_kind:     hidden_group_size_z
      - .offset:         42
        .size:           2
        .value_kind:     hidden_remainder_x
      - .offset:         44
        .size:           2
        .value_kind:     hidden_remainder_y
      - .offset:         46
        .size:           2
        .value_kind:     hidden_remainder_z
      - .offset:         64
        .size:           8
        .value_kind:     hidden_global_offset_x
      - .offset:         72
        .size:           8
        .value_kind:     hidden_global_offset_y
      - .offset:         80
        .size:           8
        .value_kind:     hidden_global_offset_z
      - .offset:         88
        .size:           2
        .value_kind:     hidden_grid_dims
    .group_segment_fixed_size: 0
    .kernarg_segment_align: 8
    .kernarg_segment_size: 280
    .language:       OpenCL C
    .language_version:
      - 2
      - 0
    .max_flat_workgroup_size: 1024
    .name:           _ZN5aiter18act_and_mul_kernelIDF16_DF16_TnPFfRKT_EXadL_ZNS_16gelu_tanh_kernelIDF16_EEfS3_EELi32ELb0ELi3EEEvPT0_PS2_if
    .private_segment_fixed_size: 0
    .sgpr_count:     36
    .sgpr_spill_count: 0
    .symbol:         _ZN5aiter18act_and_mul_kernelIDF16_DF16_TnPFfRKT_EXadL_ZNS_16gelu_tanh_kernelIDF16_EEfS3_EELi32ELb0ELi3EEEvPT0_PS2_if.kd
    .uniform_work_group_size: 1
    .uses_dynamic_stack: false
    .vgpr_count:     45
    .vgpr_spill_count: 0
    .wavefront_size: 64
  - .agpr_count:     0
    .args:
      - .actual_access:  write_only
        .address_space:  global
        .offset:         0
        .size:           8
        .value_kind:     global_buffer
      - .actual_access:  read_only
        .address_space:  global
        .offset:         8
        .size:           8
        .value_kind:     global_buffer
      - .offset:         16
        .size:           4
        .value_kind:     by_value
      - .offset:         20
        .size:           4
        .value_kind:     by_value
      - .offset:         24
        .size:           4
        .value_kind:     hidden_block_count_x
      - .offset:         28
        .size:           4
        .value_kind:     hidden_block_count_y
      - .offset:         32
        .size:           4
        .value_kind:     hidden_block_count_z
      - .offset:         36
        .size:           2
        .value_kind:     hidden_group_size_x
      - .offset:         38
        .size:           2
        .value_kind:     hidden_group_size_y
      - .offset:         40
        .size:           2
        .value_kind:     hidden_group_size_z
      - .offset:         42
        .size:           2
        .value_kind:     hidden_remainder_x
      - .offset:         44
        .size:           2
        .value_kind:     hidden_remainder_y
      - .offset:         46
        .size:           2
        .value_kind:     hidden_remainder_z
      - .offset:         64
        .size:           8
        .value_kind:     hidden_global_offset_x
      - .offset:         72
        .size:           8
        .value_kind:     hidden_global_offset_y
      - .offset:         80
        .size:           8
        .value_kind:     hidden_global_offset_z
      - .offset:         88
        .size:           2
        .value_kind:     hidden_grid_dims
    .group_segment_fixed_size: 0
    .kernarg_segment_align: 8
    .kernarg_segment_size: 280
    .language:       OpenCL C
    .language_version:
      - 2
      - 0
    .max_flat_workgroup_size: 1024
    .name:           _ZN5aiter18act_and_mul_kernelIDF16_DF16_TnPFfRKT_EXadL_ZNS_16gelu_tanh_kernelIDF16_EEfS3_EELi16ELb0ELi3EEEvPT0_PS2_if
    .private_segment_fixed_size: 0
    .sgpr_count:     36
    .sgpr_spill_count: 0
    .symbol:         _ZN5aiter18act_and_mul_kernelIDF16_DF16_TnPFfRKT_EXadL_ZNS_16gelu_tanh_kernelIDF16_EEfS3_EELi16ELb0ELi3EEEvPT0_PS2_if.kd
    .uniform_work_group_size: 1
    .uses_dynamic_stack: false
    .vgpr_count:     29
    .vgpr_spill_count: 0
    .wavefront_size: 64
  - .agpr_count:     0
    .args:
      - .actual_access:  write_only
        .address_space:  global
        .offset:         0
        .size:           8
        .value_kind:     global_buffer
      - .actual_access:  read_only
        .address_space:  global
        .offset:         8
        .size:           8
        .value_kind:     global_buffer
      - .offset:         16
        .size:           4
        .value_kind:     by_value
      - .offset:         20
        .size:           4
        .value_kind:     by_value
      - .offset:         24
        .size:           4
        .value_kind:     hidden_block_count_x
      - .offset:         28
        .size:           4
        .value_kind:     hidden_block_count_y
      - .offset:         32
        .size:           4
        .value_kind:     hidden_block_count_z
      - .offset:         36
        .size:           2
        .value_kind:     hidden_group_size_x
      - .offset:         38
        .size:           2
        .value_kind:     hidden_group_size_y
      - .offset:         40
        .size:           2
        .value_kind:     hidden_group_size_z
      - .offset:         42
        .size:           2
        .value_kind:     hidden_remainder_x
      - .offset:         44
        .size:           2
        .value_kind:     hidden_remainder_y
      - .offset:         46
        .size:           2
        .value_kind:     hidden_remainder_z
      - .offset:         64
        .size:           8
        .value_kind:     hidden_global_offset_x
      - .offset:         72
        .size:           8
        .value_kind:     hidden_global_offset_y
      - .offset:         80
        .size:           8
        .value_kind:     hidden_global_offset_z
      - .offset:         88
        .size:           2
        .value_kind:     hidden_grid_dims
    .group_segment_fixed_size: 0
    .kernarg_segment_align: 8
    .kernarg_segment_size: 280
    .language:       OpenCL C
    .language_version:
      - 2
      - 0
    .max_flat_workgroup_size: 1024
    .name:           _ZN5aiter18act_and_mul_kernelIDF16_DF16_TnPFfRKT_EXadL_ZNS_16gelu_tanh_kernelIDF16_EEfS3_EELi8ELb0ELi3EEEvPT0_PS2_if
    .private_segment_fixed_size: 0
    .sgpr_count:     36
    .sgpr_spill_count: 0
    .symbol:         _ZN5aiter18act_and_mul_kernelIDF16_DF16_TnPFfRKT_EXadL_ZNS_16gelu_tanh_kernelIDF16_EEfS3_EELi8ELb0ELi3EEEvPT0_PS2_if.kd
    .uniform_work_group_size: 1
    .uses_dynamic_stack: false
    .vgpr_count:     21
    .vgpr_spill_count: 0
    .wavefront_size: 64
  - .agpr_count:     0
    .args:
      - .actual_access:  write_only
        .address_space:  global
        .offset:         0
        .size:           8
        .value_kind:     global_buffer
      - .actual_access:  read_only
        .address_space:  global
        .offset:         8
        .size:           8
        .value_kind:     global_buffer
      - .offset:         16
        .size:           4
        .value_kind:     by_value
      - .offset:         20
        .size:           4
        .value_kind:     by_value
      - .offset:         24
        .size:           4
        .value_kind:     hidden_block_count_x
      - .offset:         28
        .size:           4
        .value_kind:     hidden_block_count_y
      - .offset:         32
        .size:           4
        .value_kind:     hidden_block_count_z
      - .offset:         36
        .size:           2
        .value_kind:     hidden_group_size_x
      - .offset:         38
        .size:           2
        .value_kind:     hidden_group_size_y
      - .offset:         40
        .size:           2
        .value_kind:     hidden_group_size_z
      - .offset:         42
        .size:           2
        .value_kind:     hidden_remainder_x
      - .offset:         44
        .size:           2
        .value_kind:     hidden_remainder_y
      - .offset:         46
        .size:           2
        .value_kind:     hidden_remainder_z
      - .offset:         64
        .size:           8
        .value_kind:     hidden_global_offset_x
      - .offset:         72
        .size:           8
        .value_kind:     hidden_global_offset_y
      - .offset:         80
        .size:           8
        .value_kind:     hidden_global_offset_z
      - .offset:         88
        .size:           2
        .value_kind:     hidden_grid_dims
    .group_segment_fixed_size: 0
    .kernarg_segment_align: 8
    .kernarg_segment_size: 280
    .language:       OpenCL C
    .language_version:
      - 2
      - 0
    .max_flat_workgroup_size: 1024
    .name:           _ZN5aiter18act_and_mul_kernelIDF16_DF16_TnPFfRKT_EXadL_ZNS_16gelu_tanh_kernelIDF16_EEfS3_EELi4ELb0ELi3EEEvPT0_PS2_if
    .private_segment_fixed_size: 0
    .sgpr_count:     36
    .sgpr_spill_count: 0
    .symbol:         _ZN5aiter18act_and_mul_kernelIDF16_DF16_TnPFfRKT_EXadL_ZNS_16gelu_tanh_kernelIDF16_EEfS3_EELi4ELb0ELi3EEEvPT0_PS2_if.kd
    .uniform_work_group_size: 1
    .uses_dynamic_stack: false
    .vgpr_count:     17
    .vgpr_spill_count: 0
    .wavefront_size: 64
  - .agpr_count:     0
    .args:
      - .actual_access:  write_only
        .address_space:  global
        .offset:         0
        .size:           8
        .value_kind:     global_buffer
      - .actual_access:  read_only
        .address_space:  global
        .offset:         8
        .size:           8
        .value_kind:     global_buffer
      - .offset:         16
        .size:           4
        .value_kind:     by_value
      - .offset:         20
        .size:           4
        .value_kind:     by_value
      - .offset:         24
        .size:           4
        .value_kind:     hidden_block_count_x
      - .offset:         28
        .size:           4
        .value_kind:     hidden_block_count_y
      - .offset:         32
        .size:           4
        .value_kind:     hidden_block_count_z
      - .offset:         36
        .size:           2
        .value_kind:     hidden_group_size_x
      - .offset:         38
        .size:           2
        .value_kind:     hidden_group_size_y
      - .offset:         40
        .size:           2
        .value_kind:     hidden_group_size_z
      - .offset:         42
        .size:           2
        .value_kind:     hidden_remainder_x
      - .offset:         44
        .size:           2
        .value_kind:     hidden_remainder_y
      - .offset:         46
        .size:           2
        .value_kind:     hidden_remainder_z
      - .offset:         64
        .size:           8
        .value_kind:     hidden_global_offset_x
      - .offset:         72
        .size:           8
        .value_kind:     hidden_global_offset_y
      - .offset:         80
        .size:           8
        .value_kind:     hidden_global_offset_z
      - .offset:         88
        .size:           2
        .value_kind:     hidden_grid_dims
    .group_segment_fixed_size: 0
    .kernarg_segment_align: 8
    .kernarg_segment_size: 280
    .language:       OpenCL C
    .language_version:
      - 2
      - 0
    .max_flat_workgroup_size: 1024
    .name:           _ZN5aiter18act_and_mul_kernelIDF16_DF16_TnPFfRKT_EXadL_ZNS_16gelu_tanh_kernelIDF16_EEfS3_EELi2ELb0ELi3EEEvPT0_PS2_if
    .private_segment_fixed_size: 0
    .sgpr_count:     38
    .sgpr_spill_count: 0
    .symbol:         _ZN5aiter18act_and_mul_kernelIDF16_DF16_TnPFfRKT_EXadL_ZNS_16gelu_tanh_kernelIDF16_EEfS3_EELi2ELb0ELi3EEEvPT0_PS2_if.kd
    .uniform_work_group_size: 1
    .uses_dynamic_stack: false
    .vgpr_count:     16
    .vgpr_spill_count: 0
    .wavefront_size: 64
  - .agpr_count:     0
    .args:
      - .actual_access:  write_only
        .address_space:  global
        .offset:         0
        .size:           8
        .value_kind:     global_buffer
      - .actual_access:  read_only
        .address_space:  global
        .offset:         8
        .size:           8
        .value_kind:     global_buffer
      - .offset:         16
        .size:           4
        .value_kind:     by_value
      - .offset:         20
        .size:           4
        .value_kind:     by_value
      - .offset:         24
        .size:           4
        .value_kind:     hidden_block_count_x
      - .offset:         28
        .size:           4
        .value_kind:     hidden_block_count_y
      - .offset:         32
        .size:           4
        .value_kind:     hidden_block_count_z
      - .offset:         36
        .size:           2
        .value_kind:     hidden_group_size_x
      - .offset:         38
        .size:           2
        .value_kind:     hidden_group_size_y
      - .offset:         40
        .size:           2
        .value_kind:     hidden_group_size_z
      - .offset:         42
        .size:           2
        .value_kind:     hidden_remainder_x
      - .offset:         44
        .size:           2
        .value_kind:     hidden_remainder_y
      - .offset:         46
        .size:           2
        .value_kind:     hidden_remainder_z
      - .offset:         64
        .size:           8
        .value_kind:     hidden_global_offset_x
      - .offset:         72
        .size:           8
        .value_kind:     hidden_global_offset_y
      - .offset:         80
        .size:           8
        .value_kind:     hidden_global_offset_z
      - .offset:         88
        .size:           2
        .value_kind:     hidden_grid_dims
    .group_segment_fixed_size: 0
    .kernarg_segment_align: 8
    .kernarg_segment_size: 280
    .language:       OpenCL C
    .language_version:
      - 2
      - 0
    .max_flat_workgroup_size: 1024
    .name:           _ZN5aiter18act_and_mul_kernelIDF16_DF16_TnPFfRKT_EXadL_ZNS_16gelu_tanh_kernelIDF16_EEfS3_EELi1ELb0ELi3EEEvPT0_PS2_if
    .private_segment_fixed_size: 0
    .sgpr_count:     36
    .sgpr_spill_count: 0
    .symbol:         _ZN5aiter18act_and_mul_kernelIDF16_DF16_TnPFfRKT_EXadL_ZNS_16gelu_tanh_kernelIDF16_EEfS3_EELi1ELb0ELi3EEEvPT0_PS2_if.kd
    .uniform_work_group_size: 1
    .uses_dynamic_stack: false
    .vgpr_count:     12
    .vgpr_spill_count: 0
    .wavefront_size: 64
  - .agpr_count:     0
    .args:
      - .actual_access:  write_only
        .address_space:  global
        .offset:         0
        .size:           8
        .value_kind:     global_buffer
      - .actual_access:  read_only
        .address_space:  global
        .offset:         8
        .size:           8
        .value_kind:     global_buffer
      - .offset:         16
        .size:           4
        .value_kind:     by_value
      - .offset:         20
        .size:           4
        .value_kind:     by_value
      - .offset:         24
        .size:           4
        .value_kind:     hidden_block_count_x
      - .offset:         28
        .size:           4
        .value_kind:     hidden_block_count_y
      - .offset:         32
        .size:           4
        .value_kind:     hidden_block_count_z
      - .offset:         36
        .size:           2
        .value_kind:     hidden_group_size_x
      - .offset:         38
        .size:           2
        .value_kind:     hidden_group_size_y
      - .offset:         40
        .size:           2
        .value_kind:     hidden_group_size_z
      - .offset:         42
        .size:           2
        .value_kind:     hidden_remainder_x
      - .offset:         44
        .size:           2
        .value_kind:     hidden_remainder_y
      - .offset:         46
        .size:           2
        .value_kind:     hidden_remainder_z
      - .offset:         64
        .size:           8
        .value_kind:     hidden_global_offset_x
      - .offset:         72
        .size:           8
        .value_kind:     hidden_global_offset_y
      - .offset:         80
        .size:           8
        .value_kind:     hidden_global_offset_z
      - .offset:         88
        .size:           2
        .value_kind:     hidden_grid_dims
    .group_segment_fixed_size: 0
    .kernarg_segment_align: 8
    .kernarg_segment_size: 280
    .language:       OpenCL C
    .language_version:
      - 2
      - 0
    .max_flat_workgroup_size: 1024
    .name:           _ZN5aiter18act_and_mul_kernelIttTnPFfRKT_EXadL_ZNS_16gelu_tanh_kernelItEEfS3_EELi32ELb0ELi3EEEvPT0_PS2_if
    .private_segment_fixed_size: 0
    .sgpr_count:     36
    .sgpr_spill_count: 0
    .symbol:         _ZN5aiter18act_and_mul_kernelIttTnPFfRKT_EXadL_ZNS_16gelu_tanh_kernelItEEfS3_EELi32ELb0ELi3EEEvPT0_PS2_if.kd
    .uniform_work_group_size: 1
    .uses_dynamic_stack: false
    .vgpr_count:     45
    .vgpr_spill_count: 0
    .wavefront_size: 64
  - .agpr_count:     0
    .args:
      - .actual_access:  write_only
        .address_space:  global
        .offset:         0
        .size:           8
        .value_kind:     global_buffer
      - .actual_access:  read_only
        .address_space:  global
        .offset:         8
        .size:           8
        .value_kind:     global_buffer
      - .offset:         16
        .size:           4
        .value_kind:     by_value
      - .offset:         20
        .size:           4
        .value_kind:     by_value
      - .offset:         24
        .size:           4
        .value_kind:     hidden_block_count_x
      - .offset:         28
        .size:           4
        .value_kind:     hidden_block_count_y
      - .offset:         32
        .size:           4
        .value_kind:     hidden_block_count_z
      - .offset:         36
        .size:           2
        .value_kind:     hidden_group_size_x
      - .offset:         38
        .size:           2
        .value_kind:     hidden_group_size_y
      - .offset:         40
        .size:           2
        .value_kind:     hidden_group_size_z
      - .offset:         42
        .size:           2
        .value_kind:     hidden_remainder_x
      - .offset:         44
        .size:           2
        .value_kind:     hidden_remainder_y
      - .offset:         46
        .size:           2
        .value_kind:     hidden_remainder_z
      - .offset:         64
        .size:           8
        .value_kind:     hidden_global_offset_x
      - .offset:         72
        .size:           8
        .value_kind:     hidden_global_offset_y
      - .offset:         80
        .size:           8
        .value_kind:     hidden_global_offset_z
      - .offset:         88
        .size:           2
        .value_kind:     hidden_grid_dims
    .group_segment_fixed_size: 0
    .kernarg_segment_align: 8
    .kernarg_segment_size: 280
    .language:       OpenCL C
    .language_version:
      - 2
      - 0
    .max_flat_workgroup_size: 1024
    .name:           _ZN5aiter18act_and_mul_kernelIttTnPFfRKT_EXadL_ZNS_16gelu_tanh_kernelItEEfS3_EELi16ELb0ELi3EEEvPT0_PS2_if
    .private_segment_fixed_size: 0
    .sgpr_count:     36
    .sgpr_spill_count: 0
    .symbol:         _ZN5aiter18act_and_mul_kernelIttTnPFfRKT_EXadL_ZNS_16gelu_tanh_kernelItEEfS3_EELi16ELb0ELi3EEEvPT0_PS2_if.kd
    .uniform_work_group_size: 1
    .uses_dynamic_stack: false
    .vgpr_count:     29
    .vgpr_spill_count: 0
    .wavefront_size: 64
  - .agpr_count:     0
    .args:
      - .actual_access:  write_only
        .address_space:  global
        .offset:         0
        .size:           8
        .value_kind:     global_buffer
      - .actual_access:  read_only
        .address_space:  global
        .offset:         8
        .size:           8
        .value_kind:     global_buffer
      - .offset:         16
        .size:           4
        .value_kind:     by_value
      - .offset:         20
        .size:           4
        .value_kind:     by_value
      - .offset:         24
        .size:           4
        .value_kind:     hidden_block_count_x
      - .offset:         28
        .size:           4
        .value_kind:     hidden_block_count_y
      - .offset:         32
        .size:           4
        .value_kind:     hidden_block_count_z
      - .offset:         36
        .size:           2
        .value_kind:     hidden_group_size_x
      - .offset:         38
        .size:           2
        .value_kind:     hidden_group_size_y
      - .offset:         40
        .size:           2
        .value_kind:     hidden_group_size_z
      - .offset:         42
        .size:           2
        .value_kind:     hidden_remainder_x
      - .offset:         44
        .size:           2
        .value_kind:     hidden_remainder_y
      - .offset:         46
        .size:           2
        .value_kind:     hidden_remainder_z
      - .offset:         64
        .size:           8
        .value_kind:     hidden_global_offset_x
      - .offset:         72
        .size:           8
        .value_kind:     hidden_global_offset_y
      - .offset:         80
        .size:           8
        .value_kind:     hidden_global_offset_z
      - .offset:         88
        .size:           2
        .value_kind:     hidden_grid_dims
    .group_segment_fixed_size: 0
    .kernarg_segment_align: 8
    .kernarg_segment_size: 280
    .language:       OpenCL C
    .language_version:
      - 2
      - 0
    .max_flat_workgroup_size: 1024
    .name:           _ZN5aiter18act_and_mul_kernelIttTnPFfRKT_EXadL_ZNS_16gelu_tanh_kernelItEEfS3_EELi8ELb0ELi3EEEvPT0_PS2_if
    .private_segment_fixed_size: 0
    .sgpr_count:     36
    .sgpr_spill_count: 0
    .symbol:         _ZN5aiter18act_and_mul_kernelIttTnPFfRKT_EXadL_ZNS_16gelu_tanh_kernelItEEfS3_EELi8ELb0ELi3EEEvPT0_PS2_if.kd
    .uniform_work_group_size: 1
    .uses_dynamic_stack: false
    .vgpr_count:     21
    .vgpr_spill_count: 0
    .wavefront_size: 64
  - .agpr_count:     0
    .args:
      - .actual_access:  write_only
        .address_space:  global
        .offset:         0
        .size:           8
        .value_kind:     global_buffer
      - .actual_access:  read_only
        .address_space:  global
        .offset:         8
        .size:           8
        .value_kind:     global_buffer
      - .offset:         16
        .size:           4
        .value_kind:     by_value
      - .offset:         20
        .size:           4
        .value_kind:     by_value
      - .offset:         24
        .size:           4
        .value_kind:     hidden_block_count_x
      - .offset:         28
        .size:           4
        .value_kind:     hidden_block_count_y
      - .offset:         32
        .size:           4
        .value_kind:     hidden_block_count_z
      - .offset:         36
        .size:           2
        .value_kind:     hidden_group_size_x
      - .offset:         38
        .size:           2
        .value_kind:     hidden_group_size_y
      - .offset:         40
        .size:           2
        .value_kind:     hidden_group_size_z
      - .offset:         42
        .size:           2
        .value_kind:     hidden_remainder_x
      - .offset:         44
        .size:           2
        .value_kind:     hidden_remainder_y
      - .offset:         46
        .size:           2
        .value_kind:     hidden_remainder_z
      - .offset:         64
        .size:           8
        .value_kind:     hidden_global_offset_x
      - .offset:         72
        .size:           8
        .value_kind:     hidden_global_offset_y
      - .offset:         80
        .size:           8
        .value_kind:     hidden_global_offset_z
      - .offset:         88
        .size:           2
        .value_kind:     hidden_grid_dims
    .group_segment_fixed_size: 0
    .kernarg_segment_align: 8
    .kernarg_segment_size: 280
    .language:       OpenCL C
    .language_version:
      - 2
      - 0
    .max_flat_workgroup_size: 1024
    .name:           _ZN5aiter18act_and_mul_kernelIttTnPFfRKT_EXadL_ZNS_16gelu_tanh_kernelItEEfS3_EELi4ELb0ELi3EEEvPT0_PS2_if
    .private_segment_fixed_size: 0
    .sgpr_count:     36
    .sgpr_spill_count: 0
    .symbol:         _ZN5aiter18act_and_mul_kernelIttTnPFfRKT_EXadL_ZNS_16gelu_tanh_kernelItEEfS3_EELi4ELb0ELi3EEEvPT0_PS2_if.kd
    .uniform_work_group_size: 1
    .uses_dynamic_stack: false
    .vgpr_count:     17
    .vgpr_spill_count: 0
    .wavefront_size: 64
  - .agpr_count:     0
    .args:
      - .actual_access:  write_only
        .address_space:  global
        .offset:         0
        .size:           8
        .value_kind:     global_buffer
      - .actual_access:  read_only
        .address_space:  global
        .offset:         8
        .size:           8
        .value_kind:     global_buffer
      - .offset:         16
        .size:           4
        .value_kind:     by_value
      - .offset:         20
        .size:           4
        .value_kind:     by_value
      - .offset:         24
        .size:           4
        .value_kind:     hidden_block_count_x
      - .offset:         28
        .size:           4
        .value_kind:     hidden_block_count_y
      - .offset:         32
        .size:           4
        .value_kind:     hidden_block_count_z
      - .offset:         36
        .size:           2
        .value_kind:     hidden_group_size_x
      - .offset:         38
        .size:           2
        .value_kind:     hidden_group_size_y
      - .offset:         40
        .size:           2
        .value_kind:     hidden_group_size_z
      - .offset:         42
        .size:           2
        .value_kind:     hidden_remainder_x
      - .offset:         44
        .size:           2
        .value_kind:     hidden_remainder_y
      - .offset:         46
        .size:           2
        .value_kind:     hidden_remainder_z
      - .offset:         64
        .size:           8
        .value_kind:     hidden_global_offset_x
      - .offset:         72
        .size:           8
        .value_kind:     hidden_global_offset_y
      - .offset:         80
        .size:           8
        .value_kind:     hidden_global_offset_z
      - .offset:         88
        .size:           2
        .value_kind:     hidden_grid_dims
    .group_segment_fixed_size: 0
    .kernarg_segment_align: 8
    .kernarg_segment_size: 280
    .language:       OpenCL C
    .language_version:
      - 2
      - 0
    .max_flat_workgroup_size: 1024
    .name:           _ZN5aiter18act_and_mul_kernelIttTnPFfRKT_EXadL_ZNS_16gelu_tanh_kernelItEEfS3_EELi2ELb0ELi3EEEvPT0_PS2_if
    .private_segment_fixed_size: 0
    .sgpr_count:     38
    .sgpr_spill_count: 0
    .symbol:         _ZN5aiter18act_and_mul_kernelIttTnPFfRKT_EXadL_ZNS_16gelu_tanh_kernelItEEfS3_EELi2ELb0ELi3EEEvPT0_PS2_if.kd
    .uniform_work_group_size: 1
    .uses_dynamic_stack: false
    .vgpr_count:     16
    .vgpr_spill_count: 0
    .wavefront_size: 64
  - .agpr_count:     0
    .args:
      - .actual_access:  write_only
        .address_space:  global
        .offset:         0
        .size:           8
        .value_kind:     global_buffer
      - .actual_access:  read_only
        .address_space:  global
        .offset:         8
        .size:           8
        .value_kind:     global_buffer
      - .offset:         16
        .size:           4
        .value_kind:     by_value
      - .offset:         20
        .size:           4
        .value_kind:     by_value
      - .offset:         24
        .size:           4
        .value_kind:     hidden_block_count_x
      - .offset:         28
        .size:           4
        .value_kind:     hidden_block_count_y
      - .offset:         32
        .size:           4
        .value_kind:     hidden_block_count_z
      - .offset:         36
        .size:           2
        .value_kind:     hidden_group_size_x
      - .offset:         38
        .size:           2
        .value_kind:     hidden_group_size_y
      - .offset:         40
        .size:           2
        .value_kind:     hidden_group_size_z
      - .offset:         42
        .size:           2
        .value_kind:     hidden_remainder_x
      - .offset:         44
        .size:           2
        .value_kind:     hidden_remainder_y
      - .offset:         46
        .size:           2
        .value_kind:     hidden_remainder_z
      - .offset:         64
        .size:           8
        .value_kind:     hidden_global_offset_x
      - .offset:         72
        .size:           8
        .value_kind:     hidden_global_offset_y
      - .offset:         80
        .size:           8
        .value_kind:     hidden_global_offset_z
      - .offset:         88
        .size:           2
        .value_kind:     hidden_grid_dims
    .group_segment_fixed_size: 0
    .kernarg_segment_align: 8
    .kernarg_segment_size: 280
    .language:       OpenCL C
    .language_version:
      - 2
      - 0
    .max_flat_workgroup_size: 1024
    .name:           _ZN5aiter18act_and_mul_kernelIttTnPFfRKT_EXadL_ZNS_16gelu_tanh_kernelItEEfS3_EELi1ELb0ELi3EEEvPT0_PS2_if
    .private_segment_fixed_size: 0
    .sgpr_count:     34
    .sgpr_spill_count: 0
    .symbol:         _ZN5aiter18act_and_mul_kernelIttTnPFfRKT_EXadL_ZNS_16gelu_tanh_kernelItEEfS3_EELi1ELb0ELi3EEEvPT0_PS2_if.kd
    .uniform_work_group_size: 1
    .uses_dynamic_stack: false
    .vgpr_count:     12
    .vgpr_spill_count: 0
    .wavefront_size: 64
  - .agpr_count:     0
    .args:
      - .actual_access:  write_only
        .address_space:  global
        .offset:         0
        .size:           8
        .value_kind:     global_buffer
      - .actual_access:  read_only
        .address_space:  global
        .offset:         8
        .size:           8
        .value_kind:     global_buffer
      - .offset:         16
        .size:           8
        .value_kind:     by_value
      - .offset:         24
        .size:           4
        .value_kind:     hidden_block_count_x
      - .offset:         28
        .size:           4
        .value_kind:     hidden_block_count_y
      - .offset:         32
        .size:           4
        .value_kind:     hidden_block_count_z
      - .offset:         36
        .size:           2
        .value_kind:     hidden_group_size_x
      - .offset:         38
        .size:           2
        .value_kind:     hidden_group_size_y
      - .offset:         40
        .size:           2
        .value_kind:     hidden_group_size_z
      - .offset:         42
        .size:           2
        .value_kind:     hidden_remainder_x
      - .offset:         44
        .size:           2
        .value_kind:     hidden_remainder_y
      - .offset:         46
        .size:           2
        .value_kind:     hidden_remainder_z
      - .offset:         64
        .size:           8
        .value_kind:     hidden_global_offset_x
      - .offset:         72
        .size:           8
        .value_kind:     hidden_global_offset_y
      - .offset:         80
        .size:           8
        .value_kind:     hidden_global_offset_z
      - .offset:         88
        .size:           2
        .value_kind:     hidden_grid_dims
    .group_segment_fixed_size: 0
    .kernarg_segment_align: 8
    .kernarg_segment_size: 280
    .language:       OpenCL C
    .language_version:
      - 2
      - 0
    .max_flat_workgroup_size: 1024
    .name:           _ZN5aiter21activation_kernel_vecIDF16_TnPFfRKT_EXadL_ZNS_16gelu_fast_kernelIDF16_EEfS3_EELi32EEEvPS1_PS2_l
    .private_segment_fixed_size: 0
    .sgpr_count:     30
    .sgpr_spill_count: 0
    .symbol:         _ZN5aiter21activation_kernel_vecIDF16_TnPFfRKT_EXadL_ZNS_16gelu_fast_kernelIDF16_EEfS3_EELi32EEEvPS1_PS2_l.kd
    .uniform_work_group_size: 1
    .uses_dynamic_stack: false
    .vgpr_count:     93
    .vgpr_spill_count: 0
    .wavefront_size: 64
  - .agpr_count:     0
    .args:
      - .actual_access:  write_only
        .address_space:  global
        .offset:         0
        .size:           8
        .value_kind:     global_buffer
      - .actual_access:  read_only
        .address_space:  global
        .offset:         8
        .size:           8
        .value_kind:     global_buffer
      - .offset:         16
        .size:           8
        .value_kind:     by_value
      - .offset:         24
        .size:           4
        .value_kind:     hidden_block_count_x
      - .offset:         28
        .size:           4
        .value_kind:     hidden_block_count_y
      - .offset:         32
        .size:           4
        .value_kind:     hidden_block_count_z
      - .offset:         36
        .size:           2
        .value_kind:     hidden_group_size_x
      - .offset:         38
        .size:           2
        .value_kind:     hidden_group_size_y
      - .offset:         40
        .size:           2
        .value_kind:     hidden_group_size_z
      - .offset:         42
        .size:           2
        .value_kind:     hidden_remainder_x
      - .offset:         44
        .size:           2
        .value_kind:     hidden_remainder_y
      - .offset:         46
        .size:           2
        .value_kind:     hidden_remainder_z
      - .offset:         64
        .size:           8
        .value_kind:     hidden_global_offset_x
      - .offset:         72
        .size:           8
        .value_kind:     hidden_global_offset_y
      - .offset:         80
        .size:           8
        .value_kind:     hidden_global_offset_z
      - .offset:         88
        .size:           2
        .value_kind:     hidden_grid_dims
    .group_segment_fixed_size: 0
    .kernarg_segment_align: 8
    .kernarg_segment_size: 280
    .language:       OpenCL C
    .language_version:
      - 2
      - 0
    .max_flat_workgroup_size: 1024
    .name:           _ZN5aiter21activation_kernel_vecIDF16_TnPFfRKT_EXadL_ZNS_16gelu_fast_kernelIDF16_EEfS3_EELi16EEEvPS1_PS2_l
    .private_segment_fixed_size: 0
    .sgpr_count:     30
    .sgpr_spill_count: 0
    .symbol:         _ZN5aiter21activation_kernel_vecIDF16_TnPFfRKT_EXadL_ZNS_16gelu_fast_kernelIDF16_EEfS3_EELi16EEEvPS1_PS2_l.kd
    .uniform_work_group_size: 1
    .uses_dynamic_stack: false
    .vgpr_count:     53
    .vgpr_spill_count: 0
    .wavefront_size: 64
  - .agpr_count:     0
    .args:
      - .actual_access:  write_only
        .address_space:  global
        .offset:         0
        .size:           8
        .value_kind:     global_buffer
      - .actual_access:  read_only
        .address_space:  global
        .offset:         8
        .size:           8
        .value_kind:     global_buffer
      - .offset:         16
        .size:           8
        .value_kind:     by_value
      - .offset:         24
        .size:           4
        .value_kind:     hidden_block_count_x
      - .offset:         28
        .size:           4
        .value_kind:     hidden_block_count_y
      - .offset:         32
        .size:           4
        .value_kind:     hidden_block_count_z
      - .offset:         36
        .size:           2
        .value_kind:     hidden_group_size_x
      - .offset:         38
        .size:           2
        .value_kind:     hidden_group_size_y
      - .offset:         40
        .size:           2
        .value_kind:     hidden_group_size_z
      - .offset:         42
        .size:           2
        .value_kind:     hidden_remainder_x
      - .offset:         44
        .size:           2
        .value_kind:     hidden_remainder_y
      - .offset:         46
        .size:           2
        .value_kind:     hidden_remainder_z
      - .offset:         64
        .size:           8
        .value_kind:     hidden_global_offset_x
      - .offset:         72
        .size:           8
        .value_kind:     hidden_global_offset_y
      - .offset:         80
        .size:           8
        .value_kind:     hidden_global_offset_z
      - .offset:         88
        .size:           2
        .value_kind:     hidden_grid_dims
    .group_segment_fixed_size: 0
    .kernarg_segment_align: 8
    .kernarg_segment_size: 280
    .language:       OpenCL C
    .language_version:
      - 2
      - 0
    .max_flat_workgroup_size: 1024
    .name:           _ZN5aiter21activation_kernel_vecIDF16_TnPFfRKT_EXadL_ZNS_16gelu_fast_kernelIDF16_EEfS3_EELi8EEEvPS1_PS2_l
    .private_segment_fixed_size: 0
    .sgpr_count:     30
    .sgpr_spill_count: 0
    .symbol:         _ZN5aiter21activation_kernel_vecIDF16_TnPFfRKT_EXadL_ZNS_16gelu_fast_kernelIDF16_EEfS3_EELi8EEEvPS1_PS2_l.kd
    .uniform_work_group_size: 1
    .uses_dynamic_stack: false
    .vgpr_count:     33
    .vgpr_spill_count: 0
    .wavefront_size: 64
  - .agpr_count:     0
    .args:
      - .actual_access:  write_only
        .address_space:  global
        .offset:         0
        .size:           8
        .value_kind:     global_buffer
      - .actual_access:  read_only
        .address_space:  global
        .offset:         8
        .size:           8
        .value_kind:     global_buffer
      - .offset:         16
        .size:           8
        .value_kind:     by_value
      - .offset:         24
        .size:           4
        .value_kind:     hidden_block_count_x
      - .offset:         28
        .size:           4
        .value_kind:     hidden_block_count_y
      - .offset:         32
        .size:           4
        .value_kind:     hidden_block_count_z
      - .offset:         36
        .size:           2
        .value_kind:     hidden_group_size_x
      - .offset:         38
        .size:           2
        .value_kind:     hidden_group_size_y
      - .offset:         40
        .size:           2
        .value_kind:     hidden_group_size_z
      - .offset:         42
        .size:           2
        .value_kind:     hidden_remainder_x
      - .offset:         44
        .size:           2
        .value_kind:     hidden_remainder_y
      - .offset:         46
        .size:           2
        .value_kind:     hidden_remainder_z
      - .offset:         64
        .size:           8
        .value_kind:     hidden_global_offset_x
      - .offset:         72
        .size:           8
        .value_kind:     hidden_global_offset_y
      - .offset:         80
        .size:           8
        .value_kind:     hidden_global_offset_z
      - .offset:         88
        .size:           2
        .value_kind:     hidden_grid_dims
    .group_segment_fixed_size: 0
    .kernarg_segment_align: 8
    .kernarg_segment_size: 280
    .language:       OpenCL C
    .language_version:
      - 2
      - 0
    .max_flat_workgroup_size: 1024
    .name:           _ZN5aiter21activation_kernel_vecIDF16_TnPFfRKT_EXadL_ZNS_16gelu_fast_kernelIDF16_EEfS3_EELi4EEEvPS1_PS2_l
    .private_segment_fixed_size: 0
    .sgpr_count:     32
    .sgpr_spill_count: 0
    .symbol:         _ZN5aiter21activation_kernel_vecIDF16_TnPFfRKT_EXadL_ZNS_16gelu_fast_kernelIDF16_EEfS3_EELi4EEEvPS1_PS2_l.kd
    .uniform_work_group_size: 1
    .uses_dynamic_stack: false
    .vgpr_count:     23
    .vgpr_spill_count: 0
    .wavefront_size: 64
  - .agpr_count:     0
    .args:
      - .actual_access:  write_only
        .address_space:  global
        .offset:         0
        .size:           8
        .value_kind:     global_buffer
      - .actual_access:  read_only
        .address_space:  global
        .offset:         8
        .size:           8
        .value_kind:     global_buffer
      - .offset:         16
        .size:           8
        .value_kind:     by_value
      - .offset:         24
        .size:           4
        .value_kind:     hidden_block_count_x
      - .offset:         28
        .size:           4
        .value_kind:     hidden_block_count_y
      - .offset:         32
        .size:           4
        .value_kind:     hidden_block_count_z
      - .offset:         36
        .size:           2
        .value_kind:     hidden_group_size_x
      - .offset:         38
        .size:           2
        .value_kind:     hidden_group_size_y
      - .offset:         40
        .size:           2
        .value_kind:     hidden_group_size_z
      - .offset:         42
        .size:           2
        .value_kind:     hidden_remainder_x
      - .offset:         44
        .size:           2
        .value_kind:     hidden_remainder_y
      - .offset:         46
        .size:           2
        .value_kind:     hidden_remainder_z
      - .offset:         64
        .size:           8
        .value_kind:     hidden_global_offset_x
      - .offset:         72
        .size:           8
        .value_kind:     hidden_global_offset_y
      - .offset:         80
        .size:           8
        .value_kind:     hidden_global_offset_z
      - .offset:         88
        .size:           2
        .value_kind:     hidden_grid_dims
    .group_segment_fixed_size: 0
    .kernarg_segment_align: 8
    .kernarg_segment_size: 280
    .language:       OpenCL C
    .language_version:
      - 2
      - 0
    .max_flat_workgroup_size: 1024
    .name:           _ZN5aiter21activation_kernel_vecIDF16_TnPFfRKT_EXadL_ZNS_16gelu_fast_kernelIDF16_EEfS3_EELi2EEEvPS1_PS2_l
    .private_segment_fixed_size: 0
    .sgpr_count:     30
    .sgpr_spill_count: 0
    .symbol:         _ZN5aiter21activation_kernel_vecIDF16_TnPFfRKT_EXadL_ZNS_16gelu_fast_kernelIDF16_EEfS3_EELi2EEEvPS1_PS2_l.kd
    .uniform_work_group_size: 1
    .uses_dynamic_stack: false
    .vgpr_count:     18
    .vgpr_spill_count: 0
    .wavefront_size: 64
  - .agpr_count:     0
    .args:
      - .actual_access:  write_only
        .address_space:  global
        .offset:         0
        .size:           8
        .value_kind:     global_buffer
      - .actual_access:  read_only
        .address_space:  global
        .offset:         8
        .size:           8
        .value_kind:     global_buffer
      - .offset:         16
        .size:           8
        .value_kind:     by_value
      - .offset:         24
        .size:           4
        .value_kind:     hidden_block_count_x
      - .offset:         28
        .size:           4
        .value_kind:     hidden_block_count_y
      - .offset:         32
        .size:           4
        .value_kind:     hidden_block_count_z
      - .offset:         36
        .size:           2
        .value_kind:     hidden_group_size_x
      - .offset:         38
        .size:           2
        .value_kind:     hidden_group_size_y
      - .offset:         40
        .size:           2
        .value_kind:     hidden_group_size_z
      - .offset:         42
        .size:           2
        .value_kind:     hidden_remainder_x
      - .offset:         44
        .size:           2
        .value_kind:     hidden_remainder_y
      - .offset:         46
        .size:           2
        .value_kind:     hidden_remainder_z
      - .offset:         64
        .size:           8
        .value_kind:     hidden_global_offset_x
      - .offset:         72
        .size:           8
        .value_kind:     hidden_global_offset_y
      - .offset:         80
        .size:           8
        .value_kind:     hidden_global_offset_z
      - .offset:         88
        .size:           2
        .value_kind:     hidden_grid_dims
    .group_segment_fixed_size: 0
    .kernarg_segment_align: 8
    .kernarg_segment_size: 280
    .language:       OpenCL C
    .language_version:
      - 2
      - 0
    .max_flat_workgroup_size: 1024
    .name:           _ZN5aiter21activation_kernel_vecIDF16_TnPFfRKT_EXadL_ZNS_16gelu_fast_kernelIDF16_EEfS3_EELi1EEEvPS1_PS2_l
    .private_segment_fixed_size: 0
    .sgpr_count:     28
    .sgpr_spill_count: 0
    .symbol:         _ZN5aiter21activation_kernel_vecIDF16_TnPFfRKT_EXadL_ZNS_16gelu_fast_kernelIDF16_EEfS3_EELi1EEEvPS1_PS2_l.kd
    .uniform_work_group_size: 1
    .uses_dynamic_stack: false
    .vgpr_count:     14
    .vgpr_spill_count: 0
    .wavefront_size: 64
  - .agpr_count:     0
    .args:
      - .actual_access:  write_only
        .address_space:  global
        .offset:         0
        .size:           8
        .value_kind:     global_buffer
      - .actual_access:  read_only
        .address_space:  global
        .offset:         8
        .size:           8
        .value_kind:     global_buffer
      - .offset:         16
        .size:           8
        .value_kind:     by_value
      - .offset:         24
        .size:           4
        .value_kind:     hidden_block_count_x
      - .offset:         28
        .size:           4
        .value_kind:     hidden_block_count_y
      - .offset:         32
        .size:           4
        .value_kind:     hidden_block_count_z
      - .offset:         36
        .size:           2
        .value_kind:     hidden_group_size_x
      - .offset:         38
        .size:           2
        .value_kind:     hidden_group_size_y
      - .offset:         40
        .size:           2
        .value_kind:     hidden_group_size_z
      - .offset:         42
        .size:           2
        .value_kind:     hidden_remainder_x
      - .offset:         44
        .size:           2
        .value_kind:     hidden_remainder_y
      - .offset:         46
        .size:           2
        .value_kind:     hidden_remainder_z
      - .offset:         64
        .size:           8
        .value_kind:     hidden_global_offset_x
      - .offset:         72
        .size:           8
        .value_kind:     hidden_global_offset_y
      - .offset:         80
        .size:           8
        .value_kind:     hidden_global_offset_z
      - .offset:         88
        .size:           2
        .value_kind:     hidden_grid_dims
    .group_segment_fixed_size: 0
    .kernarg_segment_align: 8
    .kernarg_segment_size: 280
    .language:       OpenCL C
    .language_version:
      - 2
      - 0
    .max_flat_workgroup_size: 1024
    .name:           _ZN5aiter21activation_kernel_vecItTnPFfRKT_EXadL_ZNS_16gelu_fast_kernelItEEfS3_EELi32EEEvPS1_PS2_l
    .private_segment_fixed_size: 0
    .sgpr_count:     30
    .sgpr_spill_count: 0
    .symbol:         _ZN5aiter21activation_kernel_vecItTnPFfRKT_EXadL_ZNS_16gelu_fast_kernelItEEfS3_EELi32EEEvPS1_PS2_l.kd
    .uniform_work_group_size: 1
    .uses_dynamic_stack: false
    .vgpr_count:     93
    .vgpr_spill_count: 0
    .wavefront_size: 64
  - .agpr_count:     0
    .args:
      - .actual_access:  write_only
        .address_space:  global
        .offset:         0
        .size:           8
        .value_kind:     global_buffer
      - .actual_access:  read_only
        .address_space:  global
        .offset:         8
        .size:           8
        .value_kind:     global_buffer
      - .offset:         16
        .size:           8
        .value_kind:     by_value
      - .offset:         24
        .size:           4
        .value_kind:     hidden_block_count_x
      - .offset:         28
        .size:           4
        .value_kind:     hidden_block_count_y
      - .offset:         32
        .size:           4
        .value_kind:     hidden_block_count_z
      - .offset:         36
        .size:           2
        .value_kind:     hidden_group_size_x
      - .offset:         38
        .size:           2
        .value_kind:     hidden_group_size_y
      - .offset:         40
        .size:           2
        .value_kind:     hidden_group_size_z
      - .offset:         42
        .size:           2
        .value_kind:     hidden_remainder_x
      - .offset:         44
        .size:           2
        .value_kind:     hidden_remainder_y
      - .offset:         46
        .size:           2
        .value_kind:     hidden_remainder_z
      - .offset:         64
        .size:           8
        .value_kind:     hidden_global_offset_x
      - .offset:         72
        .size:           8
        .value_kind:     hidden_global_offset_y
      - .offset:         80
        .size:           8
        .value_kind:     hidden_global_offset_z
      - .offset:         88
        .size:           2
        .value_kind:     hidden_grid_dims
    .group_segment_fixed_size: 0
    .kernarg_segment_align: 8
    .kernarg_segment_size: 280
    .language:       OpenCL C
    .language_version:
      - 2
      - 0
    .max_flat_workgroup_size: 1024
    .name:           _ZN5aiter21activation_kernel_vecItTnPFfRKT_EXadL_ZNS_16gelu_fast_kernelItEEfS3_EELi16EEEvPS1_PS2_l
    .private_segment_fixed_size: 0
    .sgpr_count:     30
    .sgpr_spill_count: 0
    .symbol:         _ZN5aiter21activation_kernel_vecItTnPFfRKT_EXadL_ZNS_16gelu_fast_kernelItEEfS3_EELi16EEEvPS1_PS2_l.kd
    .uniform_work_group_size: 1
    .uses_dynamic_stack: false
    .vgpr_count:     53
    .vgpr_spill_count: 0
    .wavefront_size: 64
  - .agpr_count:     0
    .args:
      - .actual_access:  write_only
        .address_space:  global
        .offset:         0
        .size:           8
        .value_kind:     global_buffer
      - .actual_access:  read_only
        .address_space:  global
        .offset:         8
        .size:           8
        .value_kind:     global_buffer
      - .offset:         16
        .size:           8
        .value_kind:     by_value
      - .offset:         24
        .size:           4
        .value_kind:     hidden_block_count_x
      - .offset:         28
        .size:           4
        .value_kind:     hidden_block_count_y
      - .offset:         32
        .size:           4
        .value_kind:     hidden_block_count_z
      - .offset:         36
        .size:           2
        .value_kind:     hidden_group_size_x
      - .offset:         38
        .size:           2
        .value_kind:     hidden_group_size_y
      - .offset:         40
        .size:           2
        .value_kind:     hidden_group_size_z
      - .offset:         42
        .size:           2
        .value_kind:     hidden_remainder_x
      - .offset:         44
        .size:           2
        .value_kind:     hidden_remainder_y
      - .offset:         46
        .size:           2
        .value_kind:     hidden_remainder_z
      - .offset:         64
        .size:           8
        .value_kind:     hidden_global_offset_x
      - .offset:         72
        .size:           8
        .value_kind:     hidden_global_offset_y
      - .offset:         80
        .size:           8
        .value_kind:     hidden_global_offset_z
      - .offset:         88
        .size:           2
        .value_kind:     hidden_grid_dims
    .group_segment_fixed_size: 0
    .kernarg_segment_align: 8
    .kernarg_segment_size: 280
    .language:       OpenCL C
    .language_version:
      - 2
      - 0
    .max_flat_workgroup_size: 1024
    .name:           _ZN5aiter21activation_kernel_vecItTnPFfRKT_EXadL_ZNS_16gelu_fast_kernelItEEfS3_EELi8EEEvPS1_PS2_l
    .private_segment_fixed_size: 0
    .sgpr_count:     30
    .sgpr_spill_count: 0
    .symbol:         _ZN5aiter21activation_kernel_vecItTnPFfRKT_EXadL_ZNS_16gelu_fast_kernelItEEfS3_EELi8EEEvPS1_PS2_l.kd
    .uniform_work_group_size: 1
    .uses_dynamic_stack: false
    .vgpr_count:     33
    .vgpr_spill_count: 0
    .wavefront_size: 64
  - .agpr_count:     0
    .args:
      - .actual_access:  write_only
        .address_space:  global
        .offset:         0
        .size:           8
        .value_kind:     global_buffer
      - .actual_access:  read_only
        .address_space:  global
        .offset:         8
        .size:           8
        .value_kind:     global_buffer
      - .offset:         16
        .size:           8
        .value_kind:     by_value
      - .offset:         24
        .size:           4
        .value_kind:     hidden_block_count_x
      - .offset:         28
        .size:           4
        .value_kind:     hidden_block_count_y
      - .offset:         32
        .size:           4
        .value_kind:     hidden_block_count_z
      - .offset:         36
        .size:           2
        .value_kind:     hidden_group_size_x
      - .offset:         38
        .size:           2
        .value_kind:     hidden_group_size_y
      - .offset:         40
        .size:           2
        .value_kind:     hidden_group_size_z
      - .offset:         42
        .size:           2
        .value_kind:     hidden_remainder_x
      - .offset:         44
        .size:           2
        .value_kind:     hidden_remainder_y
      - .offset:         46
        .size:           2
        .value_kind:     hidden_remainder_z
      - .offset:         64
        .size:           8
        .value_kind:     hidden_global_offset_x
      - .offset:         72
        .size:           8
        .value_kind:     hidden_global_offset_y
      - .offset:         80
        .size:           8
        .value_kind:     hidden_global_offset_z
      - .offset:         88
        .size:           2
        .value_kind:     hidden_grid_dims
    .group_segment_fixed_size: 0
    .kernarg_segment_align: 8
    .kernarg_segment_size: 280
    .language:       OpenCL C
    .language_version:
      - 2
      - 0
    .max_flat_workgroup_size: 1024
    .name:           _ZN5aiter21activation_kernel_vecItTnPFfRKT_EXadL_ZNS_16gelu_fast_kernelItEEfS3_EELi4EEEvPS1_PS2_l
    .private_segment_fixed_size: 0
    .sgpr_count:     30
    .sgpr_spill_count: 0
    .symbol:         _ZN5aiter21activation_kernel_vecItTnPFfRKT_EXadL_ZNS_16gelu_fast_kernelItEEfS3_EELi4EEEvPS1_PS2_l.kd
    .uniform_work_group_size: 1
    .uses_dynamic_stack: false
    .vgpr_count:     23
    .vgpr_spill_count: 0
    .wavefront_size: 64
  - .agpr_count:     0
    .args:
      - .actual_access:  write_only
        .address_space:  global
        .offset:         0
        .size:           8
        .value_kind:     global_buffer
      - .actual_access:  read_only
        .address_space:  global
        .offset:         8
        .size:           8
        .value_kind:     global_buffer
      - .offset:         16
        .size:           8
        .value_kind:     by_value
      - .offset:         24
        .size:           4
        .value_kind:     hidden_block_count_x
      - .offset:         28
        .size:           4
        .value_kind:     hidden_block_count_y
      - .offset:         32
        .size:           4
        .value_kind:     hidden_block_count_z
      - .offset:         36
        .size:           2
        .value_kind:     hidden_group_size_x
      - .offset:         38
        .size:           2
        .value_kind:     hidden_group_size_y
      - .offset:         40
        .size:           2
        .value_kind:     hidden_group_size_z
      - .offset:         42
        .size:           2
        .value_kind:     hidden_remainder_x
      - .offset:         44
        .size:           2
        .value_kind:     hidden_remainder_y
      - .offset:         46
        .size:           2
        .value_kind:     hidden_remainder_z
      - .offset:         64
        .size:           8
        .value_kind:     hidden_global_offset_x
      - .offset:         72
        .size:           8
        .value_kind:     hidden_global_offset_y
      - .offset:         80
        .size:           8
        .value_kind:     hidden_global_offset_z
      - .offset:         88
        .size:           2
        .value_kind:     hidden_grid_dims
    .group_segment_fixed_size: 0
    .kernarg_segment_align: 8
    .kernarg_segment_size: 280
    .language:       OpenCL C
    .language_version:
      - 2
      - 0
    .max_flat_workgroup_size: 1024
    .name:           _ZN5aiter21activation_kernel_vecItTnPFfRKT_EXadL_ZNS_16gelu_fast_kernelItEEfS3_EELi2EEEvPS1_PS2_l
    .private_segment_fixed_size: 0
    .sgpr_count:     30
    .sgpr_spill_count: 0
    .symbol:         _ZN5aiter21activation_kernel_vecItTnPFfRKT_EXadL_ZNS_16gelu_fast_kernelItEEfS3_EELi2EEEvPS1_PS2_l.kd
    .uniform_work_group_size: 1
    .uses_dynamic_stack: false
    .vgpr_count:     18
    .vgpr_spill_count: 0
    .wavefront_size: 64
  - .agpr_count:     0
    .args:
      - .actual_access:  write_only
        .address_space:  global
        .offset:         0
        .size:           8
        .value_kind:     global_buffer
      - .actual_access:  read_only
        .address_space:  global
        .offset:         8
        .size:           8
        .value_kind:     global_buffer
      - .offset:         16
        .size:           8
        .value_kind:     by_value
      - .offset:         24
        .size:           4
        .value_kind:     hidden_block_count_x
      - .offset:         28
        .size:           4
        .value_kind:     hidden_block_count_y
      - .offset:         32
        .size:           4
        .value_kind:     hidden_block_count_z
      - .offset:         36
        .size:           2
        .value_kind:     hidden_group_size_x
      - .offset:         38
        .size:           2
        .value_kind:     hidden_group_size_y
      - .offset:         40
        .size:           2
        .value_kind:     hidden_group_size_z
      - .offset:         42
        .size:           2
        .value_kind:     hidden_remainder_x
      - .offset:         44
        .size:           2
        .value_kind:     hidden_remainder_y
      - .offset:         46
        .size:           2
        .value_kind:     hidden_remainder_z
      - .offset:         64
        .size:           8
        .value_kind:     hidden_global_offset_x
      - .offset:         72
        .size:           8
        .value_kind:     hidden_global_offset_y
      - .offset:         80
        .size:           8
        .value_kind:     hidden_global_offset_z
      - .offset:         88
        .size:           2
        .value_kind:     hidden_grid_dims
    .group_segment_fixed_size: 0
    .kernarg_segment_align: 8
    .kernarg_segment_size: 280
    .language:       OpenCL C
    .language_version:
      - 2
      - 0
    .max_flat_workgroup_size: 1024
    .name:           _ZN5aiter21activation_kernel_vecItTnPFfRKT_EXadL_ZNS_16gelu_fast_kernelItEEfS3_EELi1EEEvPS1_PS2_l
    .private_segment_fixed_size: 0
    .sgpr_count:     26
    .sgpr_spill_count: 0
    .symbol:         _ZN5aiter21activation_kernel_vecItTnPFfRKT_EXadL_ZNS_16gelu_fast_kernelItEEfS3_EELi1EEEvPS1_PS2_l.kd
    .uniform_work_group_size: 1
    .uses_dynamic_stack: false
    .vgpr_count:     14
    .vgpr_spill_count: 0
    .wavefront_size: 64
amdhsa.target:   amdgcn-amd-amdhsa--gfx942
amdhsa.version:
  - 1
  - 2
...

	.end_amdgpu_metadata
